;; amdgpu-corpus repo=ROCm/hipCUB kind=compiled arch=gfx1100 opt=O3
	.text
	.amdgcn_target "amdgcn-amd-amdhsa--gfx1100"
	.amdhsa_code_object_version 6
	.section	.text._Z16sort_keys_kernelI22helper_blocked_blockediLj64ELj1ELj10EEvPKT0_PS1_,"axG",@progbits,_Z16sort_keys_kernelI22helper_blocked_blockediLj64ELj1ELj10EEvPKT0_PS1_,comdat
	.protected	_Z16sort_keys_kernelI22helper_blocked_blockediLj64ELj1ELj10EEvPKT0_PS1_ ; -- Begin function _Z16sort_keys_kernelI22helper_blocked_blockediLj64ELj1ELj10EEvPKT0_PS1_
	.globl	_Z16sort_keys_kernelI22helper_blocked_blockediLj64ELj1ELj10EEvPKT0_PS1_
	.p2align	8
	.type	_Z16sort_keys_kernelI22helper_blocked_blockediLj64ELj1ELj10EEvPKT0_PS1_,@function
_Z16sort_keys_kernelI22helper_blocked_blockediLj64ELj1ELj10EEvPKT0_PS1_: ; @_Z16sort_keys_kernelI22helper_blocked_blockediLj64ELj1ELj10EEvPKT0_PS1_
; %bb.0:
	s_clause 0x1
	s_load_b128 s[16:19], s[0:1], 0x0
	s_load_b32 s9, s[0:1], 0x1c
	s_mov_b32 s21, 0
	s_lshl_b32 s20, s15, 6
	v_mbcnt_lo_u32_b32 v3, -1, 0
	s_lshl_b64 s[14:15], s[20:21], 2
	s_mov_b32 s20, s21
	s_mov_b32 s13, 10
	s_delay_alu instid0(VALU_DEP_1) | instskip(SKIP_3) | instid1(VALU_DEP_4)
	v_dual_mov_b32 v11, s20 :: v_dual_add_nc_u32 v6, -1, v3
	v_and_b32_e32 v4, 15, v3
	v_dual_mov_b32 v12, s21 :: v_dual_and_b32 v5, 16, v3
	v_and_b32_e32 v7, 1, v3
	v_cmp_gt_i32_e64 s7, 0, v6
	s_delay_alu instid0(VALU_DEP_4)
	v_cmp_lt_u32_e64 s2, 3, v4
	v_cmp_lt_u32_e64 s3, 7, v4
	v_cmp_eq_u32_e64 s4, 0, v5
	v_cmp_eq_u32_e32 vcc_lo, 0, v3
	v_cndmask_b32_e64 v5, v6, v3, s7
	s_waitcnt lgkmcnt(0)
	s_add_u32 s0, s16, s14
	s_addc_u32 s1, s17, s15
	s_mov_b32 s16, s21
	s_mov_b32 s17, s21
	v_dual_mov_b32 v9, s16 :: v_dual_and_b32 v8, 0x3ff, v0
	v_mov_b32_e32 v10, s17
	s_lshr_b32 s8, s9, 16
	s_and_b32 s9, s9, 0xffff
	s_delay_alu instid0(VALU_DEP_2)
	v_lshlrev_b32_e32 v1, 2, v8
	v_lshrrev_b32_e32 v6, 3, v8
	v_lshlrev_b32_e32 v13, 5, v8
	v_mul_i32_i24_e32 v20, 0xffffffe4, v8
	v_cmp_gt_u32_e64 s5, 2, v8
	global_load_b32 v2, v1, s[0:1]
	v_bfe_u32 v1, v0, 10, 10
	v_bfe_u32 v0, v0, 20, 10
	v_cmp_eq_u32_e64 s0, 0, v4
	v_cmp_lt_u32_e64 s1, 1, v4
	v_and_b32_e32 v4, 32, v8
	v_cmp_lt_u32_e64 s6, 31, v8
	v_mad_u32_u24 v14, v0, s8, v1
	v_cmp_eq_u32_e64 s8, 0, v7
	v_cmp_eq_u32_e64 s7, 0, v8
	v_or_b32_e32 v7, 31, v4
	v_or_b32_e32 v15, 8, v13
	v_mad_u64_u32 v[0:1], null, v14, s9, v[8:9]
	v_and_b32_e32 v14, 4, v6
	v_or_b32_e32 v1, v3, v4
	v_lshlrev_b32_e32 v16, 2, v5
	v_cmp_eq_u32_e64 s9, v7, v8
	v_add_nc_u32_e32 v20, v13, v20
	v_add_nc_u32_e32 v17, -4, v14
	v_lshlrev_b32_e32 v18, 2, v1
	v_lshrrev_b32_e32 v19, 5, v0
	s_waitcnt vmcnt(0)
	v_xor_b32_e32 v21, 0x80000000, v2
	s_branch .LBB0_2
.LBB0_1:                                ;   in Loop: Header=BB0_2 Depth=1
	s_or_b32 exec_lo, exec_lo, s10
	s_waitcnt lgkmcnt(0)
	v_add_nc_u32_e32 v3, v24, v3
	s_add_i32 s13, s13, -1
	s_delay_alu instid0(SALU_CYCLE_1) | instskip(SKIP_3) | instid1(VALU_DEP_1)
	s_cmp_eq_u32 s13, 0
	ds_bpermute_b32 v3, v16, v3
	s_waitcnt lgkmcnt(0)
	v_cndmask_b32_e32 v3, v3, v24, vcc_lo
	v_cndmask_b32_e64 v3, v3, 0, s7
	s_delay_alu instid0(VALU_DEP_1) | instskip(NEXT) | instid1(VALU_DEP_1)
	v_add_nc_u32_e32 v4, v3, v4
	v_add_nc_u32_e32 v5, v4, v5
	s_delay_alu instid0(VALU_DEP_1) | instskip(NEXT) | instid1(VALU_DEP_1)
	v_add_nc_u32_e32 v6, v5, v6
	v_add_nc_u32_e32 v24, v6, v7
	;; [unrolled: 3-line block ×3, first 2 shown]
	s_delay_alu instid0(VALU_DEP_1)
	v_add_nc_u32_e32 v1, v0, v2
	ds_store_2addr_b64 v13, v[3:4], v[5:6] offset0:1 offset1:2
	ds_store_2addr_b64 v15, v[24:25], v[0:1] offset0:2 offset1:3
	s_waitcnt lgkmcnt(0)
	s_barrier
	buffer_gl0_inv
	ds_load_b32 v0, v23
	v_lshlrev_b32_e32 v1, 2, v22
	s_waitcnt lgkmcnt(0)
	s_barrier
	buffer_gl0_inv
	v_lshl_add_u32 v0, v0, 2, v1
	ds_store_b32 v0, v21
	s_waitcnt lgkmcnt(0)
	s_barrier
	buffer_gl0_inv
	ds_load_b32 v21, v20
	s_cbranch_scc1 .LBB0_34
.LBB0_2:                                ; =>This Inner Loop Header: Depth=1
	s_waitcnt lgkmcnt(0)
	s_delay_alu instid0(VALU_DEP_1)
	v_and_b32_e32 v0, 1, v21
	v_lshlrev_b32_e32 v1, 30, v21
	v_lshlrev_b32_e32 v2, 29, v21
	v_lshlrev_b32_e32 v4, 28, v21
	v_lshlrev_b32_e32 v5, 27, v21
	v_add_co_u32 v0, s10, v0, -1
	s_delay_alu instid0(VALU_DEP_1)
	v_cndmask_b32_e64 v3, 0, 1, s10
	v_not_b32_e32 v7, v1
	v_cmp_gt_i32_e64 s11, 0, v1
	v_not_b32_e32 v1, v2
	v_lshlrev_b32_e32 v6, 26, v21
	v_cmp_ne_u32_e64 s10, 0, v3
	v_ashrrev_i32_e32 v7, 31, v7
	v_lshlrev_b32_e32 v3, 25, v21
	v_ashrrev_i32_e32 v1, 31, v1
	v_cmp_gt_i32_e64 s12, 0, v5
	v_xor_b32_e32 v0, s10, v0
	v_cmp_gt_i32_e64 s10, 0, v2
	v_not_b32_e32 v2, v4
	v_xor_b32_e32 v7, s11, v7
	v_cmp_gt_i32_e64 s11, 0, v4
	v_and_b32_e32 v0, exec_lo, v0
	v_xor_b32_e32 v1, s10, v1
	v_ashrrev_i32_e32 v2, 31, v2
	v_not_b32_e32 v4, v5
	v_not_b32_e32 v5, v6
	v_and_b32_e32 v0, v0, v7
	v_cmp_gt_i32_e64 s10, 0, v6
	v_xor_b32_e32 v2, s11, v2
	v_not_b32_e32 v6, v3
	ds_store_2addr_b64 v13, v[11:12], v[9:10] offset0:1 offset1:2
	ds_store_2addr_b64 v15, v[11:12], v[9:10] offset0:2 offset1:3
	v_and_b32_e32 v0, v0, v1
	v_ashrrev_i32_e32 v1, 31, v4
	v_ashrrev_i32_e32 v4, 31, v5
	v_lshlrev_b32_e32 v5, 24, v21
	s_waitcnt lgkmcnt(0)
	v_and_b32_e32 v0, v0, v2
	v_xor_b32_e32 v1, s12, v1
	v_xor_b32_e32 v2, s10, v4
	v_cmp_gt_i32_e64 s10, 0, v3
	v_not_b32_e32 v3, v5
	v_ashrrev_i32_e32 v4, 31, v6
	v_and_b32_e32 v0, v0, v1
	v_cmp_gt_i32_e64 s11, 0, v5
	s_barrier
	v_ashrrev_i32_e32 v1, 31, v3
	v_xor_b32_e32 v3, s10, v4
	v_and_b32_e32 v0, v0, v2
	buffer_gl0_inv
	v_xor_b32_e32 v1, s11, v1
	; wave barrier
	v_and_b32_e32 v0, v0, v3
	s_delay_alu instid0(VALU_DEP_1) | instskip(SKIP_1) | instid1(VALU_DEP_2)
	v_and_b32_e32 v0, v0, v1
	v_and_b32_e32 v1, 0xff, v21
	v_mbcnt_lo_u32_b32 v22, v0, 0
	s_delay_alu instid0(VALU_DEP_2) | instskip(SKIP_1) | instid1(VALU_DEP_3)
	v_lshl_add_u32 v1, v1, 1, v19
	v_cmp_ne_u32_e64 s11, 0, v0
	v_cmp_eq_u32_e64 s10, 0, v22
	s_delay_alu instid0(VALU_DEP_3) | instskip(NEXT) | instid1(VALU_DEP_2)
	v_lshl_add_u32 v23, v1, 2, 8
	s_and_b32 s11, s11, s10
	s_delay_alu instid0(SALU_CYCLE_1)
	s_and_saveexec_b32 s10, s11
	s_cbranch_execz .LBB0_4
; %bb.3:                                ;   in Loop: Header=BB0_2 Depth=1
	v_bcnt_u32_b32 v0, v0, 0
	ds_store_b32 v23, v0
.LBB0_4:                                ;   in Loop: Header=BB0_2 Depth=1
	s_or_b32 exec_lo, exec_lo, s10
	; wave barrier
	s_waitcnt lgkmcnt(0)
	s_barrier
	buffer_gl0_inv
	ds_load_2addr_b64 v[4:7], v13 offset0:1 offset1:2
	ds_load_2addr_b64 v[0:3], v15 offset0:2 offset1:3
	s_waitcnt lgkmcnt(1)
	v_add_nc_u32_e32 v24, v5, v4
	s_delay_alu instid0(VALU_DEP_1) | instskip(SKIP_1) | instid1(VALU_DEP_1)
	v_add3_u32 v24, v24, v6, v7
	s_waitcnt lgkmcnt(0)
	v_add3_u32 v24, v24, v0, v1
	s_delay_alu instid0(VALU_DEP_1) | instskip(NEXT) | instid1(VALU_DEP_1)
	v_add3_u32 v3, v24, v2, v3
	v_mov_b32_dpp v24, v3 row_shr:1 row_mask:0xf bank_mask:0xf
	s_delay_alu instid0(VALU_DEP_1) | instskip(NEXT) | instid1(VALU_DEP_1)
	v_cndmask_b32_e64 v24, v24, 0, s0
	v_add_nc_u32_e32 v3, v24, v3
	s_delay_alu instid0(VALU_DEP_1) | instskip(NEXT) | instid1(VALU_DEP_1)
	v_mov_b32_dpp v24, v3 row_shr:2 row_mask:0xf bank_mask:0xf
	v_cndmask_b32_e64 v24, 0, v24, s1
	s_delay_alu instid0(VALU_DEP_1) | instskip(NEXT) | instid1(VALU_DEP_1)
	v_add_nc_u32_e32 v3, v3, v24
	v_mov_b32_dpp v24, v3 row_shr:4 row_mask:0xf bank_mask:0xf
	s_delay_alu instid0(VALU_DEP_1) | instskip(NEXT) | instid1(VALU_DEP_1)
	v_cndmask_b32_e64 v24, 0, v24, s2
	v_add_nc_u32_e32 v3, v3, v24
	s_delay_alu instid0(VALU_DEP_1) | instskip(NEXT) | instid1(VALU_DEP_1)
	v_mov_b32_dpp v24, v3 row_shr:8 row_mask:0xf bank_mask:0xf
	v_cndmask_b32_e64 v24, 0, v24, s3
	s_delay_alu instid0(VALU_DEP_1) | instskip(SKIP_3) | instid1(VALU_DEP_1)
	v_add_nc_u32_e32 v3, v3, v24
	ds_swizzle_b32 v24, v3 offset:swizzle(BROADCAST,32,15)
	s_waitcnt lgkmcnt(0)
	v_cndmask_b32_e64 v24, v24, 0, s4
	v_add_nc_u32_e32 v3, v3, v24
	s_and_saveexec_b32 s10, s9
	s_cbranch_execz .LBB0_6
; %bb.5:                                ;   in Loop: Header=BB0_2 Depth=1
	ds_store_b32 v14, v3
.LBB0_6:                                ;   in Loop: Header=BB0_2 Depth=1
	s_or_b32 exec_lo, exec_lo, s10
	s_waitcnt lgkmcnt(0)
	s_barrier
	buffer_gl0_inv
	s_and_saveexec_b32 s10, s5
	s_cbranch_execz .LBB0_8
; %bb.7:                                ;   in Loop: Header=BB0_2 Depth=1
	ds_load_b32 v24, v20
	s_waitcnt lgkmcnt(0)
	v_mov_b32_dpp v25, v24 row_shr:1 row_mask:0xf bank_mask:0xf
	s_delay_alu instid0(VALU_DEP_1) | instskip(NEXT) | instid1(VALU_DEP_1)
	v_cndmask_b32_e64 v25, v25, 0, s8
	v_add_nc_u32_e32 v24, v25, v24
	ds_store_b32 v20, v24
.LBB0_8:                                ;   in Loop: Header=BB0_2 Depth=1
	s_or_b32 exec_lo, exec_lo, s10
	v_mov_b32_e32 v24, 0
	s_waitcnt lgkmcnt(0)
	s_barrier
	buffer_gl0_inv
	s_and_saveexec_b32 s10, s6
	s_cbranch_execz .LBB0_10
; %bb.9:                                ;   in Loop: Header=BB0_2 Depth=1
	ds_load_b32 v24, v17
.LBB0_10:                               ;   in Loop: Header=BB0_2 Depth=1
	s_or_b32 exec_lo, exec_lo, s10
	s_waitcnt lgkmcnt(0)
	v_add_nc_u32_e32 v3, v24, v3
	ds_bpermute_b32 v3, v16, v3
	s_waitcnt lgkmcnt(0)
	v_cndmask_b32_e32 v3, v3, v24, vcc_lo
	s_delay_alu instid0(VALU_DEP_1) | instskip(NEXT) | instid1(VALU_DEP_1)
	v_cndmask_b32_e64 v3, v3, 0, s7
	v_add_nc_u32_e32 v4, v3, v4
	s_delay_alu instid0(VALU_DEP_1) | instskip(NEXT) | instid1(VALU_DEP_1)
	v_add_nc_u32_e32 v5, v4, v5
	v_add_nc_u32_e32 v6, v5, v6
	s_delay_alu instid0(VALU_DEP_1) | instskip(NEXT) | instid1(VALU_DEP_1)
	v_add_nc_u32_e32 v24, v6, v7
	;; [unrolled: 3-line block ×3, first 2 shown]
	v_add_nc_u32_e32 v1, v0, v2
	ds_store_2addr_b64 v13, v[3:4], v[5:6] offset0:1 offset1:2
	ds_store_2addr_b64 v15, v[24:25], v[0:1] offset0:2 offset1:3
	s_waitcnt lgkmcnt(0)
	s_barrier
	buffer_gl0_inv
	ds_load_b32 v0, v23
	v_lshlrev_b32_e32 v1, 2, v22
	s_waitcnt lgkmcnt(0)
	s_barrier
	buffer_gl0_inv
	v_lshl_add_u32 v0, v0, 2, v1
	ds_store_b32 v0, v21
	s_waitcnt lgkmcnt(0)
	s_barrier
	buffer_gl0_inv
	ds_load_b32 v21, v18
	s_waitcnt lgkmcnt(0)
	s_barrier
	buffer_gl0_inv
	ds_store_2addr_b64 v13, v[11:12], v[9:10] offset0:1 offset1:2
	ds_store_2addr_b64 v15, v[11:12], v[9:10] offset0:2 offset1:3
	s_waitcnt lgkmcnt(0)
	s_barrier
	buffer_gl0_inv
	; wave barrier
	v_bfe_u32 v0, v21, 8, 1
	v_lshrrev_b32_e32 v1, 8, v21
	s_delay_alu instid0(VALU_DEP_2) | instskip(NEXT) | instid1(VALU_DEP_1)
	v_add_co_u32 v0, s10, v0, -1
	v_cndmask_b32_e64 v2, 0, 1, s10
	s_delay_alu instid0(VALU_DEP_3)
	v_lshlrev_b32_e32 v3, 30, v1
	v_lshlrev_b32_e32 v4, 29, v1
	;; [unrolled: 1-line block ×4, first 2 shown]
	v_cmp_ne_u32_e64 s10, 0, v2
	v_not_b32_e32 v2, v3
	v_cmp_gt_i32_e64 s11, 0, v3
	v_not_b32_e32 v3, v4
	v_lshlrev_b32_e32 v7, 26, v1
	v_xor_b32_e32 v0, s10, v0
	v_ashrrev_i32_e32 v2, 31, v2
	v_cmp_gt_i32_e64 s10, 0, v4
	v_not_b32_e32 v4, v5
	v_ashrrev_i32_e32 v3, 31, v3
	v_and_b32_e32 v0, exec_lo, v0
	v_xor_b32_e32 v2, s11, v2
	v_cmp_gt_i32_e64 s11, 0, v5
	v_not_b32_e32 v5, v6
	v_ashrrev_i32_e32 v4, 31, v4
	v_xor_b32_e32 v3, s10, v3
	v_and_b32_e32 v0, v0, v2
	v_lshlrev_b32_e32 v22, 25, v1
	v_cmp_gt_i32_e64 s10, 0, v6
	v_not_b32_e32 v2, v7
	v_ashrrev_i32_e32 v5, 31, v5
	v_xor_b32_e32 v4, s11, v4
	v_and_b32_e32 v0, v0, v3
	v_lshlrev_b32_e32 v1, 24, v1
	v_cmp_gt_i32_e64 s11, 0, v7
	v_not_b32_e32 v3, v22
	v_ashrrev_i32_e32 v2, 31, v2
	v_xor_b32_e32 v5, s10, v5
	v_and_b32_e32 v0, v0, v4
	v_cmp_gt_i32_e64 s10, 0, v22
	v_not_b32_e32 v4, v1
	v_ashrrev_i32_e32 v3, 31, v3
	v_xor_b32_e32 v2, s11, v2
	v_and_b32_e32 v0, v0, v5
	v_cmp_gt_i32_e64 s11, 0, v1
	v_ashrrev_i32_e32 v1, 31, v4
	v_xor_b32_e32 v3, s10, v3
	s_delay_alu instid0(VALU_DEP_4) | instskip(SKIP_1) | instid1(VALU_DEP_4)
	v_and_b32_e32 v0, v0, v2
	v_lshrrev_b32_e32 v2, 7, v21
	v_xor_b32_e32 v1, s11, v1
	s_delay_alu instid0(VALU_DEP_3) | instskip(NEXT) | instid1(VALU_DEP_1)
	v_and_b32_e32 v0, v0, v3
	v_and_b32_e32 v0, v0, v1
	s_delay_alu instid0(VALU_DEP_4) | instskip(NEXT) | instid1(VALU_DEP_2)
	v_and_b32_e32 v1, 0x1fe, v2
	v_mbcnt_lo_u32_b32 v22, v0, 0
	s_delay_alu instid0(VALU_DEP_2) | instskip(SKIP_1) | instid1(VALU_DEP_3)
	v_add_nc_u32_e32 v1, v1, v19
	v_cmp_ne_u32_e64 s11, 0, v0
	v_cmp_eq_u32_e64 s10, 0, v22
	s_delay_alu instid0(VALU_DEP_3) | instskip(NEXT) | instid1(VALU_DEP_2)
	v_lshl_add_u32 v23, v1, 2, 8
	s_and_b32 s11, s11, s10
	s_delay_alu instid0(SALU_CYCLE_1)
	s_and_saveexec_b32 s10, s11
	s_cbranch_execz .LBB0_12
; %bb.11:                               ;   in Loop: Header=BB0_2 Depth=1
	v_bcnt_u32_b32 v0, v0, 0
	ds_store_b32 v23, v0
.LBB0_12:                               ;   in Loop: Header=BB0_2 Depth=1
	s_or_b32 exec_lo, exec_lo, s10
	; wave barrier
	s_waitcnt lgkmcnt(0)
	s_barrier
	buffer_gl0_inv
	ds_load_2addr_b64 v[4:7], v13 offset0:1 offset1:2
	ds_load_2addr_b64 v[0:3], v15 offset0:2 offset1:3
	s_waitcnt lgkmcnt(1)
	v_add_nc_u32_e32 v24, v5, v4
	s_delay_alu instid0(VALU_DEP_1) | instskip(SKIP_1) | instid1(VALU_DEP_1)
	v_add3_u32 v24, v24, v6, v7
	s_waitcnt lgkmcnt(0)
	v_add3_u32 v24, v24, v0, v1
	s_delay_alu instid0(VALU_DEP_1) | instskip(NEXT) | instid1(VALU_DEP_1)
	v_add3_u32 v3, v24, v2, v3
	v_mov_b32_dpp v24, v3 row_shr:1 row_mask:0xf bank_mask:0xf
	s_delay_alu instid0(VALU_DEP_1) | instskip(NEXT) | instid1(VALU_DEP_1)
	v_cndmask_b32_e64 v24, v24, 0, s0
	v_add_nc_u32_e32 v3, v24, v3
	s_delay_alu instid0(VALU_DEP_1) | instskip(NEXT) | instid1(VALU_DEP_1)
	v_mov_b32_dpp v24, v3 row_shr:2 row_mask:0xf bank_mask:0xf
	v_cndmask_b32_e64 v24, 0, v24, s1
	s_delay_alu instid0(VALU_DEP_1) | instskip(NEXT) | instid1(VALU_DEP_1)
	v_add_nc_u32_e32 v3, v3, v24
	v_mov_b32_dpp v24, v3 row_shr:4 row_mask:0xf bank_mask:0xf
	s_delay_alu instid0(VALU_DEP_1) | instskip(NEXT) | instid1(VALU_DEP_1)
	v_cndmask_b32_e64 v24, 0, v24, s2
	v_add_nc_u32_e32 v3, v3, v24
	s_delay_alu instid0(VALU_DEP_1) | instskip(NEXT) | instid1(VALU_DEP_1)
	v_mov_b32_dpp v24, v3 row_shr:8 row_mask:0xf bank_mask:0xf
	v_cndmask_b32_e64 v24, 0, v24, s3
	s_delay_alu instid0(VALU_DEP_1) | instskip(SKIP_3) | instid1(VALU_DEP_1)
	v_add_nc_u32_e32 v3, v3, v24
	ds_swizzle_b32 v24, v3 offset:swizzle(BROADCAST,32,15)
	s_waitcnt lgkmcnt(0)
	v_cndmask_b32_e64 v24, v24, 0, s4
	v_add_nc_u32_e32 v3, v3, v24
	s_and_saveexec_b32 s10, s9
	s_cbranch_execz .LBB0_14
; %bb.13:                               ;   in Loop: Header=BB0_2 Depth=1
	ds_store_b32 v14, v3
.LBB0_14:                               ;   in Loop: Header=BB0_2 Depth=1
	s_or_b32 exec_lo, exec_lo, s10
	s_waitcnt lgkmcnt(0)
	s_barrier
	buffer_gl0_inv
	s_and_saveexec_b32 s10, s5
	s_cbranch_execz .LBB0_16
; %bb.15:                               ;   in Loop: Header=BB0_2 Depth=1
	ds_load_b32 v24, v20
	s_waitcnt lgkmcnt(0)
	v_mov_b32_dpp v25, v24 row_shr:1 row_mask:0xf bank_mask:0xf
	s_delay_alu instid0(VALU_DEP_1) | instskip(NEXT) | instid1(VALU_DEP_1)
	v_cndmask_b32_e64 v25, v25, 0, s8
	v_add_nc_u32_e32 v24, v25, v24
	ds_store_b32 v20, v24
.LBB0_16:                               ;   in Loop: Header=BB0_2 Depth=1
	s_or_b32 exec_lo, exec_lo, s10
	v_mov_b32_e32 v24, 0
	s_waitcnt lgkmcnt(0)
	s_barrier
	buffer_gl0_inv
	s_and_saveexec_b32 s10, s6
	s_cbranch_execz .LBB0_18
; %bb.17:                               ;   in Loop: Header=BB0_2 Depth=1
	ds_load_b32 v24, v17
.LBB0_18:                               ;   in Loop: Header=BB0_2 Depth=1
	s_or_b32 exec_lo, exec_lo, s10
	s_waitcnt lgkmcnt(0)
	v_add_nc_u32_e32 v3, v24, v3
	ds_bpermute_b32 v3, v16, v3
	s_waitcnt lgkmcnt(0)
	v_cndmask_b32_e32 v3, v3, v24, vcc_lo
	s_delay_alu instid0(VALU_DEP_1) | instskip(NEXT) | instid1(VALU_DEP_1)
	v_cndmask_b32_e64 v3, v3, 0, s7
	v_add_nc_u32_e32 v4, v3, v4
	s_delay_alu instid0(VALU_DEP_1) | instskip(NEXT) | instid1(VALU_DEP_1)
	v_add_nc_u32_e32 v5, v4, v5
	v_add_nc_u32_e32 v6, v5, v6
	s_delay_alu instid0(VALU_DEP_1) | instskip(NEXT) | instid1(VALU_DEP_1)
	v_add_nc_u32_e32 v24, v6, v7
	;; [unrolled: 3-line block ×3, first 2 shown]
	v_add_nc_u32_e32 v1, v0, v2
	ds_store_2addr_b64 v13, v[3:4], v[5:6] offset0:1 offset1:2
	ds_store_2addr_b64 v15, v[24:25], v[0:1] offset0:2 offset1:3
	s_waitcnt lgkmcnt(0)
	s_barrier
	buffer_gl0_inv
	ds_load_b32 v0, v23
	v_lshlrev_b32_e32 v1, 2, v22
	s_waitcnt lgkmcnt(0)
	s_barrier
	buffer_gl0_inv
	v_lshl_add_u32 v0, v0, 2, v1
	ds_store_b32 v0, v21
	s_waitcnt lgkmcnt(0)
	s_barrier
	buffer_gl0_inv
	ds_load_b32 v21, v18
	s_waitcnt lgkmcnt(0)
	s_barrier
	buffer_gl0_inv
	v_bfe_u32 v0, v21, 16, 1
	v_lshrrev_b32_e32 v1, 16, v21
	s_delay_alu instid0(VALU_DEP_2) | instskip(NEXT) | instid1(VALU_DEP_1)
	v_add_co_u32 v0, s10, v0, -1
	v_cndmask_b32_e64 v2, 0, 1, s10
	s_delay_alu instid0(VALU_DEP_3)
	v_lshlrev_b32_e32 v3, 30, v1
	v_lshlrev_b32_e32 v4, 29, v1
	;; [unrolled: 1-line block ×4, first 2 shown]
	v_cmp_ne_u32_e64 s10, 0, v2
	v_not_b32_e32 v2, v3
	v_cmp_gt_i32_e64 s11, 0, v3
	v_not_b32_e32 v3, v4
	v_lshlrev_b32_e32 v7, 26, v1
	v_xor_b32_e32 v0, s10, v0
	v_ashrrev_i32_e32 v2, 31, v2
	v_cmp_gt_i32_e64 s10, 0, v4
	v_not_b32_e32 v4, v5
	v_ashrrev_i32_e32 v3, 31, v3
	v_and_b32_e32 v0, exec_lo, v0
	v_xor_b32_e32 v2, s11, v2
	v_cmp_gt_i32_e64 s11, 0, v5
	v_not_b32_e32 v5, v6
	v_ashrrev_i32_e32 v4, 31, v4
	v_xor_b32_e32 v3, s10, v3
	v_and_b32_e32 v0, v0, v2
	v_lshlrev_b32_e32 v22, 25, v1
	v_cmp_gt_i32_e64 s10, 0, v6
	v_not_b32_e32 v2, v7
	v_ashrrev_i32_e32 v5, 31, v5
	v_xor_b32_e32 v4, s11, v4
	v_and_b32_e32 v0, v0, v3
	v_lshlrev_b32_e32 v1, 24, v1
	v_cmp_gt_i32_e64 s11, 0, v7
	v_not_b32_e32 v3, v22
	v_ashrrev_i32_e32 v2, 31, v2
	v_xor_b32_e32 v5, s10, v5
	v_and_b32_e32 v0, v0, v4
	v_cmp_gt_i32_e64 s10, 0, v22
	v_not_b32_e32 v4, v1
	v_ashrrev_i32_e32 v3, 31, v3
	v_xor_b32_e32 v2, s11, v2
	v_and_b32_e32 v0, v0, v5
	v_cmp_gt_i32_e64 s11, 0, v1
	v_ashrrev_i32_e32 v1, 31, v4
	v_xor_b32_e32 v3, s10, v3
	v_lshrrev_b32_e32 v6, 15, v21
	v_and_b32_e32 v0, v0, v2
	s_delay_alu instid0(VALU_DEP_4) | instskip(SKIP_1) | instid1(VALU_DEP_3)
	v_xor_b32_e32 v5, s11, v1
	v_dual_mov_b32 v1, s20 :: v_dual_mov_b32 v2, s21
	v_dual_mov_b32 v3, s16 :: v_dual_and_b32 v0, v0, v3
	v_mov_b32_e32 v4, s17
	ds_store_2addr_b64 v13, v[1:2], v[3:4] offset0:1 offset1:2
	ds_store_2addr_b64 v15, v[1:2], v[3:4] offset0:2 offset1:3
	v_and_b32_e32 v0, v0, v5
	v_and_b32_e32 v5, 0x1fe, v6
	s_waitcnt lgkmcnt(0)
	s_barrier
	buffer_gl0_inv
	v_mbcnt_lo_u32_b32 v22, v0, 0
	v_add_nc_u32_e32 v1, v5, v19
	v_cmp_ne_u32_e64 s11, 0, v0
	; wave barrier
	s_delay_alu instid0(VALU_DEP_3) | instskip(NEXT) | instid1(VALU_DEP_3)
	v_cmp_eq_u32_e64 s10, 0, v22
	v_lshl_add_u32 v23, v1, 2, 8
	s_delay_alu instid0(VALU_DEP_2) | instskip(NEXT) | instid1(SALU_CYCLE_1)
	s_and_b32 s11, s11, s10
	s_and_saveexec_b32 s10, s11
	s_cbranch_execz .LBB0_20
; %bb.19:                               ;   in Loop: Header=BB0_2 Depth=1
	v_bcnt_u32_b32 v0, v0, 0
	ds_store_b32 v23, v0
.LBB0_20:                               ;   in Loop: Header=BB0_2 Depth=1
	s_or_b32 exec_lo, exec_lo, s10
	; wave barrier
	s_waitcnt lgkmcnt(0)
	s_barrier
	buffer_gl0_inv
	ds_load_2addr_b64 v[4:7], v13 offset0:1 offset1:2
	ds_load_2addr_b64 v[0:3], v15 offset0:2 offset1:3
	s_waitcnt lgkmcnt(1)
	v_add_nc_u32_e32 v24, v5, v4
	s_delay_alu instid0(VALU_DEP_1) | instskip(SKIP_1) | instid1(VALU_DEP_1)
	v_add3_u32 v24, v24, v6, v7
	s_waitcnt lgkmcnt(0)
	v_add3_u32 v24, v24, v0, v1
	s_delay_alu instid0(VALU_DEP_1) | instskip(NEXT) | instid1(VALU_DEP_1)
	v_add3_u32 v3, v24, v2, v3
	v_mov_b32_dpp v24, v3 row_shr:1 row_mask:0xf bank_mask:0xf
	s_delay_alu instid0(VALU_DEP_1) | instskip(NEXT) | instid1(VALU_DEP_1)
	v_cndmask_b32_e64 v24, v24, 0, s0
	v_add_nc_u32_e32 v3, v24, v3
	s_delay_alu instid0(VALU_DEP_1) | instskip(NEXT) | instid1(VALU_DEP_1)
	v_mov_b32_dpp v24, v3 row_shr:2 row_mask:0xf bank_mask:0xf
	v_cndmask_b32_e64 v24, 0, v24, s1
	s_delay_alu instid0(VALU_DEP_1) | instskip(NEXT) | instid1(VALU_DEP_1)
	v_add_nc_u32_e32 v3, v3, v24
	v_mov_b32_dpp v24, v3 row_shr:4 row_mask:0xf bank_mask:0xf
	s_delay_alu instid0(VALU_DEP_1) | instskip(NEXT) | instid1(VALU_DEP_1)
	v_cndmask_b32_e64 v24, 0, v24, s2
	v_add_nc_u32_e32 v3, v3, v24
	s_delay_alu instid0(VALU_DEP_1) | instskip(NEXT) | instid1(VALU_DEP_1)
	v_mov_b32_dpp v24, v3 row_shr:8 row_mask:0xf bank_mask:0xf
	v_cndmask_b32_e64 v24, 0, v24, s3
	s_delay_alu instid0(VALU_DEP_1) | instskip(SKIP_3) | instid1(VALU_DEP_1)
	v_add_nc_u32_e32 v3, v3, v24
	ds_swizzle_b32 v24, v3 offset:swizzle(BROADCAST,32,15)
	s_waitcnt lgkmcnt(0)
	v_cndmask_b32_e64 v24, v24, 0, s4
	v_add_nc_u32_e32 v3, v3, v24
	s_and_saveexec_b32 s10, s9
	s_cbranch_execz .LBB0_22
; %bb.21:                               ;   in Loop: Header=BB0_2 Depth=1
	ds_store_b32 v14, v3
.LBB0_22:                               ;   in Loop: Header=BB0_2 Depth=1
	s_or_b32 exec_lo, exec_lo, s10
	s_waitcnt lgkmcnt(0)
	s_barrier
	buffer_gl0_inv
	s_and_saveexec_b32 s10, s5
	s_cbranch_execz .LBB0_24
; %bb.23:                               ;   in Loop: Header=BB0_2 Depth=1
	ds_load_b32 v24, v20
	s_waitcnt lgkmcnt(0)
	v_mov_b32_dpp v25, v24 row_shr:1 row_mask:0xf bank_mask:0xf
	s_delay_alu instid0(VALU_DEP_1) | instskip(NEXT) | instid1(VALU_DEP_1)
	v_cndmask_b32_e64 v25, v25, 0, s8
	v_add_nc_u32_e32 v24, v25, v24
	ds_store_b32 v20, v24
.LBB0_24:                               ;   in Loop: Header=BB0_2 Depth=1
	s_or_b32 exec_lo, exec_lo, s10
	v_mov_b32_e32 v24, 0
	s_waitcnt lgkmcnt(0)
	s_barrier
	buffer_gl0_inv
	s_and_saveexec_b32 s10, s6
	s_cbranch_execz .LBB0_26
; %bb.25:                               ;   in Loop: Header=BB0_2 Depth=1
	ds_load_b32 v24, v17
.LBB0_26:                               ;   in Loop: Header=BB0_2 Depth=1
	s_or_b32 exec_lo, exec_lo, s10
	s_waitcnt lgkmcnt(0)
	v_add_nc_u32_e32 v3, v24, v3
	ds_bpermute_b32 v3, v16, v3
	s_waitcnt lgkmcnt(0)
	v_cndmask_b32_e32 v3, v3, v24, vcc_lo
	s_delay_alu instid0(VALU_DEP_1) | instskip(NEXT) | instid1(VALU_DEP_1)
	v_cndmask_b32_e64 v3, v3, 0, s7
	v_add_nc_u32_e32 v4, v3, v4
	s_delay_alu instid0(VALU_DEP_1) | instskip(NEXT) | instid1(VALU_DEP_1)
	v_add_nc_u32_e32 v5, v4, v5
	v_add_nc_u32_e32 v6, v5, v6
	s_delay_alu instid0(VALU_DEP_1) | instskip(NEXT) | instid1(VALU_DEP_1)
	v_add_nc_u32_e32 v24, v6, v7
	;; [unrolled: 3-line block ×3, first 2 shown]
	v_add_nc_u32_e32 v1, v0, v2
	ds_store_2addr_b64 v13, v[3:4], v[5:6] offset0:1 offset1:2
	ds_store_2addr_b64 v15, v[24:25], v[0:1] offset0:2 offset1:3
	s_waitcnt lgkmcnt(0)
	s_barrier
	buffer_gl0_inv
	ds_load_b32 v0, v23
	v_lshlrev_b32_e32 v1, 2, v22
	s_waitcnt lgkmcnt(0)
	s_barrier
	buffer_gl0_inv
	v_lshl_add_u32 v0, v0, 2, v1
	ds_store_b32 v0, v21
	s_waitcnt lgkmcnt(0)
	s_barrier
	buffer_gl0_inv
	ds_load_b32 v21, v18
	s_waitcnt lgkmcnt(0)
	s_barrier
	buffer_gl0_inv
	v_bfe_u32 v0, v21, 24, 1
	v_lshrrev_b32_e32 v5, 24, v21
	s_delay_alu instid0(VALU_DEP_2) | instskip(NEXT) | instid1(VALU_DEP_1)
	v_add_co_u32 v0, s10, v0, -1
	v_cndmask_b32_e64 v1, 0, 1, s10
	s_delay_alu instid0(VALU_DEP_3)
	v_lshlrev_b32_e32 v2, 30, v5
	v_lshlrev_b32_e32 v3, 29, v5
	;; [unrolled: 1-line block ×4, first 2 shown]
	v_cmp_ne_u32_e64 s10, 0, v1
	v_not_b32_e32 v1, v2
	v_cmp_gt_i32_e64 s11, 0, v2
	v_not_b32_e32 v2, v3
	v_lshlrev_b32_e32 v7, 26, v5
	v_xor_b32_e32 v0, s10, v0
	v_ashrrev_i32_e32 v1, 31, v1
	v_cmp_gt_i32_e64 s10, 0, v3
	v_not_b32_e32 v3, v4
	v_ashrrev_i32_e32 v2, 31, v2
	v_and_b32_e32 v0, exec_lo, v0
	v_xor_b32_e32 v1, s11, v1
	v_cmp_gt_i32_e64 s11, 0, v4
	v_not_b32_e32 v4, v6
	v_ashrrev_i32_e32 v3, 31, v3
	v_xor_b32_e32 v2, s10, v2
	v_and_b32_e32 v0, v0, v1
	v_lshlrev_b32_e32 v22, 25, v5
	v_cmp_gt_i32_e64 s10, 0, v6
	v_not_b32_e32 v1, v7
	v_ashrrev_i32_e32 v4, 31, v4
	v_xor_b32_e32 v3, s11, v3
	v_and_b32_e32 v0, v0, v2
	v_cmp_gt_i32_e64 s11, 0, v7
	v_not_b32_e32 v2, v22
	v_ashrrev_i32_e32 v1, 31, v1
	v_xor_b32_e32 v4, s10, v4
	v_and_b32_e32 v0, v0, v3
	v_not_b32_e32 v3, v21
	v_cmp_gt_i32_e64 s10, 0, v22
	v_ashrrev_i32_e32 v2, 31, v2
	v_xor_b32_e32 v1, s11, v1
	v_and_b32_e32 v0, v0, v4
	v_cmp_gt_i32_e64 s11, 0, v21
	v_ashrrev_i32_e32 v3, 31, v3
	v_xor_b32_e32 v2, s10, v2
	s_delay_alu instid0(VALU_DEP_4) | instskip(NEXT) | instid1(VALU_DEP_3)
	v_and_b32_e32 v0, v0, v1
	v_xor_b32_e32 v3, s11, v3
	s_delay_alu instid0(VALU_DEP_2) | instskip(SKIP_1) | instid1(VALU_DEP_2)
	v_dual_mov_b32 v1, s20 :: v_dual_and_b32 v0, v0, v2
	v_mov_b32_e32 v2, s21
	v_dual_mov_b32 v3, s16 :: v_dual_and_b32 v0, v0, v3
	v_mov_b32_e32 v4, s17
	ds_store_2addr_b64 v13, v[1:2], v[3:4] offset0:1 offset1:2
	ds_store_2addr_b64 v15, v[1:2], v[3:4] offset0:2 offset1:3
	v_mbcnt_lo_u32_b32 v22, v0, 0
	v_lshl_add_u32 v1, v5, 1, v19
	v_cmp_ne_u32_e64 s11, 0, v0
	s_waitcnt lgkmcnt(0)
	s_barrier
	v_cmp_eq_u32_e64 s10, 0, v22
	v_lshl_add_u32 v23, v1, 2, 8
	buffer_gl0_inv
	; wave barrier
	s_and_b32 s11, s11, s10
	s_delay_alu instid0(SALU_CYCLE_1)
	s_and_saveexec_b32 s10, s11
	s_cbranch_execz .LBB0_28
; %bb.27:                               ;   in Loop: Header=BB0_2 Depth=1
	v_bcnt_u32_b32 v0, v0, 0
	ds_store_b32 v23, v0
.LBB0_28:                               ;   in Loop: Header=BB0_2 Depth=1
	s_or_b32 exec_lo, exec_lo, s10
	; wave barrier
	s_waitcnt lgkmcnt(0)
	s_barrier
	buffer_gl0_inv
	ds_load_2addr_b64 v[4:7], v13 offset0:1 offset1:2
	ds_load_2addr_b64 v[0:3], v15 offset0:2 offset1:3
	s_waitcnt lgkmcnt(1)
	v_add_nc_u32_e32 v24, v5, v4
	s_delay_alu instid0(VALU_DEP_1) | instskip(SKIP_1) | instid1(VALU_DEP_1)
	v_add3_u32 v24, v24, v6, v7
	s_waitcnt lgkmcnt(0)
	v_add3_u32 v24, v24, v0, v1
	s_delay_alu instid0(VALU_DEP_1) | instskip(NEXT) | instid1(VALU_DEP_1)
	v_add3_u32 v3, v24, v2, v3
	v_mov_b32_dpp v24, v3 row_shr:1 row_mask:0xf bank_mask:0xf
	s_delay_alu instid0(VALU_DEP_1) | instskip(NEXT) | instid1(VALU_DEP_1)
	v_cndmask_b32_e64 v24, v24, 0, s0
	v_add_nc_u32_e32 v3, v24, v3
	s_delay_alu instid0(VALU_DEP_1) | instskip(NEXT) | instid1(VALU_DEP_1)
	v_mov_b32_dpp v24, v3 row_shr:2 row_mask:0xf bank_mask:0xf
	v_cndmask_b32_e64 v24, 0, v24, s1
	s_delay_alu instid0(VALU_DEP_1) | instskip(NEXT) | instid1(VALU_DEP_1)
	v_add_nc_u32_e32 v3, v3, v24
	v_mov_b32_dpp v24, v3 row_shr:4 row_mask:0xf bank_mask:0xf
	s_delay_alu instid0(VALU_DEP_1) | instskip(NEXT) | instid1(VALU_DEP_1)
	v_cndmask_b32_e64 v24, 0, v24, s2
	v_add_nc_u32_e32 v3, v3, v24
	s_delay_alu instid0(VALU_DEP_1) | instskip(NEXT) | instid1(VALU_DEP_1)
	v_mov_b32_dpp v24, v3 row_shr:8 row_mask:0xf bank_mask:0xf
	v_cndmask_b32_e64 v24, 0, v24, s3
	s_delay_alu instid0(VALU_DEP_1) | instskip(SKIP_3) | instid1(VALU_DEP_1)
	v_add_nc_u32_e32 v3, v3, v24
	ds_swizzle_b32 v24, v3 offset:swizzle(BROADCAST,32,15)
	s_waitcnt lgkmcnt(0)
	v_cndmask_b32_e64 v24, v24, 0, s4
	v_add_nc_u32_e32 v3, v3, v24
	s_and_saveexec_b32 s10, s9
	s_cbranch_execz .LBB0_30
; %bb.29:                               ;   in Loop: Header=BB0_2 Depth=1
	ds_store_b32 v14, v3
.LBB0_30:                               ;   in Loop: Header=BB0_2 Depth=1
	s_or_b32 exec_lo, exec_lo, s10
	s_waitcnt lgkmcnt(0)
	s_barrier
	buffer_gl0_inv
	s_and_saveexec_b32 s10, s5
	s_cbranch_execz .LBB0_32
; %bb.31:                               ;   in Loop: Header=BB0_2 Depth=1
	ds_load_b32 v24, v20
	s_waitcnt lgkmcnt(0)
	v_mov_b32_dpp v25, v24 row_shr:1 row_mask:0xf bank_mask:0xf
	s_delay_alu instid0(VALU_DEP_1) | instskip(NEXT) | instid1(VALU_DEP_1)
	v_cndmask_b32_e64 v25, v25, 0, s8
	v_add_nc_u32_e32 v24, v25, v24
	ds_store_b32 v20, v24
.LBB0_32:                               ;   in Loop: Header=BB0_2 Depth=1
	s_or_b32 exec_lo, exec_lo, s10
	v_mov_b32_e32 v24, 0
	s_waitcnt lgkmcnt(0)
	s_barrier
	buffer_gl0_inv
	s_and_saveexec_b32 s10, s6
	s_cbranch_execz .LBB0_1
; %bb.33:                               ;   in Loop: Header=BB0_2 Depth=1
	ds_load_b32 v24, v17
	s_branch .LBB0_1
.LBB0_34:
	s_waitcnt lgkmcnt(0)
	v_xor_b32_e32 v0, 0x80000000, v21
	v_lshlrev_b32_e32 v1, 2, v8
	s_add_u32 s0, s18, s14
	s_addc_u32 s1, s19, s15
	global_store_b32 v1, v0, s[0:1]
	s_nop 0
	s_sendmsg sendmsg(MSG_DEALLOC_VGPRS)
	s_endpgm
	.section	.rodata,"a",@progbits
	.p2align	6, 0x0
	.amdhsa_kernel _Z16sort_keys_kernelI22helper_blocked_blockediLj64ELj1ELj10EEvPKT0_PS1_
		.amdhsa_group_segment_fixed_size 2064
		.amdhsa_private_segment_fixed_size 0
		.amdhsa_kernarg_size 272
		.amdhsa_user_sgpr_count 15
		.amdhsa_user_sgpr_dispatch_ptr 0
		.amdhsa_user_sgpr_queue_ptr 0
		.amdhsa_user_sgpr_kernarg_segment_ptr 1
		.amdhsa_user_sgpr_dispatch_id 0
		.amdhsa_user_sgpr_private_segment_size 0
		.amdhsa_wavefront_size32 1
		.amdhsa_uses_dynamic_stack 0
		.amdhsa_enable_private_segment 0
		.amdhsa_system_sgpr_workgroup_id_x 1
		.amdhsa_system_sgpr_workgroup_id_y 0
		.amdhsa_system_sgpr_workgroup_id_z 0
		.amdhsa_system_sgpr_workgroup_info 0
		.amdhsa_system_vgpr_workitem_id 2
		.amdhsa_next_free_vgpr 26
		.amdhsa_next_free_sgpr 22
		.amdhsa_reserve_vcc 1
		.amdhsa_float_round_mode_32 0
		.amdhsa_float_round_mode_16_64 0
		.amdhsa_float_denorm_mode_32 3
		.amdhsa_float_denorm_mode_16_64 3
		.amdhsa_dx10_clamp 1
		.amdhsa_ieee_mode 1
		.amdhsa_fp16_overflow 0
		.amdhsa_workgroup_processor_mode 1
		.amdhsa_memory_ordered 1
		.amdhsa_forward_progress 0
		.amdhsa_shared_vgpr_count 0
		.amdhsa_exception_fp_ieee_invalid_op 0
		.amdhsa_exception_fp_denorm_src 0
		.amdhsa_exception_fp_ieee_div_zero 0
		.amdhsa_exception_fp_ieee_overflow 0
		.amdhsa_exception_fp_ieee_underflow 0
		.amdhsa_exception_fp_ieee_inexact 0
		.amdhsa_exception_int_div_zero 0
	.end_amdhsa_kernel
	.section	.text._Z16sort_keys_kernelI22helper_blocked_blockediLj64ELj1ELj10EEvPKT0_PS1_,"axG",@progbits,_Z16sort_keys_kernelI22helper_blocked_blockediLj64ELj1ELj10EEvPKT0_PS1_,comdat
.Lfunc_end0:
	.size	_Z16sort_keys_kernelI22helper_blocked_blockediLj64ELj1ELj10EEvPKT0_PS1_, .Lfunc_end0-_Z16sort_keys_kernelI22helper_blocked_blockediLj64ELj1ELj10EEvPKT0_PS1_
                                        ; -- End function
	.section	.AMDGPU.csdata,"",@progbits
; Kernel info:
; codeLenInByte = 4028
; NumSgprs: 24
; NumVgprs: 26
; ScratchSize: 0
; MemoryBound: 0
; FloatMode: 240
; IeeeMode: 1
; LDSByteSize: 2064 bytes/workgroup (compile time only)
; SGPRBlocks: 2
; VGPRBlocks: 3
; NumSGPRsForWavesPerEU: 24
; NumVGPRsForWavesPerEU: 26
; Occupancy: 16
; WaveLimiterHint : 0
; COMPUTE_PGM_RSRC2:SCRATCH_EN: 0
; COMPUTE_PGM_RSRC2:USER_SGPR: 15
; COMPUTE_PGM_RSRC2:TRAP_HANDLER: 0
; COMPUTE_PGM_RSRC2:TGID_X_EN: 1
; COMPUTE_PGM_RSRC2:TGID_Y_EN: 0
; COMPUTE_PGM_RSRC2:TGID_Z_EN: 0
; COMPUTE_PGM_RSRC2:TIDIG_COMP_CNT: 2
	.section	.text._Z17sort_pairs_kernelI22helper_blocked_blockediLj64ELj1ELj10EEvPKT0_PS1_,"axG",@progbits,_Z17sort_pairs_kernelI22helper_blocked_blockediLj64ELj1ELj10EEvPKT0_PS1_,comdat
	.protected	_Z17sort_pairs_kernelI22helper_blocked_blockediLj64ELj1ELj10EEvPKT0_PS1_ ; -- Begin function _Z17sort_pairs_kernelI22helper_blocked_blockediLj64ELj1ELj10EEvPKT0_PS1_
	.globl	_Z17sort_pairs_kernelI22helper_blocked_blockediLj64ELj1ELj10EEvPKT0_PS1_
	.p2align	8
	.type	_Z17sort_pairs_kernelI22helper_blocked_blockediLj64ELj1ELj10EEvPKT0_PS1_,@function
_Z17sort_pairs_kernelI22helper_blocked_blockediLj64ELj1ELj10EEvPKT0_PS1_: ; @_Z17sort_pairs_kernelI22helper_blocked_blockediLj64ELj1ELj10EEvPKT0_PS1_
; %bb.0:
	s_clause 0x1
	s_load_b128 s[16:19], s[0:1], 0x0
	s_load_b32 s9, s[0:1], 0x1c
	s_mov_b32 s21, 0
	s_lshl_b32 s20, s15, 6
	v_mbcnt_lo_u32_b32 v3, -1, 0
	s_lshl_b64 s[14:15], s[20:21], 2
	s_mov_b32 s20, s21
	s_mov_b32 s13, 10
	s_delay_alu instid0(VALU_DEP_1) | instskip(SKIP_3) | instid1(VALU_DEP_4)
	v_dual_mov_b32 v11, s20 :: v_dual_add_nc_u32 v6, -1, v3
	v_and_b32_e32 v4, 15, v3
	v_dual_mov_b32 v12, s21 :: v_dual_and_b32 v5, 16, v3
	v_and_b32_e32 v7, 1, v3
	v_cmp_gt_i32_e64 s7, 0, v6
	s_delay_alu instid0(VALU_DEP_4)
	v_cmp_lt_u32_e64 s2, 3, v4
	v_cmp_lt_u32_e64 s3, 7, v4
	v_cmp_eq_u32_e64 s4, 0, v5
	v_cmp_eq_u32_e32 vcc_lo, 0, v3
	v_cndmask_b32_e64 v5, v6, v3, s7
	s_waitcnt lgkmcnt(0)
	s_add_u32 s0, s16, s14
	s_addc_u32 s1, s17, s15
	s_mov_b32 s16, s21
	s_mov_b32 s17, s21
	v_dual_mov_b32 v9, s16 :: v_dual_and_b32 v8, 0x3ff, v0
	v_mov_b32_e32 v10, s17
	s_lshr_b32 s8, s9, 16
	s_and_b32 s9, s9, 0xffff
	s_delay_alu instid0(VALU_DEP_2)
	v_lshlrev_b32_e32 v1, 2, v8
	v_lshrrev_b32_e32 v6, 3, v8
	v_lshlrev_b32_e32 v13, 5, v8
	v_mul_i32_i24_e32 v20, 0xffffffe4, v8
	v_cmp_gt_u32_e64 s5, 2, v8
	global_load_b32 v2, v1, s[0:1]
	v_bfe_u32 v1, v0, 10, 10
	v_bfe_u32 v0, v0, 20, 10
	v_cmp_eq_u32_e64 s0, 0, v4
	v_cmp_lt_u32_e64 s1, 1, v4
	v_and_b32_e32 v4, 32, v8
	v_cmp_lt_u32_e64 s6, 31, v8
	v_mad_u32_u24 v14, v0, s8, v1
	v_cmp_eq_u32_e64 s8, 0, v7
	v_cmp_eq_u32_e64 s7, 0, v8
	v_or_b32_e32 v7, 31, v4
	v_or_b32_e32 v15, 8, v13
	v_mad_u64_u32 v[0:1], null, v14, s9, v[8:9]
	v_and_b32_e32 v14, 4, v6
	v_or_b32_e32 v1, v3, v4
	v_lshlrev_b32_e32 v16, 2, v5
	v_cmp_eq_u32_e64 s9, v7, v8
	v_add_nc_u32_e32 v20, v13, v20
	v_add_nc_u32_e32 v17, -4, v14
	v_lshlrev_b32_e32 v18, 2, v1
	v_lshrrev_b32_e32 v19, 5, v0
	s_waitcnt vmcnt(0)
	v_add_nc_u32_e32 v21, 1, v2
	v_xor_b32_e32 v22, 0x80000000, v2
	s_branch .LBB1_2
.LBB1_1:                                ;   in Loop: Header=BB1_2 Depth=1
	s_or_b32 exec_lo, exec_lo, s10
	s_waitcnt lgkmcnt(0)
	v_add_nc_u32_e32 v3, v25, v3
	s_add_i32 s13, s13, -1
	s_delay_alu instid0(SALU_CYCLE_1) | instskip(SKIP_3) | instid1(VALU_DEP_1)
	s_cmp_lg_u32 s13, 0
	ds_bpermute_b32 v3, v16, v3
	s_waitcnt lgkmcnt(0)
	v_cndmask_b32_e32 v3, v3, v25, vcc_lo
	v_cndmask_b32_e64 v3, v3, 0, s7
	s_delay_alu instid0(VALU_DEP_1) | instskip(NEXT) | instid1(VALU_DEP_1)
	v_add_nc_u32_e32 v4, v3, v4
	v_add_nc_u32_e32 v5, v4, v5
	s_delay_alu instid0(VALU_DEP_1) | instskip(NEXT) | instid1(VALU_DEP_1)
	v_add_nc_u32_e32 v6, v5, v6
	v_add_nc_u32_e32 v25, v6, v7
	;; [unrolled: 3-line block ×3, first 2 shown]
	s_delay_alu instid0(VALU_DEP_1)
	v_add_nc_u32_e32 v1, v0, v2
	ds_store_2addr_b64 v13, v[3:4], v[5:6] offset0:1 offset1:2
	ds_store_2addr_b64 v15, v[25:26], v[0:1] offset0:2 offset1:3
	s_waitcnt lgkmcnt(0)
	s_barrier
	buffer_gl0_inv
	ds_load_b32 v0, v24
	v_lshlrev_b32_e32 v1, 2, v22
	s_waitcnt lgkmcnt(0)
	s_barrier
	buffer_gl0_inv
	v_lshl_add_u32 v0, v0, 2, v1
	ds_store_b32 v0, v21
	s_waitcnt lgkmcnt(0)
	s_barrier
	buffer_gl0_inv
	ds_load_b32 v22, v20
	s_waitcnt lgkmcnt(0)
	s_barrier
	buffer_gl0_inv
	ds_store_b32 v0, v23
	s_waitcnt lgkmcnt(0)
	s_barrier
	buffer_gl0_inv
	ds_load_b32 v21, v20
	s_cbranch_scc0 .LBB1_34
.LBB1_2:                                ; =>This Inner Loop Header: Depth=1
	s_delay_alu instid0(VALU_DEP_1)
	v_and_b32_e32 v0, 1, v22
	v_lshlrev_b32_e32 v1, 30, v22
	v_lshlrev_b32_e32 v2, 29, v22
	;; [unrolled: 1-line block ×4, first 2 shown]
	v_add_co_u32 v0, s10, v0, -1
	s_delay_alu instid0(VALU_DEP_1)
	v_cndmask_b32_e64 v3, 0, 1, s10
	v_not_b32_e32 v7, v1
	v_cmp_gt_i32_e64 s11, 0, v1
	v_not_b32_e32 v1, v2
	v_lshlrev_b32_e32 v6, 26, v22
	v_cmp_ne_u32_e64 s10, 0, v3
	v_ashrrev_i32_e32 v7, 31, v7
	v_lshlrev_b32_e32 v3, 25, v22
	v_ashrrev_i32_e32 v1, 31, v1
	v_cmp_gt_i32_e64 s12, 0, v5
	v_xor_b32_e32 v0, s10, v0
	v_cmp_gt_i32_e64 s10, 0, v2
	v_not_b32_e32 v2, v4
	v_xor_b32_e32 v7, s11, v7
	v_cmp_gt_i32_e64 s11, 0, v4
	v_and_b32_e32 v0, exec_lo, v0
	v_xor_b32_e32 v1, s10, v1
	v_ashrrev_i32_e32 v2, 31, v2
	v_not_b32_e32 v4, v5
	v_not_b32_e32 v5, v6
	v_and_b32_e32 v0, v0, v7
	v_cmp_gt_i32_e64 s10, 0, v6
	v_xor_b32_e32 v2, s11, v2
	v_not_b32_e32 v6, v3
	ds_store_2addr_b64 v13, v[11:12], v[9:10] offset0:1 offset1:2
	ds_store_2addr_b64 v15, v[11:12], v[9:10] offset0:2 offset1:3
	v_and_b32_e32 v0, v0, v1
	v_ashrrev_i32_e32 v1, 31, v4
	v_ashrrev_i32_e32 v4, 31, v5
	v_lshlrev_b32_e32 v5, 24, v22
	s_waitcnt lgkmcnt(0)
	v_and_b32_e32 v0, v0, v2
	v_xor_b32_e32 v1, s12, v1
	v_xor_b32_e32 v2, s10, v4
	v_cmp_gt_i32_e64 s10, 0, v3
	v_not_b32_e32 v3, v5
	v_ashrrev_i32_e32 v4, 31, v6
	v_and_b32_e32 v0, v0, v1
	v_cmp_gt_i32_e64 s11, 0, v5
	s_barrier
	v_ashrrev_i32_e32 v1, 31, v3
	v_xor_b32_e32 v3, s10, v4
	v_and_b32_e32 v0, v0, v2
	buffer_gl0_inv
	v_xor_b32_e32 v1, s11, v1
	; wave barrier
	v_and_b32_e32 v0, v0, v3
	s_delay_alu instid0(VALU_DEP_1) | instskip(SKIP_1) | instid1(VALU_DEP_2)
	v_and_b32_e32 v0, v0, v1
	v_and_b32_e32 v1, 0xff, v22
	v_mbcnt_lo_u32_b32 v23, v0, 0
	s_delay_alu instid0(VALU_DEP_2) | instskip(SKIP_1) | instid1(VALU_DEP_3)
	v_lshl_add_u32 v1, v1, 1, v19
	v_cmp_ne_u32_e64 s11, 0, v0
	v_cmp_eq_u32_e64 s10, 0, v23
	s_delay_alu instid0(VALU_DEP_3) | instskip(NEXT) | instid1(VALU_DEP_2)
	v_lshl_add_u32 v24, v1, 2, 8
	s_and_b32 s11, s11, s10
	s_delay_alu instid0(SALU_CYCLE_1)
	s_and_saveexec_b32 s10, s11
	s_cbranch_execz .LBB1_4
; %bb.3:                                ;   in Loop: Header=BB1_2 Depth=1
	v_bcnt_u32_b32 v0, v0, 0
	ds_store_b32 v24, v0
.LBB1_4:                                ;   in Loop: Header=BB1_2 Depth=1
	s_or_b32 exec_lo, exec_lo, s10
	; wave barrier
	s_waitcnt lgkmcnt(0)
	s_barrier
	buffer_gl0_inv
	ds_load_2addr_b64 v[4:7], v13 offset0:1 offset1:2
	ds_load_2addr_b64 v[0:3], v15 offset0:2 offset1:3
	s_waitcnt lgkmcnt(1)
	v_add_nc_u32_e32 v25, v5, v4
	s_delay_alu instid0(VALU_DEP_1) | instskip(SKIP_1) | instid1(VALU_DEP_1)
	v_add3_u32 v25, v25, v6, v7
	s_waitcnt lgkmcnt(0)
	v_add3_u32 v25, v25, v0, v1
	s_delay_alu instid0(VALU_DEP_1) | instskip(NEXT) | instid1(VALU_DEP_1)
	v_add3_u32 v3, v25, v2, v3
	v_mov_b32_dpp v25, v3 row_shr:1 row_mask:0xf bank_mask:0xf
	s_delay_alu instid0(VALU_DEP_1) | instskip(NEXT) | instid1(VALU_DEP_1)
	v_cndmask_b32_e64 v25, v25, 0, s0
	v_add_nc_u32_e32 v3, v25, v3
	s_delay_alu instid0(VALU_DEP_1) | instskip(NEXT) | instid1(VALU_DEP_1)
	v_mov_b32_dpp v25, v3 row_shr:2 row_mask:0xf bank_mask:0xf
	v_cndmask_b32_e64 v25, 0, v25, s1
	s_delay_alu instid0(VALU_DEP_1) | instskip(NEXT) | instid1(VALU_DEP_1)
	v_add_nc_u32_e32 v3, v3, v25
	v_mov_b32_dpp v25, v3 row_shr:4 row_mask:0xf bank_mask:0xf
	s_delay_alu instid0(VALU_DEP_1) | instskip(NEXT) | instid1(VALU_DEP_1)
	v_cndmask_b32_e64 v25, 0, v25, s2
	v_add_nc_u32_e32 v3, v3, v25
	s_delay_alu instid0(VALU_DEP_1) | instskip(NEXT) | instid1(VALU_DEP_1)
	v_mov_b32_dpp v25, v3 row_shr:8 row_mask:0xf bank_mask:0xf
	v_cndmask_b32_e64 v25, 0, v25, s3
	s_delay_alu instid0(VALU_DEP_1) | instskip(SKIP_3) | instid1(VALU_DEP_1)
	v_add_nc_u32_e32 v3, v3, v25
	ds_swizzle_b32 v25, v3 offset:swizzle(BROADCAST,32,15)
	s_waitcnt lgkmcnt(0)
	v_cndmask_b32_e64 v25, v25, 0, s4
	v_add_nc_u32_e32 v3, v3, v25
	s_and_saveexec_b32 s10, s9
	s_cbranch_execz .LBB1_6
; %bb.5:                                ;   in Loop: Header=BB1_2 Depth=1
	ds_store_b32 v14, v3
.LBB1_6:                                ;   in Loop: Header=BB1_2 Depth=1
	s_or_b32 exec_lo, exec_lo, s10
	s_waitcnt lgkmcnt(0)
	s_barrier
	buffer_gl0_inv
	s_and_saveexec_b32 s10, s5
	s_cbranch_execz .LBB1_8
; %bb.7:                                ;   in Loop: Header=BB1_2 Depth=1
	ds_load_b32 v25, v20
	s_waitcnt lgkmcnt(0)
	v_mov_b32_dpp v26, v25 row_shr:1 row_mask:0xf bank_mask:0xf
	s_delay_alu instid0(VALU_DEP_1) | instskip(NEXT) | instid1(VALU_DEP_1)
	v_cndmask_b32_e64 v26, v26, 0, s8
	v_add_nc_u32_e32 v25, v26, v25
	ds_store_b32 v20, v25
.LBB1_8:                                ;   in Loop: Header=BB1_2 Depth=1
	s_or_b32 exec_lo, exec_lo, s10
	v_mov_b32_e32 v25, 0
	s_waitcnt lgkmcnt(0)
	s_barrier
	buffer_gl0_inv
	s_and_saveexec_b32 s10, s6
	s_cbranch_execz .LBB1_10
; %bb.9:                                ;   in Loop: Header=BB1_2 Depth=1
	ds_load_b32 v25, v17
.LBB1_10:                               ;   in Loop: Header=BB1_2 Depth=1
	s_or_b32 exec_lo, exec_lo, s10
	s_waitcnt lgkmcnt(0)
	v_add_nc_u32_e32 v3, v25, v3
	ds_bpermute_b32 v3, v16, v3
	s_waitcnt lgkmcnt(0)
	v_cndmask_b32_e32 v3, v3, v25, vcc_lo
	s_delay_alu instid0(VALU_DEP_1) | instskip(NEXT) | instid1(VALU_DEP_1)
	v_cndmask_b32_e64 v3, v3, 0, s7
	v_add_nc_u32_e32 v4, v3, v4
	s_delay_alu instid0(VALU_DEP_1) | instskip(NEXT) | instid1(VALU_DEP_1)
	v_add_nc_u32_e32 v5, v4, v5
	v_add_nc_u32_e32 v6, v5, v6
	s_delay_alu instid0(VALU_DEP_1) | instskip(NEXT) | instid1(VALU_DEP_1)
	v_add_nc_u32_e32 v25, v6, v7
	;; [unrolled: 3-line block ×3, first 2 shown]
	v_add_nc_u32_e32 v1, v0, v2
	ds_store_2addr_b64 v13, v[3:4], v[5:6] offset0:1 offset1:2
	ds_store_2addr_b64 v15, v[25:26], v[0:1] offset0:2 offset1:3
	s_waitcnt lgkmcnt(0)
	s_barrier
	buffer_gl0_inv
	ds_load_b32 v0, v24
	v_lshlrev_b32_e32 v1, 2, v23
	s_waitcnt lgkmcnt(0)
	s_barrier
	buffer_gl0_inv
	v_lshl_add_u32 v0, v0, 2, v1
	ds_store_b32 v0, v22
	s_waitcnt lgkmcnt(0)
	s_barrier
	buffer_gl0_inv
	ds_load_b32 v22, v18
	s_waitcnt lgkmcnt(0)
	s_barrier
	buffer_gl0_inv
	ds_store_b32 v0, v21
	s_waitcnt lgkmcnt(0)
	s_barrier
	buffer_gl0_inv
	v_bfe_u32 v1, v22, 8, 1
	v_lshrrev_b32_e32 v2, 8, v22
	s_delay_alu instid0(VALU_DEP_2) | instskip(NEXT) | instid1(VALU_DEP_1)
	v_add_co_u32 v1, s10, v1, -1
	v_cndmask_b32_e64 v3, 0, 1, s10
	s_delay_alu instid0(VALU_DEP_3)
	v_lshlrev_b32_e32 v4, 30, v2
	v_lshlrev_b32_e32 v5, 29, v2
	;; [unrolled: 1-line block ×4, first 2 shown]
	v_cmp_ne_u32_e64 s10, 0, v3
	v_not_b32_e32 v3, v4
	v_cmp_gt_i32_e64 s11, 0, v4
	v_not_b32_e32 v4, v5
	v_lshlrev_b32_e32 v23, 26, v2
	v_xor_b32_e32 v1, s10, v1
	v_ashrrev_i32_e32 v3, 31, v3
	v_cmp_gt_i32_e64 s10, 0, v5
	v_not_b32_e32 v5, v6
	v_ashrrev_i32_e32 v4, 31, v4
	v_and_b32_e32 v1, exec_lo, v1
	v_xor_b32_e32 v3, s11, v3
	v_cmp_gt_i32_e64 s11, 0, v6
	v_not_b32_e32 v6, v7
	v_ashrrev_i32_e32 v5, 31, v5
	v_xor_b32_e32 v4, s10, v4
	v_and_b32_e32 v1, v1, v3
	v_lshlrev_b32_e32 v24, 25, v2
	v_cmp_gt_i32_e64 s10, 0, v7
	v_not_b32_e32 v3, v23
	v_ashrrev_i32_e32 v6, 31, v6
	v_xor_b32_e32 v5, s11, v5
	v_and_b32_e32 v1, v1, v4
	v_lshlrev_b32_e32 v2, 24, v2
	v_cmp_gt_i32_e64 s11, 0, v23
	v_not_b32_e32 v4, v24
	v_ashrrev_i32_e32 v3, 31, v3
	v_xor_b32_e32 v6, s10, v6
	v_and_b32_e32 v1, v1, v5
	v_cmp_gt_i32_e64 s10, 0, v24
	v_not_b32_e32 v5, v2
	v_ashrrev_i32_e32 v4, 31, v4
	v_xor_b32_e32 v3, s11, v3
	v_and_b32_e32 v1, v1, v6
	v_cmp_gt_i32_e64 s11, 0, v2
	v_ashrrev_i32_e32 v2, 31, v5
	v_xor_b32_e32 v4, s10, v4
	ds_load_b32 v23, v18
	v_and_b32_e32 v1, v1, v3
	s_waitcnt lgkmcnt(0)
	v_xor_b32_e32 v0, s11, v2
	v_lshrrev_b32_e32 v2, 7, v22
	s_barrier
	v_and_b32_e32 v1, v1, v4
	buffer_gl0_inv
	ds_store_2addr_b64 v13, v[11:12], v[9:10] offset0:1 offset1:2
	ds_store_2addr_b64 v15, v[11:12], v[9:10] offset0:2 offset1:3
	s_waitcnt lgkmcnt(0)
	s_barrier
	v_and_b32_e32 v0, v1, v0
	v_and_b32_e32 v1, 0x1fe, v2
	buffer_gl0_inv
	; wave barrier
	v_mbcnt_lo_u32_b32 v21, v0, 0
	v_add_nc_u32_e32 v1, v1, v19
	v_cmp_ne_u32_e64 s11, 0, v0
	s_delay_alu instid0(VALU_DEP_3) | instskip(NEXT) | instid1(VALU_DEP_3)
	v_cmp_eq_u32_e64 s10, 0, v21
	v_lshl_add_u32 v24, v1, 2, 8
	s_delay_alu instid0(VALU_DEP_2) | instskip(NEXT) | instid1(SALU_CYCLE_1)
	s_and_b32 s11, s11, s10
	s_and_saveexec_b32 s10, s11
	s_cbranch_execz .LBB1_12
; %bb.11:                               ;   in Loop: Header=BB1_2 Depth=1
	v_bcnt_u32_b32 v0, v0, 0
	ds_store_b32 v24, v0
.LBB1_12:                               ;   in Loop: Header=BB1_2 Depth=1
	s_or_b32 exec_lo, exec_lo, s10
	; wave barrier
	s_waitcnt lgkmcnt(0)
	s_barrier
	buffer_gl0_inv
	ds_load_2addr_b64 v[4:7], v13 offset0:1 offset1:2
	ds_load_2addr_b64 v[0:3], v15 offset0:2 offset1:3
	s_waitcnt lgkmcnt(1)
	v_add_nc_u32_e32 v25, v5, v4
	s_delay_alu instid0(VALU_DEP_1) | instskip(SKIP_1) | instid1(VALU_DEP_1)
	v_add3_u32 v25, v25, v6, v7
	s_waitcnt lgkmcnt(0)
	v_add3_u32 v25, v25, v0, v1
	s_delay_alu instid0(VALU_DEP_1) | instskip(NEXT) | instid1(VALU_DEP_1)
	v_add3_u32 v3, v25, v2, v3
	v_mov_b32_dpp v25, v3 row_shr:1 row_mask:0xf bank_mask:0xf
	s_delay_alu instid0(VALU_DEP_1) | instskip(NEXT) | instid1(VALU_DEP_1)
	v_cndmask_b32_e64 v25, v25, 0, s0
	v_add_nc_u32_e32 v3, v25, v3
	s_delay_alu instid0(VALU_DEP_1) | instskip(NEXT) | instid1(VALU_DEP_1)
	v_mov_b32_dpp v25, v3 row_shr:2 row_mask:0xf bank_mask:0xf
	v_cndmask_b32_e64 v25, 0, v25, s1
	s_delay_alu instid0(VALU_DEP_1) | instskip(NEXT) | instid1(VALU_DEP_1)
	v_add_nc_u32_e32 v3, v3, v25
	v_mov_b32_dpp v25, v3 row_shr:4 row_mask:0xf bank_mask:0xf
	s_delay_alu instid0(VALU_DEP_1) | instskip(NEXT) | instid1(VALU_DEP_1)
	v_cndmask_b32_e64 v25, 0, v25, s2
	v_add_nc_u32_e32 v3, v3, v25
	s_delay_alu instid0(VALU_DEP_1) | instskip(NEXT) | instid1(VALU_DEP_1)
	v_mov_b32_dpp v25, v3 row_shr:8 row_mask:0xf bank_mask:0xf
	v_cndmask_b32_e64 v25, 0, v25, s3
	s_delay_alu instid0(VALU_DEP_1) | instskip(SKIP_3) | instid1(VALU_DEP_1)
	v_add_nc_u32_e32 v3, v3, v25
	ds_swizzle_b32 v25, v3 offset:swizzle(BROADCAST,32,15)
	s_waitcnt lgkmcnt(0)
	v_cndmask_b32_e64 v25, v25, 0, s4
	v_add_nc_u32_e32 v3, v3, v25
	s_and_saveexec_b32 s10, s9
	s_cbranch_execz .LBB1_14
; %bb.13:                               ;   in Loop: Header=BB1_2 Depth=1
	ds_store_b32 v14, v3
.LBB1_14:                               ;   in Loop: Header=BB1_2 Depth=1
	s_or_b32 exec_lo, exec_lo, s10
	s_waitcnt lgkmcnt(0)
	s_barrier
	buffer_gl0_inv
	s_and_saveexec_b32 s10, s5
	s_cbranch_execz .LBB1_16
; %bb.15:                               ;   in Loop: Header=BB1_2 Depth=1
	ds_load_b32 v25, v20
	s_waitcnt lgkmcnt(0)
	v_mov_b32_dpp v26, v25 row_shr:1 row_mask:0xf bank_mask:0xf
	s_delay_alu instid0(VALU_DEP_1) | instskip(NEXT) | instid1(VALU_DEP_1)
	v_cndmask_b32_e64 v26, v26, 0, s8
	v_add_nc_u32_e32 v25, v26, v25
	ds_store_b32 v20, v25
.LBB1_16:                               ;   in Loop: Header=BB1_2 Depth=1
	s_or_b32 exec_lo, exec_lo, s10
	v_mov_b32_e32 v25, 0
	s_waitcnt lgkmcnt(0)
	s_barrier
	buffer_gl0_inv
	s_and_saveexec_b32 s10, s6
	s_cbranch_execz .LBB1_18
; %bb.17:                               ;   in Loop: Header=BB1_2 Depth=1
	ds_load_b32 v25, v17
.LBB1_18:                               ;   in Loop: Header=BB1_2 Depth=1
	s_or_b32 exec_lo, exec_lo, s10
	s_waitcnt lgkmcnt(0)
	v_add_nc_u32_e32 v3, v25, v3
	ds_bpermute_b32 v3, v16, v3
	s_waitcnt lgkmcnt(0)
	v_cndmask_b32_e32 v3, v3, v25, vcc_lo
	s_delay_alu instid0(VALU_DEP_1) | instskip(NEXT) | instid1(VALU_DEP_1)
	v_cndmask_b32_e64 v3, v3, 0, s7
	v_add_nc_u32_e32 v4, v3, v4
	s_delay_alu instid0(VALU_DEP_1) | instskip(NEXT) | instid1(VALU_DEP_1)
	v_add_nc_u32_e32 v5, v4, v5
	v_add_nc_u32_e32 v6, v5, v6
	s_delay_alu instid0(VALU_DEP_1) | instskip(NEXT) | instid1(VALU_DEP_1)
	v_add_nc_u32_e32 v25, v6, v7
	;; [unrolled: 3-line block ×3, first 2 shown]
	v_add_nc_u32_e32 v1, v0, v2
	ds_store_2addr_b64 v13, v[3:4], v[5:6] offset0:1 offset1:2
	ds_store_2addr_b64 v15, v[25:26], v[0:1] offset0:2 offset1:3
	s_waitcnt lgkmcnt(0)
	s_barrier
	buffer_gl0_inv
	ds_load_b32 v0, v24
	v_lshlrev_b32_e32 v1, 2, v21
	s_waitcnt lgkmcnt(0)
	s_barrier
	buffer_gl0_inv
	v_lshl_add_u32 v0, v0, 2, v1
	v_dual_mov_b32 v1, s20 :: v_dual_mov_b32 v2, s21
	ds_store_b32 v0, v22
	s_waitcnt lgkmcnt(0)
	s_barrier
	buffer_gl0_inv
	ds_load_b32 v21, v18
	s_waitcnt lgkmcnt(0)
	s_barrier
	buffer_gl0_inv
	ds_store_b32 v0, v23
	s_waitcnt lgkmcnt(0)
	s_barrier
	buffer_gl0_inv
	v_bfe_u32 v3, v21, 16, 1
	v_lshrrev_b32_e32 v4, 16, v21
	s_delay_alu instid0(VALU_DEP_2) | instskip(NEXT) | instid1(VALU_DEP_1)
	v_add_co_u32 v3, s10, v3, -1
	v_cndmask_b32_e64 v5, 0, 1, s10
	s_delay_alu instid0(VALU_DEP_3)
	v_lshlrev_b32_e32 v6, 30, v4
	v_lshlrev_b32_e32 v7, 29, v4
	;; [unrolled: 1-line block ×4, first 2 shown]
	v_cmp_ne_u32_e64 s10, 0, v5
	v_not_b32_e32 v5, v6
	v_cmp_gt_i32_e64 s11, 0, v6
	v_not_b32_e32 v6, v7
	v_lshlrev_b32_e32 v25, 26, v4
	v_xor_b32_e32 v3, s10, v3
	v_ashrrev_i32_e32 v5, 31, v5
	v_cmp_gt_i32_e64 s10, 0, v7
	v_not_b32_e32 v7, v22
	v_ashrrev_i32_e32 v6, 31, v6
	v_and_b32_e32 v3, exec_lo, v3
	v_xor_b32_e32 v5, s11, v5
	v_cmp_gt_i32_e64 s11, 0, v22
	v_not_b32_e32 v22, v24
	v_ashrrev_i32_e32 v7, 31, v7
	v_xor_b32_e32 v6, s10, v6
	v_and_b32_e32 v3, v3, v5
	v_lshlrev_b32_e32 v26, 25, v4
	v_cmp_gt_i32_e64 s10, 0, v24
	v_not_b32_e32 v5, v25
	v_ashrrev_i32_e32 v22, 31, v22
	v_xor_b32_e32 v7, s11, v7
	v_and_b32_e32 v3, v3, v6
	v_lshlrev_b32_e32 v4, 24, v4
	v_cmp_gt_i32_e64 s11, 0, v25
	v_not_b32_e32 v6, v26
	v_ashrrev_i32_e32 v5, 31, v5
	v_xor_b32_e32 v22, s10, v22
	v_and_b32_e32 v3, v3, v7
	v_cmp_gt_i32_e64 s10, 0, v26
	v_not_b32_e32 v7, v4
	v_ashrrev_i32_e32 v6, 31, v6
	v_xor_b32_e32 v5, s11, v5
	v_and_b32_e32 v3, v3, v22
	v_cmp_gt_i32_e64 s11, 0, v4
	v_ashrrev_i32_e32 v4, 31, v7
	v_xor_b32_e32 v6, s10, v6
	ds_load_b32 v22, v18
	v_and_b32_e32 v3, v3, v5
	s_waitcnt lgkmcnt(0)
	v_xor_b32_e32 v0, s11, v4
	s_barrier
	buffer_gl0_inv
	v_and_b32_e32 v5, v3, v6
	v_mov_b32_e32 v3, s16
	v_lshrrev_b32_e32 v6, 15, v21
	v_mov_b32_e32 v4, s17
	ds_store_2addr_b64 v13, v[1:2], v[3:4] offset0:1 offset1:2
	ds_store_2addr_b64 v15, v[1:2], v[3:4] offset0:2 offset1:3
	v_and_b32_e32 v0, v5, v0
	v_and_b32_e32 v5, 0x1fe, v6
	s_waitcnt lgkmcnt(0)
	s_barrier
	buffer_gl0_inv
	v_mbcnt_lo_u32_b32 v23, v0, 0
	v_add_nc_u32_e32 v1, v5, v19
	v_cmp_ne_u32_e64 s11, 0, v0
	; wave barrier
	s_delay_alu instid0(VALU_DEP_3) | instskip(NEXT) | instid1(VALU_DEP_3)
	v_cmp_eq_u32_e64 s10, 0, v23
	v_lshl_add_u32 v24, v1, 2, 8
	s_delay_alu instid0(VALU_DEP_2) | instskip(NEXT) | instid1(SALU_CYCLE_1)
	s_and_b32 s11, s11, s10
	s_and_saveexec_b32 s10, s11
	s_cbranch_execz .LBB1_20
; %bb.19:                               ;   in Loop: Header=BB1_2 Depth=1
	v_bcnt_u32_b32 v0, v0, 0
	ds_store_b32 v24, v0
.LBB1_20:                               ;   in Loop: Header=BB1_2 Depth=1
	s_or_b32 exec_lo, exec_lo, s10
	; wave barrier
	s_waitcnt lgkmcnt(0)
	s_barrier
	buffer_gl0_inv
	ds_load_2addr_b64 v[4:7], v13 offset0:1 offset1:2
	ds_load_2addr_b64 v[0:3], v15 offset0:2 offset1:3
	s_waitcnt lgkmcnt(1)
	v_add_nc_u32_e32 v25, v5, v4
	s_delay_alu instid0(VALU_DEP_1) | instskip(SKIP_1) | instid1(VALU_DEP_1)
	v_add3_u32 v25, v25, v6, v7
	s_waitcnt lgkmcnt(0)
	v_add3_u32 v25, v25, v0, v1
	s_delay_alu instid0(VALU_DEP_1) | instskip(NEXT) | instid1(VALU_DEP_1)
	v_add3_u32 v3, v25, v2, v3
	v_mov_b32_dpp v25, v3 row_shr:1 row_mask:0xf bank_mask:0xf
	s_delay_alu instid0(VALU_DEP_1) | instskip(NEXT) | instid1(VALU_DEP_1)
	v_cndmask_b32_e64 v25, v25, 0, s0
	v_add_nc_u32_e32 v3, v25, v3
	s_delay_alu instid0(VALU_DEP_1) | instskip(NEXT) | instid1(VALU_DEP_1)
	v_mov_b32_dpp v25, v3 row_shr:2 row_mask:0xf bank_mask:0xf
	v_cndmask_b32_e64 v25, 0, v25, s1
	s_delay_alu instid0(VALU_DEP_1) | instskip(NEXT) | instid1(VALU_DEP_1)
	v_add_nc_u32_e32 v3, v3, v25
	v_mov_b32_dpp v25, v3 row_shr:4 row_mask:0xf bank_mask:0xf
	s_delay_alu instid0(VALU_DEP_1) | instskip(NEXT) | instid1(VALU_DEP_1)
	v_cndmask_b32_e64 v25, 0, v25, s2
	v_add_nc_u32_e32 v3, v3, v25
	s_delay_alu instid0(VALU_DEP_1) | instskip(NEXT) | instid1(VALU_DEP_1)
	v_mov_b32_dpp v25, v3 row_shr:8 row_mask:0xf bank_mask:0xf
	v_cndmask_b32_e64 v25, 0, v25, s3
	s_delay_alu instid0(VALU_DEP_1) | instskip(SKIP_3) | instid1(VALU_DEP_1)
	v_add_nc_u32_e32 v3, v3, v25
	ds_swizzle_b32 v25, v3 offset:swizzle(BROADCAST,32,15)
	s_waitcnt lgkmcnt(0)
	v_cndmask_b32_e64 v25, v25, 0, s4
	v_add_nc_u32_e32 v3, v3, v25
	s_and_saveexec_b32 s10, s9
	s_cbranch_execz .LBB1_22
; %bb.21:                               ;   in Loop: Header=BB1_2 Depth=1
	ds_store_b32 v14, v3
.LBB1_22:                               ;   in Loop: Header=BB1_2 Depth=1
	s_or_b32 exec_lo, exec_lo, s10
	s_waitcnt lgkmcnt(0)
	s_barrier
	buffer_gl0_inv
	s_and_saveexec_b32 s10, s5
	s_cbranch_execz .LBB1_24
; %bb.23:                               ;   in Loop: Header=BB1_2 Depth=1
	ds_load_b32 v25, v20
	s_waitcnt lgkmcnt(0)
	v_mov_b32_dpp v26, v25 row_shr:1 row_mask:0xf bank_mask:0xf
	s_delay_alu instid0(VALU_DEP_1) | instskip(NEXT) | instid1(VALU_DEP_1)
	v_cndmask_b32_e64 v26, v26, 0, s8
	v_add_nc_u32_e32 v25, v26, v25
	ds_store_b32 v20, v25
.LBB1_24:                               ;   in Loop: Header=BB1_2 Depth=1
	s_or_b32 exec_lo, exec_lo, s10
	v_mov_b32_e32 v25, 0
	s_waitcnt lgkmcnt(0)
	s_barrier
	buffer_gl0_inv
	s_and_saveexec_b32 s10, s6
	s_cbranch_execz .LBB1_26
; %bb.25:                               ;   in Loop: Header=BB1_2 Depth=1
	ds_load_b32 v25, v17
.LBB1_26:                               ;   in Loop: Header=BB1_2 Depth=1
	s_or_b32 exec_lo, exec_lo, s10
	s_waitcnt lgkmcnt(0)
	v_add_nc_u32_e32 v3, v25, v3
	ds_bpermute_b32 v3, v16, v3
	s_waitcnt lgkmcnt(0)
	v_cndmask_b32_e32 v3, v3, v25, vcc_lo
	s_delay_alu instid0(VALU_DEP_1) | instskip(NEXT) | instid1(VALU_DEP_1)
	v_cndmask_b32_e64 v3, v3, 0, s7
	v_add_nc_u32_e32 v4, v3, v4
	s_delay_alu instid0(VALU_DEP_1) | instskip(NEXT) | instid1(VALU_DEP_1)
	v_add_nc_u32_e32 v5, v4, v5
	v_add_nc_u32_e32 v6, v5, v6
	s_delay_alu instid0(VALU_DEP_1) | instskip(NEXT) | instid1(VALU_DEP_1)
	v_add_nc_u32_e32 v25, v6, v7
	;; [unrolled: 3-line block ×3, first 2 shown]
	v_add_nc_u32_e32 v1, v0, v2
	ds_store_2addr_b64 v13, v[3:4], v[5:6] offset0:1 offset1:2
	ds_store_2addr_b64 v15, v[25:26], v[0:1] offset0:2 offset1:3
	s_waitcnt lgkmcnt(0)
	s_barrier
	buffer_gl0_inv
	ds_load_b32 v0, v24
	v_lshlrev_b32_e32 v1, 2, v23
	s_waitcnt lgkmcnt(0)
	s_barrier
	buffer_gl0_inv
	v_lshl_add_u32 v0, v0, 2, v1
	ds_store_b32 v0, v21
	s_waitcnt lgkmcnt(0)
	s_barrier
	buffer_gl0_inv
	ds_load_b32 v21, v18
	s_waitcnt lgkmcnt(0)
	s_barrier
	buffer_gl0_inv
	ds_store_b32 v0, v22
	s_waitcnt lgkmcnt(0)
	s_barrier
	buffer_gl0_inv
	v_bfe_u32 v1, v21, 24, 1
	v_lshrrev_b32_e32 v5, 24, v21
	s_delay_alu instid0(VALU_DEP_2) | instskip(NEXT) | instid1(VALU_DEP_1)
	v_add_co_u32 v1, s10, v1, -1
	v_cndmask_b32_e64 v2, 0, 1, s10
	s_delay_alu instid0(VALU_DEP_3)
	v_lshlrev_b32_e32 v3, 30, v5
	v_lshlrev_b32_e32 v4, 29, v5
	;; [unrolled: 1-line block ×4, first 2 shown]
	v_cmp_ne_u32_e64 s10, 0, v2
	v_not_b32_e32 v2, v3
	v_cmp_gt_i32_e64 s11, 0, v3
	v_not_b32_e32 v3, v4
	v_lshlrev_b32_e32 v23, 26, v5
	v_xor_b32_e32 v1, s10, v1
	v_ashrrev_i32_e32 v2, 31, v2
	v_cmp_gt_i32_e64 s10, 0, v4
	v_not_b32_e32 v4, v6
	v_ashrrev_i32_e32 v3, 31, v3
	v_and_b32_e32 v1, exec_lo, v1
	v_xor_b32_e32 v2, s11, v2
	v_cmp_gt_i32_e64 s11, 0, v6
	v_not_b32_e32 v6, v7
	v_ashrrev_i32_e32 v4, 31, v4
	v_xor_b32_e32 v3, s10, v3
	v_and_b32_e32 v1, v1, v2
	v_lshlrev_b32_e32 v24, 25, v5
	v_cmp_gt_i32_e64 s10, 0, v7
	v_not_b32_e32 v2, v23
	v_ashrrev_i32_e32 v6, 31, v6
	v_xor_b32_e32 v4, s11, v4
	v_and_b32_e32 v1, v1, v3
	v_cmp_gt_i32_e64 s11, 0, v23
	v_not_b32_e32 v3, v24
	v_ashrrev_i32_e32 v2, 31, v2
	v_xor_b32_e32 v6, s10, v6
	v_and_b32_e32 v1, v1, v4
	v_not_b32_e32 v4, v21
	v_cmp_gt_i32_e64 s10, 0, v24
	v_ashrrev_i32_e32 v3, 31, v3
	v_xor_b32_e32 v2, s11, v2
	v_and_b32_e32 v1, v1, v6
	v_cmp_gt_i32_e64 s11, 0, v21
	v_ashrrev_i32_e32 v4, 31, v4
	v_xor_b32_e32 v3, s10, v3
	ds_load_b32 v23, v18
	v_and_b32_e32 v1, v1, v2
	s_waitcnt lgkmcnt(0)
	v_xor_b32_e32 v0, s11, v4
	s_barrier
	buffer_gl0_inv
	v_and_b32_e32 v3, v1, v3
	v_dual_mov_b32 v1, s20 :: v_dual_mov_b32 v2, s21
	s_delay_alu instid0(VALU_DEP_2)
	v_dual_mov_b32 v3, s16 :: v_dual_and_b32 v0, v3, v0
	v_mov_b32_e32 v4, s17
	ds_store_2addr_b64 v13, v[1:2], v[3:4] offset0:1 offset1:2
	ds_store_2addr_b64 v15, v[1:2], v[3:4] offset0:2 offset1:3
	v_mbcnt_lo_u32_b32 v22, v0, 0
	v_lshl_add_u32 v1, v5, 1, v19
	v_cmp_ne_u32_e64 s11, 0, v0
	s_waitcnt lgkmcnt(0)
	s_barrier
	v_cmp_eq_u32_e64 s10, 0, v22
	v_lshl_add_u32 v24, v1, 2, 8
	buffer_gl0_inv
	; wave barrier
	s_and_b32 s11, s11, s10
	s_delay_alu instid0(SALU_CYCLE_1)
	s_and_saveexec_b32 s10, s11
	s_cbranch_execz .LBB1_28
; %bb.27:                               ;   in Loop: Header=BB1_2 Depth=1
	v_bcnt_u32_b32 v0, v0, 0
	ds_store_b32 v24, v0
.LBB1_28:                               ;   in Loop: Header=BB1_2 Depth=1
	s_or_b32 exec_lo, exec_lo, s10
	; wave barrier
	s_waitcnt lgkmcnt(0)
	s_barrier
	buffer_gl0_inv
	ds_load_2addr_b64 v[4:7], v13 offset0:1 offset1:2
	ds_load_2addr_b64 v[0:3], v15 offset0:2 offset1:3
	s_waitcnt lgkmcnt(1)
	v_add_nc_u32_e32 v25, v5, v4
	s_delay_alu instid0(VALU_DEP_1) | instskip(SKIP_1) | instid1(VALU_DEP_1)
	v_add3_u32 v25, v25, v6, v7
	s_waitcnt lgkmcnt(0)
	v_add3_u32 v25, v25, v0, v1
	s_delay_alu instid0(VALU_DEP_1) | instskip(NEXT) | instid1(VALU_DEP_1)
	v_add3_u32 v3, v25, v2, v3
	v_mov_b32_dpp v25, v3 row_shr:1 row_mask:0xf bank_mask:0xf
	s_delay_alu instid0(VALU_DEP_1) | instskip(NEXT) | instid1(VALU_DEP_1)
	v_cndmask_b32_e64 v25, v25, 0, s0
	v_add_nc_u32_e32 v3, v25, v3
	s_delay_alu instid0(VALU_DEP_1) | instskip(NEXT) | instid1(VALU_DEP_1)
	v_mov_b32_dpp v25, v3 row_shr:2 row_mask:0xf bank_mask:0xf
	v_cndmask_b32_e64 v25, 0, v25, s1
	s_delay_alu instid0(VALU_DEP_1) | instskip(NEXT) | instid1(VALU_DEP_1)
	v_add_nc_u32_e32 v3, v3, v25
	v_mov_b32_dpp v25, v3 row_shr:4 row_mask:0xf bank_mask:0xf
	s_delay_alu instid0(VALU_DEP_1) | instskip(NEXT) | instid1(VALU_DEP_1)
	v_cndmask_b32_e64 v25, 0, v25, s2
	v_add_nc_u32_e32 v3, v3, v25
	s_delay_alu instid0(VALU_DEP_1) | instskip(NEXT) | instid1(VALU_DEP_1)
	v_mov_b32_dpp v25, v3 row_shr:8 row_mask:0xf bank_mask:0xf
	v_cndmask_b32_e64 v25, 0, v25, s3
	s_delay_alu instid0(VALU_DEP_1) | instskip(SKIP_3) | instid1(VALU_DEP_1)
	v_add_nc_u32_e32 v3, v3, v25
	ds_swizzle_b32 v25, v3 offset:swizzle(BROADCAST,32,15)
	s_waitcnt lgkmcnt(0)
	v_cndmask_b32_e64 v25, v25, 0, s4
	v_add_nc_u32_e32 v3, v3, v25
	s_and_saveexec_b32 s10, s9
	s_cbranch_execz .LBB1_30
; %bb.29:                               ;   in Loop: Header=BB1_2 Depth=1
	ds_store_b32 v14, v3
.LBB1_30:                               ;   in Loop: Header=BB1_2 Depth=1
	s_or_b32 exec_lo, exec_lo, s10
	s_waitcnt lgkmcnt(0)
	s_barrier
	buffer_gl0_inv
	s_and_saveexec_b32 s10, s5
	s_cbranch_execz .LBB1_32
; %bb.31:                               ;   in Loop: Header=BB1_2 Depth=1
	ds_load_b32 v25, v20
	s_waitcnt lgkmcnt(0)
	v_mov_b32_dpp v26, v25 row_shr:1 row_mask:0xf bank_mask:0xf
	s_delay_alu instid0(VALU_DEP_1) | instskip(NEXT) | instid1(VALU_DEP_1)
	v_cndmask_b32_e64 v26, v26, 0, s8
	v_add_nc_u32_e32 v25, v26, v25
	ds_store_b32 v20, v25
.LBB1_32:                               ;   in Loop: Header=BB1_2 Depth=1
	s_or_b32 exec_lo, exec_lo, s10
	v_mov_b32_e32 v25, 0
	s_waitcnt lgkmcnt(0)
	s_barrier
	buffer_gl0_inv
	s_and_saveexec_b32 s10, s6
	s_cbranch_execz .LBB1_1
; %bb.33:                               ;   in Loop: Header=BB1_2 Depth=1
	ds_load_b32 v25, v17
	s_branch .LBB1_1
.LBB1_34:
	s_waitcnt lgkmcnt(0)
	v_add3_u32 v0, v21, v22, 0x80000000
	v_lshlrev_b32_e32 v1, 2, v8
	s_add_u32 s0, s18, s14
	s_addc_u32 s1, s19, s15
	global_store_b32 v1, v0, s[0:1]
	s_nop 0
	s_sendmsg sendmsg(MSG_DEALLOC_VGPRS)
	s_endpgm
	.section	.rodata,"a",@progbits
	.p2align	6, 0x0
	.amdhsa_kernel _Z17sort_pairs_kernelI22helper_blocked_blockediLj64ELj1ELj10EEvPKT0_PS1_
		.amdhsa_group_segment_fixed_size 2064
		.amdhsa_private_segment_fixed_size 0
		.amdhsa_kernarg_size 272
		.amdhsa_user_sgpr_count 15
		.amdhsa_user_sgpr_dispatch_ptr 0
		.amdhsa_user_sgpr_queue_ptr 0
		.amdhsa_user_sgpr_kernarg_segment_ptr 1
		.amdhsa_user_sgpr_dispatch_id 0
		.amdhsa_user_sgpr_private_segment_size 0
		.amdhsa_wavefront_size32 1
		.amdhsa_uses_dynamic_stack 0
		.amdhsa_enable_private_segment 0
		.amdhsa_system_sgpr_workgroup_id_x 1
		.amdhsa_system_sgpr_workgroup_id_y 0
		.amdhsa_system_sgpr_workgroup_id_z 0
		.amdhsa_system_sgpr_workgroup_info 0
		.amdhsa_system_vgpr_workitem_id 2
		.amdhsa_next_free_vgpr 27
		.amdhsa_next_free_sgpr 22
		.amdhsa_reserve_vcc 1
		.amdhsa_float_round_mode_32 0
		.amdhsa_float_round_mode_16_64 0
		.amdhsa_float_denorm_mode_32 3
		.amdhsa_float_denorm_mode_16_64 3
		.amdhsa_dx10_clamp 1
		.amdhsa_ieee_mode 1
		.amdhsa_fp16_overflow 0
		.amdhsa_workgroup_processor_mode 1
		.amdhsa_memory_ordered 1
		.amdhsa_forward_progress 0
		.amdhsa_shared_vgpr_count 0
		.amdhsa_exception_fp_ieee_invalid_op 0
		.amdhsa_exception_fp_denorm_src 0
		.amdhsa_exception_fp_ieee_div_zero 0
		.amdhsa_exception_fp_ieee_overflow 0
		.amdhsa_exception_fp_ieee_underflow 0
		.amdhsa_exception_fp_ieee_inexact 0
		.amdhsa_exception_int_div_zero 0
	.end_amdhsa_kernel
	.section	.text._Z17sort_pairs_kernelI22helper_blocked_blockediLj64ELj1ELj10EEvPKT0_PS1_,"axG",@progbits,_Z17sort_pairs_kernelI22helper_blocked_blockediLj64ELj1ELj10EEvPKT0_PS1_,comdat
.Lfunc_end1:
	.size	_Z17sort_pairs_kernelI22helper_blocked_blockediLj64ELj1ELj10EEvPKT0_PS1_, .Lfunc_end1-_Z17sort_pairs_kernelI22helper_blocked_blockediLj64ELj1ELj10EEvPKT0_PS1_
                                        ; -- End function
	.section	.AMDGPU.csdata,"",@progbits
; Kernel info:
; codeLenInByte = 4200
; NumSgprs: 24
; NumVgprs: 27
; ScratchSize: 0
; MemoryBound: 0
; FloatMode: 240
; IeeeMode: 1
; LDSByteSize: 2064 bytes/workgroup (compile time only)
; SGPRBlocks: 2
; VGPRBlocks: 3
; NumSGPRsForWavesPerEU: 24
; NumVGPRsForWavesPerEU: 27
; Occupancy: 16
; WaveLimiterHint : 0
; COMPUTE_PGM_RSRC2:SCRATCH_EN: 0
; COMPUTE_PGM_RSRC2:USER_SGPR: 15
; COMPUTE_PGM_RSRC2:TRAP_HANDLER: 0
; COMPUTE_PGM_RSRC2:TGID_X_EN: 1
; COMPUTE_PGM_RSRC2:TGID_Y_EN: 0
; COMPUTE_PGM_RSRC2:TGID_Z_EN: 0
; COMPUTE_PGM_RSRC2:TIDIG_COMP_CNT: 2
	.section	.text._Z16sort_keys_kernelI22helper_blocked_blockediLj64ELj3ELj10EEvPKT0_PS1_,"axG",@progbits,_Z16sort_keys_kernelI22helper_blocked_blockediLj64ELj3ELj10EEvPKT0_PS1_,comdat
	.protected	_Z16sort_keys_kernelI22helper_blocked_blockediLj64ELj3ELj10EEvPKT0_PS1_ ; -- Begin function _Z16sort_keys_kernelI22helper_blocked_blockediLj64ELj3ELj10EEvPKT0_PS1_
	.globl	_Z16sort_keys_kernelI22helper_blocked_blockediLj64ELj3ELj10EEvPKT0_PS1_
	.p2align	8
	.type	_Z16sort_keys_kernelI22helper_blocked_blockediLj64ELj3ELj10EEvPKT0_PS1_,@function
_Z16sort_keys_kernelI22helper_blocked_blockediLj64ELj3ELj10EEvPKT0_PS1_: ; @_Z16sort_keys_kernelI22helper_blocked_blockediLj64ELj3ELj10EEvPKT0_PS1_
; %bb.0:
	s_mov_b32 s21, 0
	s_mul_i32 s20, s15, 0xc0
	s_clause 0x1
	s_load_b128 s[16:19], s[0:1], 0x0
	s_load_b32 s2, s[0:1], 0x1c
	s_lshl_b64 s[12:13], s[20:21], 2
	s_mov_b32 s20, s21
	v_and_b32_e32 v8, 0x3ff, v0
	v_mbcnt_lo_u32_b32 v7, -1, 0
	v_bfe_u32 v4, v0, 10, 10
	v_bfe_u32 v0, v0, 20, 10
	s_mov_b32 s14, s21
	v_lshrrev_b32_e32 v6, 5, v8
	s_mov_b32 s15, s21
	v_cmp_eq_u32_e64 s8, 0, v7
	s_delay_alu instid0(VALU_DEP_2) | instskip(SKIP_1) | instid1(VALU_DEP_2)
	v_mul_u32_u24_e32 v5, 0x60, v6
	v_lshlrev_b32_e32 v19, 2, v6
	v_or_b32_e32 v10, v7, v5
	s_waitcnt lgkmcnt(0)
	s_add_u32 s0, s16, s12
	s_addc_u32 s1, s17, s13
	v_lshlrev_b32_e32 v9, 2, v5
	v_add_nc_u32_e32 v21, -4, v19
	v_lshlrev_b32_e32 v15, 2, v10
	v_add_nc_u32_e32 v10, -1, v7
	s_delay_alu instid0(VALU_DEP_4) | instskip(NEXT) | instid1(VALU_DEP_2)
	v_mad_u32_u24 v14, v7, 12, v9
	v_cmp_gt_i32_e32 vcc_lo, 0, v10
	v_lshlrev_b32_e32 v1, 2, v8
	s_clause 0x2
	global_load_b32 v2, v1, s[0:1]
	global_load_b32 v3, v1, s[0:1] offset:256
	global_load_b32 v1, v1, s[0:1] offset:512
	s_lshr_b32 s0, s2, 16
	s_delay_alu instid0(SALU_CYCLE_1)
	v_mad_u32_u24 v0, v0, s0, v4
	s_and_b32 s0, s2, 0xffff
	s_delay_alu instid0(VALU_DEP_1) | instid1(SALU_CYCLE_1)
	v_mad_u64_u32 v[4:5], null, v0, s0, v[8:9]
	v_and_b32_e32 v0, 15, v7
	v_and_b32_e32 v9, 16, v7
	s_delay_alu instid0(VALU_DEP_2) | instskip(NEXT) | instid1(VALU_DEP_4)
	v_cmp_eq_u32_e64 s0, 0, v0
	v_lshrrev_b32_e32 v17, 5, v4
	v_cmp_lt_u32_e64 s1, 1, v0
	v_cmp_lt_u32_e64 s2, 3, v0
	;; [unrolled: 1-line block ×3, first 2 shown]
	v_cmp_eq_u32_e64 s4, 0, v9
	v_dual_cndmask_b32 v0, v10, v7 :: v_dual_mov_b32 v9, s20
	v_and_b32_e32 v4, 32, v8
	v_lshlrev_b32_e32 v13, 5, v8
	v_lshlrev_b32_e32 v5, 3, v8
	s_delay_alu instid0(VALU_DEP_4)
	v_lshlrev_b32_e32 v18, 2, v0
	v_and_b32_e32 v0, 1, v7
	v_or_b32_e32 v11, 31, v4
	v_mul_u32_u24_e32 v4, 3, v4
	v_cmp_gt_u32_e64 s6, 2, v8
	v_cmp_lt_u32_e64 s7, 31, v8
	v_cmp_eq_u32_e64 s9, 0, v8
	v_cmp_eq_u32_e64 s5, v11, v8
	v_dual_mov_b32 v11, s14 :: v_dual_mov_b32 v12, s15
	v_or_b32_e32 v4, v7, v4
	v_mad_i32_i24 v20, 0xffffffe4, v8, v13
	v_or_b32_e32 v16, 8, v13
	v_cmp_eq_u32_e64 s10, 0, v0
	v_mov_b32_e32 v10, s21
	v_lshlrev_b32_e32 v22, 2, v4
	v_add_nc_u32_e32 v23, v20, v5
	s_branch .LBB2_2
.LBB2_1:                                ;   in Loop: Header=BB2_2 Depth=1
	v_lshlrev_b32_e32 v0, 2, v5
	v_lshlrev_b32_e32 v1, 2, v4
	;; [unrolled: 1-line block ×3, first 2 shown]
	s_barrier
	buffer_gl0_inv
	ds_store_b32 v0, v24
	ds_store_b32 v1, v26
	ds_store_b32 v2, v25
	s_waitcnt lgkmcnt(0)
	s_barrier
	buffer_gl0_inv
	ds_load_2addr_b32 v[0:1], v23 offset1:1
	ds_load_b32 v4, v23 offset:8
	s_add_i32 s21, s21, 1
	s_delay_alu instid0(SALU_CYCLE_1)
	s_cmp_eq_u32 s21, 10
	s_waitcnt lgkmcnt(1)
	v_xor_b32_e32 v2, 0x80000000, v0
	v_xor_b32_e32 v3, 0x80000000, v1
	s_waitcnt lgkmcnt(0)
	v_xor_b32_e32 v1, 0x80000000, v4
	s_cbranch_scc1 .LBB2_18
.LBB2_2:                                ; =>This Loop Header: Depth=1
                                        ;     Child Loop BB2_4 Depth 2
	s_waitcnt vmcnt(2)
	v_xor_b32_e32 v0, 0x80000000, v2
	s_waitcnt vmcnt(1)
	v_xor_b32_e32 v2, 0x80000000, v3
	;; [unrolled: 2-line block ×3, first 2 shown]
	s_mov_b32 s14, 0
	ds_store_2addr_b32 v14, v0, v2 offset1:1
	ds_store_b32 v14, v1 offset:8
	; wave barrier
	ds_load_2addr_b32 v[0:1], v15 offset1:32
	ds_load_b32 v2, v15 offset:256
	s_waitcnt lgkmcnt(0)
	s_barrier
	buffer_gl0_inv
	; wave barrier
	s_barrier
	s_branch .LBB2_4
.LBB2_3:                                ;   in Loop: Header=BB2_4 Depth=2
	v_lshlrev_b32_e32 v0, 2, v5
	v_lshlrev_b32_e32 v1, 2, v4
	s_delay_alu instid0(VALU_DEP_3)
	v_lshlrev_b32_e32 v2, 2, v3
	s_barrier
	buffer_gl0_inv
	ds_store_b32 v0, v24
	ds_store_b32 v1, v26
	;; [unrolled: 1-line block ×3, first 2 shown]
	s_waitcnt lgkmcnt(0)
	s_barrier
	buffer_gl0_inv
	ds_load_2addr_b32 v[0:1], v22 offset1:32
	ds_load_b32 v2, v22 offset:256
	s_add_i32 s14, s14, 8
	s_waitcnt lgkmcnt(0)
	s_barrier
	s_cbranch_execz .LBB2_1
.LBB2_4:                                ;   Parent Loop BB2_2 Depth=1
                                        ; =>  This Inner Loop Header: Depth=2
	v_mov_b32_e32 v24, v0
	buffer_gl0_inv
	ds_store_2addr_b64 v13, v[9:10], v[11:12] offset0:1 offset1:2
	ds_store_2addr_b64 v16, v[9:10], v[11:12] offset0:2 offset1:3
	s_waitcnt lgkmcnt(0)
	s_barrier
	v_lshrrev_b32_e32 v3, s14, v24
	buffer_gl0_inv
	; wave barrier
	v_lshlrev_b32_e32 v5, 30, v3
	v_bfe_u32 v0, v24, s14, 1
	v_lshlrev_b32_e32 v6, 29, v3
	v_lshlrev_b32_e32 v7, 28, v3
	;; [unrolled: 1-line block ×4, first 2 shown]
	v_add_co_u32 v0, s11, v0, -1
	s_delay_alu instid0(VALU_DEP_1) | instskip(SKIP_3) | instid1(VALU_DEP_4)
	v_cndmask_b32_e64 v4, 0, 1, s11
	v_cmp_gt_i32_e64 s11, 0, v5
	v_lshlrev_b32_e32 v27, 25, v3
	v_lshlrev_b32_e32 v3, 24, v3
	v_cmp_ne_u32_e32 vcc_lo, 0, v4
	v_not_b32_e32 v4, v5
	v_not_b32_e32 v5, v6
	v_xor_b32_e32 v0, vcc_lo, v0
	s_delay_alu instid0(VALU_DEP_3)
	v_ashrrev_i32_e32 v4, 31, v4
	v_cmp_gt_i32_e32 vcc_lo, 0, v6
	v_not_b32_e32 v6, v7
	v_ashrrev_i32_e32 v5, 31, v5
	v_and_b32_e32 v0, exec_lo, v0
	v_xor_b32_e32 v4, s11, v4
	v_cmp_gt_i32_e64 s11, 0, v7
	v_not_b32_e32 v7, v25
	v_ashrrev_i32_e32 v6, 31, v6
	v_xor_b32_e32 v5, vcc_lo, v5
	v_and_b32_e32 v0, v0, v4
	v_cmp_gt_i32_e32 vcc_lo, 0, v25
	v_not_b32_e32 v4, v26
	v_ashrrev_i32_e32 v7, 31, v7
	v_xor_b32_e32 v6, s11, v6
	v_and_b32_e32 v0, v0, v5
	v_cmp_gt_i32_e64 s11, 0, v26
	v_mov_b32_e32 v26, v1
	v_not_b32_e32 v5, v27
	v_ashrrev_i32_e32 v4, 31, v4
	v_xor_b32_e32 v7, vcc_lo, v7
	v_and_b32_e32 v0, v0, v6
	v_cmp_gt_i32_e32 vcc_lo, 0, v27
	v_not_b32_e32 v6, v3
	v_ashrrev_i32_e32 v5, 31, v5
	v_xor_b32_e32 v4, s11, v4
	v_and_b32_e32 v0, v0, v7
	v_cmp_gt_i32_e64 s11, 0, v3
	v_ashrrev_i32_e32 v3, 31, v6
	v_xor_b32_e32 v5, vcc_lo, v5
	v_bfe_u32 v1, v24, s14, 8
	v_dual_mov_b32 v25, v2 :: v_dual_and_b32 v0, v0, v4
	s_delay_alu instid0(VALU_DEP_4) | instskip(NEXT) | instid1(VALU_DEP_3)
	v_xor_b32_e32 v3, s11, v3
	v_lshl_add_u32 v1, v1, 1, v17
	s_delay_alu instid0(VALU_DEP_3) | instskip(NEXT) | instid1(VALU_DEP_2)
	v_and_b32_e32 v0, v0, v5
	v_lshl_add_u32 v28, v1, 2, 8
	s_delay_alu instid0(VALU_DEP_2) | instskip(NEXT) | instid1(VALU_DEP_1)
	v_and_b32_e32 v0, v0, v3
	v_mbcnt_lo_u32_b32 v27, v0, 0
	v_cmp_ne_u32_e64 s11, 0, v0
	s_delay_alu instid0(VALU_DEP_2) | instskip(NEXT) | instid1(VALU_DEP_2)
	v_cmp_eq_u32_e32 vcc_lo, 0, v27
	s_and_b32 s15, s11, vcc_lo
	s_delay_alu instid0(SALU_CYCLE_1)
	s_and_saveexec_b32 s11, s15
	s_cbranch_execz .LBB2_6
; %bb.5:                                ;   in Loop: Header=BB2_4 Depth=2
	v_bcnt_u32_b32 v0, v0, 0
	ds_store_b32 v28, v0
.LBB2_6:                                ;   in Loop: Header=BB2_4 Depth=2
	s_or_b32 exec_lo, exec_lo, s11
	v_bfe_u32 v0, v26, s14, 1
	v_lshrrev_b32_e32 v1, s14, v26
	; wave barrier
	s_delay_alu instid0(VALU_DEP_2) | instskip(NEXT) | instid1(VALU_DEP_1)
	v_add_co_u32 v0, s11, v0, -1
	v_cndmask_b32_e64 v2, 0, 1, s11
	s_delay_alu instid0(VALU_DEP_3)
	v_lshlrev_b32_e32 v3, 30, v1
	v_lshlrev_b32_e32 v4, 29, v1
	;; [unrolled: 1-line block ×4, first 2 shown]
	v_cmp_ne_u32_e32 vcc_lo, 0, v2
	v_not_b32_e32 v2, v3
	v_cmp_gt_i32_e64 s11, 0, v3
	v_not_b32_e32 v3, v4
	v_lshlrev_b32_e32 v7, 26, v1
	v_xor_b32_e32 v0, vcc_lo, v0
	v_ashrrev_i32_e32 v2, 31, v2
	v_cmp_gt_i32_e32 vcc_lo, 0, v4
	v_not_b32_e32 v4, v5
	v_ashrrev_i32_e32 v3, 31, v3
	v_and_b32_e32 v0, exec_lo, v0
	v_xor_b32_e32 v2, s11, v2
	v_cmp_gt_i32_e64 s11, 0, v5
	v_not_b32_e32 v5, v6
	v_ashrrev_i32_e32 v4, 31, v4
	v_xor_b32_e32 v3, vcc_lo, v3
	v_and_b32_e32 v0, v0, v2
	v_cmp_gt_i32_e32 vcc_lo, 0, v6
	v_not_b32_e32 v2, v7
	v_ashrrev_i32_e32 v5, 31, v5
	v_xor_b32_e32 v4, s11, v4
	v_and_b32_e32 v0, v0, v3
	v_lshlrev_b32_e32 v3, 25, v1
	v_cmp_gt_i32_e64 s11, 0, v7
	v_ashrrev_i32_e32 v2, 31, v2
	v_xor_b32_e32 v5, vcc_lo, v5
	v_and_b32_e32 v0, v0, v4
	v_not_b32_e32 v6, v3
	v_lshlrev_b32_e32 v1, 24, v1
	v_bfe_u32 v4, v26, s14, 8
	v_xor_b32_e32 v2, s11, v2
	v_and_b32_e32 v0, v0, v5
	v_cmp_gt_i32_e32 vcc_lo, 0, v3
	v_ashrrev_i32_e32 v3, 31, v6
	v_not_b32_e32 v5, v1
	v_lshlrev_b32_e32 v4, 1, v4
	v_and_b32_e32 v0, v0, v2
	s_delay_alu instid0(VALU_DEP_4) | instskip(SKIP_3) | instid1(VALU_DEP_4)
	v_xor_b32_e32 v2, vcc_lo, v3
	v_cmp_gt_i32_e32 vcc_lo, 0, v1
	v_ashrrev_i32_e32 v1, 31, v5
	v_add_lshl_u32 v3, v4, v17, 2
	v_and_b32_e32 v0, v0, v2
	s_delay_alu instid0(VALU_DEP_3) | instskip(SKIP_3) | instid1(VALU_DEP_1)
	v_xor_b32_e32 v1, vcc_lo, v1
	ds_load_b32 v29, v3 offset:8
	v_add_nc_u32_e32 v31, 8, v3
	; wave barrier
	v_and_b32_e32 v0, v0, v1
	v_mbcnt_lo_u32_b32 v30, v0, 0
	v_cmp_ne_u32_e64 s11, 0, v0
	s_delay_alu instid0(VALU_DEP_2) | instskip(NEXT) | instid1(VALU_DEP_2)
	v_cmp_eq_u32_e32 vcc_lo, 0, v30
	s_and_b32 s15, s11, vcc_lo
	s_delay_alu instid0(SALU_CYCLE_1)
	s_and_saveexec_b32 s11, s15
	s_cbranch_execz .LBB2_8
; %bb.7:                                ;   in Loop: Header=BB2_4 Depth=2
	s_waitcnt lgkmcnt(0)
	v_bcnt_u32_b32 v0, v0, v29
	ds_store_b32 v31, v0
.LBB2_8:                                ;   in Loop: Header=BB2_4 Depth=2
	s_or_b32 exec_lo, exec_lo, s11
	v_bfe_u32 v0, v25, s14, 1
	v_lshrrev_b32_e32 v1, s14, v25
	; wave barrier
	s_delay_alu instid0(VALU_DEP_2) | instskip(NEXT) | instid1(VALU_DEP_1)
	v_add_co_u32 v0, s11, v0, -1
	v_cndmask_b32_e64 v2, 0, 1, s11
	s_delay_alu instid0(VALU_DEP_3)
	v_lshlrev_b32_e32 v3, 30, v1
	v_lshlrev_b32_e32 v4, 29, v1
	;; [unrolled: 1-line block ×4, first 2 shown]
	v_cmp_ne_u32_e32 vcc_lo, 0, v2
	v_not_b32_e32 v2, v3
	v_cmp_gt_i32_e64 s11, 0, v3
	v_not_b32_e32 v3, v4
	v_lshlrev_b32_e32 v7, 26, v1
	v_xor_b32_e32 v0, vcc_lo, v0
	v_ashrrev_i32_e32 v2, 31, v2
	v_cmp_gt_i32_e32 vcc_lo, 0, v4
	v_not_b32_e32 v4, v5
	v_ashrrev_i32_e32 v3, 31, v3
	v_and_b32_e32 v0, exec_lo, v0
	v_xor_b32_e32 v2, s11, v2
	v_cmp_gt_i32_e64 s11, 0, v5
	v_not_b32_e32 v5, v6
	v_ashrrev_i32_e32 v4, 31, v4
	v_xor_b32_e32 v3, vcc_lo, v3
	v_and_b32_e32 v0, v0, v2
	v_cmp_gt_i32_e32 vcc_lo, 0, v6
	v_not_b32_e32 v2, v7
	v_ashrrev_i32_e32 v5, 31, v5
	v_xor_b32_e32 v4, s11, v4
	v_and_b32_e32 v0, v0, v3
	v_lshlrev_b32_e32 v3, 25, v1
	v_cmp_gt_i32_e64 s11, 0, v7
	v_ashrrev_i32_e32 v2, 31, v2
	v_xor_b32_e32 v5, vcc_lo, v5
	v_and_b32_e32 v0, v0, v4
	v_not_b32_e32 v6, v3
	v_lshlrev_b32_e32 v1, 24, v1
	v_bfe_u32 v4, v25, s14, 8
	v_xor_b32_e32 v2, s11, v2
	v_and_b32_e32 v0, v0, v5
	v_cmp_gt_i32_e32 vcc_lo, 0, v3
	v_ashrrev_i32_e32 v3, 31, v6
	v_not_b32_e32 v5, v1
	v_lshlrev_b32_e32 v4, 1, v4
	v_and_b32_e32 v0, v0, v2
	s_delay_alu instid0(VALU_DEP_4) | instskip(SKIP_3) | instid1(VALU_DEP_4)
	v_xor_b32_e32 v2, vcc_lo, v3
	v_cmp_gt_i32_e32 vcc_lo, 0, v1
	v_ashrrev_i32_e32 v1, 31, v5
	v_add_lshl_u32 v3, v4, v17, 2
	v_and_b32_e32 v0, v0, v2
	s_delay_alu instid0(VALU_DEP_3) | instskip(SKIP_3) | instid1(VALU_DEP_1)
	v_xor_b32_e32 v1, vcc_lo, v1
	ds_load_b32 v32, v3 offset:8
	v_add_nc_u32_e32 v34, 8, v3
	; wave barrier
	v_and_b32_e32 v0, v0, v1
	v_mbcnt_lo_u32_b32 v33, v0, 0
	v_cmp_ne_u32_e64 s11, 0, v0
	s_delay_alu instid0(VALU_DEP_2) | instskip(NEXT) | instid1(VALU_DEP_2)
	v_cmp_eq_u32_e32 vcc_lo, 0, v33
	s_and_b32 s15, s11, vcc_lo
	s_delay_alu instid0(SALU_CYCLE_1)
	s_and_saveexec_b32 s11, s15
	s_cbranch_execz .LBB2_10
; %bb.9:                                ;   in Loop: Header=BB2_4 Depth=2
	s_waitcnt lgkmcnt(0)
	v_bcnt_u32_b32 v0, v0, v32
	ds_store_b32 v34, v0
.LBB2_10:                               ;   in Loop: Header=BB2_4 Depth=2
	s_or_b32 exec_lo, exec_lo, s11
	; wave barrier
	s_waitcnt lgkmcnt(0)
	s_barrier
	buffer_gl0_inv
	ds_load_2addr_b64 v[4:7], v13 offset0:1 offset1:2
	ds_load_2addr_b64 v[0:3], v16 offset0:2 offset1:3
	s_waitcnt lgkmcnt(1)
	v_add_nc_u32_e32 v35, v5, v4
	s_delay_alu instid0(VALU_DEP_1) | instskip(SKIP_1) | instid1(VALU_DEP_1)
	v_add3_u32 v35, v35, v6, v7
	s_waitcnt lgkmcnt(0)
	v_add3_u32 v35, v35, v0, v1
	s_delay_alu instid0(VALU_DEP_1) | instskip(NEXT) | instid1(VALU_DEP_1)
	v_add3_u32 v3, v35, v2, v3
	v_mov_b32_dpp v35, v3 row_shr:1 row_mask:0xf bank_mask:0xf
	s_delay_alu instid0(VALU_DEP_1) | instskip(NEXT) | instid1(VALU_DEP_1)
	v_cndmask_b32_e64 v35, v35, 0, s0
	v_add_nc_u32_e32 v3, v35, v3
	s_delay_alu instid0(VALU_DEP_1) | instskip(NEXT) | instid1(VALU_DEP_1)
	v_mov_b32_dpp v35, v3 row_shr:2 row_mask:0xf bank_mask:0xf
	v_cndmask_b32_e64 v35, 0, v35, s1
	s_delay_alu instid0(VALU_DEP_1) | instskip(NEXT) | instid1(VALU_DEP_1)
	v_add_nc_u32_e32 v3, v3, v35
	v_mov_b32_dpp v35, v3 row_shr:4 row_mask:0xf bank_mask:0xf
	s_delay_alu instid0(VALU_DEP_1) | instskip(NEXT) | instid1(VALU_DEP_1)
	v_cndmask_b32_e64 v35, 0, v35, s2
	v_add_nc_u32_e32 v3, v3, v35
	s_delay_alu instid0(VALU_DEP_1) | instskip(NEXT) | instid1(VALU_DEP_1)
	v_mov_b32_dpp v35, v3 row_shr:8 row_mask:0xf bank_mask:0xf
	v_cndmask_b32_e64 v35, 0, v35, s3
	s_delay_alu instid0(VALU_DEP_1) | instskip(SKIP_3) | instid1(VALU_DEP_1)
	v_add_nc_u32_e32 v3, v3, v35
	ds_swizzle_b32 v35, v3 offset:swizzle(BROADCAST,32,15)
	s_waitcnt lgkmcnt(0)
	v_cndmask_b32_e64 v35, v35, 0, s4
	v_add_nc_u32_e32 v3, v3, v35
	s_and_saveexec_b32 s11, s5
	s_cbranch_execz .LBB2_12
; %bb.11:                               ;   in Loop: Header=BB2_4 Depth=2
	ds_store_b32 v19, v3
.LBB2_12:                               ;   in Loop: Header=BB2_4 Depth=2
	s_or_b32 exec_lo, exec_lo, s11
	s_waitcnt lgkmcnt(0)
	s_barrier
	buffer_gl0_inv
	s_and_saveexec_b32 s11, s6
	s_cbranch_execz .LBB2_14
; %bb.13:                               ;   in Loop: Header=BB2_4 Depth=2
	ds_load_b32 v35, v20
	s_waitcnt lgkmcnt(0)
	v_mov_b32_dpp v36, v35 row_shr:1 row_mask:0xf bank_mask:0xf
	s_delay_alu instid0(VALU_DEP_1) | instskip(NEXT) | instid1(VALU_DEP_1)
	v_cndmask_b32_e64 v36, v36, 0, s10
	v_add_nc_u32_e32 v35, v36, v35
	ds_store_b32 v20, v35
.LBB2_14:                               ;   in Loop: Header=BB2_4 Depth=2
	s_or_b32 exec_lo, exec_lo, s11
	v_mov_b32_e32 v35, 0
	s_waitcnt lgkmcnt(0)
	s_barrier
	buffer_gl0_inv
	s_and_saveexec_b32 s11, s7
	s_cbranch_execz .LBB2_16
; %bb.15:                               ;   in Loop: Header=BB2_4 Depth=2
	ds_load_b32 v35, v21
.LBB2_16:                               ;   in Loop: Header=BB2_4 Depth=2
	s_or_b32 exec_lo, exec_lo, s11
	s_waitcnt lgkmcnt(0)
	v_add_nc_u32_e32 v3, v35, v3
	s_cmp_gt_u32 s14, 23
	ds_bpermute_b32 v3, v18, v3
	s_waitcnt lgkmcnt(0)
	v_cndmask_b32_e64 v3, v3, v35, s8
	s_delay_alu instid0(VALU_DEP_1) | instskip(NEXT) | instid1(VALU_DEP_1)
	v_cndmask_b32_e64 v3, v3, 0, s9
	v_add_nc_u32_e32 v4, v3, v4
	s_delay_alu instid0(VALU_DEP_1) | instskip(NEXT) | instid1(VALU_DEP_1)
	v_add_nc_u32_e32 v5, v4, v5
	v_add_nc_u32_e32 v6, v5, v6
	s_delay_alu instid0(VALU_DEP_1) | instskip(NEXT) | instid1(VALU_DEP_1)
	v_add_nc_u32_e32 v35, v6, v7
	;; [unrolled: 3-line block ×3, first 2 shown]
	v_add_nc_u32_e32 v1, v0, v2
	ds_store_2addr_b64 v13, v[3:4], v[5:6] offset0:1 offset1:2
	ds_store_2addr_b64 v16, v[35:36], v[0:1] offset0:2 offset1:3
	s_waitcnt lgkmcnt(0)
	s_barrier
	buffer_gl0_inv
	ds_load_b32 v0, v28
	ds_load_b32 v1, v31
	;; [unrolled: 1-line block ×3, first 2 shown]
	s_waitcnt lgkmcnt(2)
	v_add_nc_u32_e32 v5, v0, v27
	s_waitcnt lgkmcnt(1)
	v_add3_u32 v4, v30, v29, v1
	s_waitcnt lgkmcnt(0)
	v_add3_u32 v3, v33, v32, v2
	s_cbranch_scc0 .LBB2_3
; %bb.17:                               ;   in Loop: Header=BB2_2 Depth=1
                                        ; implicit-def: $vgpr2
                                        ; implicit-def: $vgpr1
                                        ; implicit-def: $sgpr14
	s_branch .LBB2_1
.LBB2_18:
	v_lshlrev_b32_e32 v0, 2, v8
	s_add_u32 s0, s18, s12
	s_addc_u32 s1, s19, s13
	s_clause 0x2
	global_store_b32 v0, v2, s[0:1]
	global_store_b32 v0, v3, s[0:1] offset:256
	global_store_b32 v0, v1, s[0:1] offset:512
	s_nop 0
	s_sendmsg sendmsg(MSG_DEALLOC_VGPRS)
	s_endpgm
	.section	.rodata,"a",@progbits
	.p2align	6, 0x0
	.amdhsa_kernel _Z16sort_keys_kernelI22helper_blocked_blockediLj64ELj3ELj10EEvPKT0_PS1_
		.amdhsa_group_segment_fixed_size 2064
		.amdhsa_private_segment_fixed_size 0
		.amdhsa_kernarg_size 272
		.amdhsa_user_sgpr_count 15
		.amdhsa_user_sgpr_dispatch_ptr 0
		.amdhsa_user_sgpr_queue_ptr 0
		.amdhsa_user_sgpr_kernarg_segment_ptr 1
		.amdhsa_user_sgpr_dispatch_id 0
		.amdhsa_user_sgpr_private_segment_size 0
		.amdhsa_wavefront_size32 1
		.amdhsa_uses_dynamic_stack 0
		.amdhsa_enable_private_segment 0
		.amdhsa_system_sgpr_workgroup_id_x 1
		.amdhsa_system_sgpr_workgroup_id_y 0
		.amdhsa_system_sgpr_workgroup_id_z 0
		.amdhsa_system_sgpr_workgroup_info 0
		.amdhsa_system_vgpr_workitem_id 2
		.amdhsa_next_free_vgpr 37
		.amdhsa_next_free_sgpr 22
		.amdhsa_reserve_vcc 1
		.amdhsa_float_round_mode_32 0
		.amdhsa_float_round_mode_16_64 0
		.amdhsa_float_denorm_mode_32 3
		.amdhsa_float_denorm_mode_16_64 3
		.amdhsa_dx10_clamp 1
		.amdhsa_ieee_mode 1
		.amdhsa_fp16_overflow 0
		.amdhsa_workgroup_processor_mode 1
		.amdhsa_memory_ordered 1
		.amdhsa_forward_progress 0
		.amdhsa_shared_vgpr_count 0
		.amdhsa_exception_fp_ieee_invalid_op 0
		.amdhsa_exception_fp_denorm_src 0
		.amdhsa_exception_fp_ieee_div_zero 0
		.amdhsa_exception_fp_ieee_overflow 0
		.amdhsa_exception_fp_ieee_underflow 0
		.amdhsa_exception_fp_ieee_inexact 0
		.amdhsa_exception_int_div_zero 0
	.end_amdhsa_kernel
	.section	.text._Z16sort_keys_kernelI22helper_blocked_blockediLj64ELj3ELj10EEvPKT0_PS1_,"axG",@progbits,_Z16sort_keys_kernelI22helper_blocked_blockediLj64ELj3ELj10EEvPKT0_PS1_,comdat
.Lfunc_end2:
	.size	_Z16sort_keys_kernelI22helper_blocked_blockediLj64ELj3ELj10EEvPKT0_PS1_, .Lfunc_end2-_Z16sort_keys_kernelI22helper_blocked_blockediLj64ELj3ELj10EEvPKT0_PS1_
                                        ; -- End function
	.section	.AMDGPU.csdata,"",@progbits
; Kernel info:
; codeLenInByte = 2340
; NumSgprs: 24
; NumVgprs: 37
; ScratchSize: 0
; MemoryBound: 0
; FloatMode: 240
; IeeeMode: 1
; LDSByteSize: 2064 bytes/workgroup (compile time only)
; SGPRBlocks: 2
; VGPRBlocks: 4
; NumSGPRsForWavesPerEU: 24
; NumVGPRsForWavesPerEU: 37
; Occupancy: 16
; WaveLimiterHint : 1
; COMPUTE_PGM_RSRC2:SCRATCH_EN: 0
; COMPUTE_PGM_RSRC2:USER_SGPR: 15
; COMPUTE_PGM_RSRC2:TRAP_HANDLER: 0
; COMPUTE_PGM_RSRC2:TGID_X_EN: 1
; COMPUTE_PGM_RSRC2:TGID_Y_EN: 0
; COMPUTE_PGM_RSRC2:TGID_Z_EN: 0
; COMPUTE_PGM_RSRC2:TIDIG_COMP_CNT: 2
	.section	.text._Z17sort_pairs_kernelI22helper_blocked_blockediLj64ELj3ELj10EEvPKT0_PS1_,"axG",@progbits,_Z17sort_pairs_kernelI22helper_blocked_blockediLj64ELj3ELj10EEvPKT0_PS1_,comdat
	.protected	_Z17sort_pairs_kernelI22helper_blocked_blockediLj64ELj3ELj10EEvPKT0_PS1_ ; -- Begin function _Z17sort_pairs_kernelI22helper_blocked_blockediLj64ELj3ELj10EEvPKT0_PS1_
	.globl	_Z17sort_pairs_kernelI22helper_blocked_blockediLj64ELj3ELj10EEvPKT0_PS1_
	.p2align	8
	.type	_Z17sort_pairs_kernelI22helper_blocked_blockediLj64ELj3ELj10EEvPKT0_PS1_,@function
_Z17sort_pairs_kernelI22helper_blocked_blockediLj64ELj3ELj10EEvPKT0_PS1_: ; @_Z17sort_pairs_kernelI22helper_blocked_blockediLj64ELj3ELj10EEvPKT0_PS1_
; %bb.0:
	s_clause 0x1
	s_load_b128 s[16:19], s[0:1], 0x0
	s_load_b32 s10, s[0:1], 0x1c
	v_and_b32_e32 v8, 0x3ff, v0
	s_mov_b32 s21, 0
	s_mul_i32 s20, s15, 0xc0
	v_mbcnt_lo_u32_b32 v6, -1, 0
	s_lshl_b64 s[12:13], s[20:21], 2
	v_lshlrev_b32_e32 v1, 2, v8
	s_mov_b32 s20, s21
	v_bfe_u32 v2, v0, 10, 10
	v_dual_mov_b32 v11, s20 :: v_dual_add_nc_u32 v14, -1, v6
	v_dual_mov_b32 v12, s21 :: v_dual_and_b32 v3, 15, v6
	v_and_b32_e32 v7, 16, v6
	s_delay_alu instid0(VALU_DEP_3)
	v_cmp_gt_i32_e32 vcc_lo, 0, v14
	v_bfe_u32 v0, v0, 20, 10
	v_and_b32_e32 v15, 1, v6
	v_cmp_lt_u32_e64 s2, 1, v3
	v_cmp_lt_u32_e64 s3, 3, v3
	s_waitcnt lgkmcnt(0)
	s_add_u32 s0, s16, s12
	s_addc_u32 s1, s17, s13
	v_cmp_lt_u32_e64 s4, 7, v3
	s_clause 0x2
	global_load_b32 v4, v1, s[0:1]
	global_load_b32 v5, v1, s[0:1] offset:256
	global_load_b32 v1, v1, s[0:1] offset:512
	s_mov_b32 s1, s21
	s_mov_b32 s0, s21
	s_delay_alu instid0(SALU_CYCLE_1)
	v_dual_mov_b32 v10, s1 :: v_dual_mov_b32 v9, s0
	v_lshrrev_b32_e32 v16, 5, v8
	v_cmp_eq_u32_e64 s1, 0, v3
	v_cmp_eq_u32_e64 s5, 0, v7
	v_and_b32_e32 v3, 32, v8
	v_cndmask_b32_e32 v7, v14, v6, vcc_lo
	s_lshr_b32 s11, s10, 16
	v_lshlrev_b32_e32 v13, 5, v8
	v_mad_u32_u24 v0, v0, s11, v2
	v_cmp_eq_u32_e64 s9, 0, v15
	v_mul_u32_u24_e32 v18, 0x60, v16
	v_lshlrev_b32_e32 v16, 2, v16
	v_lshlrev_b32_e32 v15, 2, v7
	v_mul_u32_u24_e32 v7, 3, v3
	s_and_b32 s10, s10, 0xffff
	v_or_b32_e32 v19, 31, v3
	v_mad_u64_u32 v[2:3], null, v0, s10, v[8:9]
	v_lshlrev_b32_e32 v23, 3, v8
	v_mad_i32_i24 v17, 0xffffffe4, v8, v13
	v_lshlrev_b32_e32 v20, 2, v18
	v_or_b32_e32 v0, v6, v18
	v_or_b32_e32 v3, v6, v7
	v_cmp_eq_u32_e64 s0, 0, v6
	v_cmp_gt_u32_e64 s6, 2, v8
	v_cmp_lt_u32_e64 s7, 31, v8
	v_cmp_eq_u32_e64 s8, 0, v8
	v_or_b32_e32 v14, 8, v13
	v_cmp_eq_u32_e64 s10, v19, v8
	v_add_nc_u32_e32 v18, -4, v16
	v_mad_u32_u24 v19, v6, 12, v20
	v_lshlrev_b32_e32 v20, 2, v0
	v_lshlrev_b32_e32 v21, 2, v3
	v_lshrrev_b32_e32 v22, 5, v2
	v_add_nc_u32_e32 v23, v17, v23
	s_waitcnt vmcnt(2)
	v_add_nc_u32_e32 v2, 1, v4
	s_waitcnt vmcnt(1)
	;; [unrolled: 2-line block ×3, first 2 shown]
	v_add_nc_u32_e32 v6, 1, v1
	s_branch .LBB3_2
.LBB3_1:                                ;   in Loop: Header=BB3_2 Depth=1
	v_lshlrev_b32_e32 v2, 2, v30
	v_lshlrev_b32_e32 v3, 2, v7
	v_lshlrev_b32_e32 v4, 2, v6
	s_barrier
	buffer_gl0_inv
	ds_store_b32 v2, v24
	ds_store_b32 v3, v29
	;; [unrolled: 1-line block ×3, first 2 shown]
	s_waitcnt lgkmcnt(0)
	s_barrier
	buffer_gl0_inv
	ds_load_2addr_b32 v[0:1], v23 offset1:1
	ds_load_b32 v7, v23 offset:8
	s_waitcnt lgkmcnt(0)
	s_barrier
	buffer_gl0_inv
	ds_store_b32 v2, v27
	ds_store_b32 v3, v26
	;; [unrolled: 1-line block ×3, first 2 shown]
	s_waitcnt lgkmcnt(0)
	s_barrier
	buffer_gl0_inv
	ds_load_2addr_b32 v[2:3], v23 offset1:1
	ds_load_b32 v6, v23 offset:8
	s_add_i32 s21, s21, 1
	s_delay_alu instid0(SALU_CYCLE_1)
	s_cmp_eq_u32 s21, 10
	v_xor_b32_e32 v4, 0x80000000, v0
	v_xor_b32_e32 v5, 0x80000000, v1
	;; [unrolled: 1-line block ×3, first 2 shown]
	s_cbranch_scc1 .LBB3_18
.LBB3_2:                                ; =>This Loop Header: Depth=1
                                        ;     Child Loop BB3_4 Depth 2
	s_delay_alu instid0(VALU_DEP_3) | instskip(NEXT) | instid1(VALU_DEP_3)
	v_xor_b32_e32 v0, 0x80000000, v4
	v_xor_b32_e32 v4, 0x80000000, v5
	s_delay_alu instid0(VALU_DEP_3)
	v_xor_b32_e32 v1, 0x80000000, v1
	s_mov_b32 s14, 0
	ds_store_2addr_b32 v19, v0, v4 offset1:1
	ds_store_b32 v19, v1 offset:8
	; wave barrier
	ds_load_2addr_b32 v[0:1], v20 offset1:32
	ds_load_b32 v4, v20 offset:256
	; wave barrier
	s_waitcnt lgkmcnt(5)
	ds_store_2addr_b32 v19, v2, v3 offset1:1
	s_waitcnt lgkmcnt(5)
	ds_store_b32 v19, v6 offset:8
	; wave barrier
	ds_load_2addr_b32 v[2:3], v20 offset1:32
	ds_load_b32 v5, v20 offset:256
	s_waitcnt lgkmcnt(0)
	s_barrier
	s_branch .LBB3_4
.LBB3_3:                                ;   in Loop: Header=BB3_4 Depth=2
	v_lshlrev_b32_e32 v2, 2, v30
	v_lshlrev_b32_e32 v3, 2, v7
	s_delay_alu instid0(VALU_DEP_3)
	v_lshlrev_b32_e32 v5, 2, v6
	s_barrier
	buffer_gl0_inv
	ds_store_b32 v2, v24
	ds_store_b32 v3, v29
	;; [unrolled: 1-line block ×3, first 2 shown]
	s_waitcnt lgkmcnt(0)
	s_barrier
	buffer_gl0_inv
	ds_load_2addr_b32 v[0:1], v21 offset1:32
	ds_load_b32 v4, v21 offset:256
	s_waitcnt lgkmcnt(0)
	s_barrier
	buffer_gl0_inv
	ds_store_b32 v2, v27
	ds_store_b32 v3, v26
	ds_store_b32 v5, v25
	s_waitcnt lgkmcnt(0)
	s_barrier
	buffer_gl0_inv
	ds_load_2addr_b32 v[2:3], v21 offset1:32
	ds_load_b32 v5, v21 offset:256
	s_add_i32 s14, s14, 8
	s_waitcnt lgkmcnt(0)
	s_barrier
	s_cbranch_execz .LBB3_1
.LBB3_4:                                ;   Parent Loop BB3_2 Depth=1
                                        ; =>  This Inner Loop Header: Depth=2
	v_mov_b32_e32 v24, v0
	buffer_gl0_inv
	ds_store_2addr_b64 v13, v[11:12], v[9:10] offset0:1 offset1:2
	ds_store_2addr_b64 v14, v[11:12], v[9:10] offset0:2 offset1:3
	s_waitcnt lgkmcnt(0)
	s_barrier
	v_lshrrev_b32_e32 v6, s14, v24
	buffer_gl0_inv
	; wave barrier
	v_lshlrev_b32_e32 v25, 30, v6
	v_bfe_u32 v0, v24, s14, 1
	v_lshlrev_b32_e32 v26, 29, v6
	v_lshlrev_b32_e32 v27, 28, v6
	;; [unrolled: 1-line block ×4, first 2 shown]
	v_add_co_u32 v0, s11, v0, -1
	s_delay_alu instid0(VALU_DEP_1) | instskip(SKIP_3) | instid1(VALU_DEP_4)
	v_cndmask_b32_e64 v7, 0, 1, s11
	v_cmp_gt_i32_e64 s11, 0, v25
	v_lshlrev_b32_e32 v30, 25, v6
	v_lshlrev_b32_e32 v6, 24, v6
	v_cmp_ne_u32_e32 vcc_lo, 0, v7
	v_not_b32_e32 v7, v25
	v_not_b32_e32 v25, v26
	v_xor_b32_e32 v0, vcc_lo, v0
	s_delay_alu instid0(VALU_DEP_3)
	v_ashrrev_i32_e32 v7, 31, v7
	v_cmp_gt_i32_e32 vcc_lo, 0, v26
	v_not_b32_e32 v26, v27
	v_ashrrev_i32_e32 v25, 31, v25
	v_and_b32_e32 v0, exec_lo, v0
	v_xor_b32_e32 v7, s11, v7
	v_cmp_gt_i32_e64 s11, 0, v27
	v_not_b32_e32 v27, v28
	v_ashrrev_i32_e32 v26, 31, v26
	v_xor_b32_e32 v25, vcc_lo, v25
	v_and_b32_e32 v0, v0, v7
	v_cmp_gt_i32_e32 vcc_lo, 0, v28
	v_ashrrev_i32_e32 v27, 31, v27
	v_xor_b32_e32 v26, s11, v26
	v_not_b32_e32 v7, v29
	v_and_b32_e32 v0, v0, v25
	v_cmp_gt_i32_e64 s11, 0, v29
	v_xor_b32_e32 v27, vcc_lo, v27
	v_mov_b32_e32 v29, v1
	v_ashrrev_i32_e32 v7, 31, v7
	v_and_b32_e32 v0, v0, v26
	v_not_b32_e32 v26, v6
	v_bfe_u32 v1, v24, s14, 8
	v_mov_b32_e32 v28, v4
	v_xor_b32_e32 v7, s11, v7
	v_dual_mov_b32 v27, v2 :: v_dual_and_b32 v0, v0, v27
	v_not_b32_e32 v25, v30
	v_cmp_gt_i32_e32 vcc_lo, 0, v30
	v_cmp_gt_i32_e64 s11, 0, v6
	v_ashrrev_i32_e32 v6, 31, v26
	v_and_b32_e32 v0, v0, v7
	v_ashrrev_i32_e32 v25, 31, v25
	v_lshl_add_u32 v1, v1, 1, v22
	v_mov_b32_e32 v26, v3
	v_xor_b32_e32 v6, s11, v6
	s_delay_alu instid0(VALU_DEP_4) | instskip(NEXT) | instid1(VALU_DEP_4)
	v_xor_b32_e32 v25, vcc_lo, v25
	v_lshl_add_u32 v31, v1, 2, 8
	s_delay_alu instid0(VALU_DEP_2) | instskip(NEXT) | instid1(VALU_DEP_1)
	v_dual_mov_b32 v25, v5 :: v_dual_and_b32 v0, v0, v25
	v_and_b32_e32 v0, v0, v6
	s_delay_alu instid0(VALU_DEP_1) | instskip(SKIP_1) | instid1(VALU_DEP_2)
	v_mbcnt_lo_u32_b32 v30, v0, 0
	v_cmp_ne_u32_e64 s11, 0, v0
	v_cmp_eq_u32_e32 vcc_lo, 0, v30
	s_delay_alu instid0(VALU_DEP_2) | instskip(NEXT) | instid1(SALU_CYCLE_1)
	s_and_b32 s15, s11, vcc_lo
	s_and_saveexec_b32 s11, s15
	s_cbranch_execz .LBB3_6
; %bb.5:                                ;   in Loop: Header=BB3_4 Depth=2
	v_bcnt_u32_b32 v0, v0, 0
	ds_store_b32 v31, v0
.LBB3_6:                                ;   in Loop: Header=BB3_4 Depth=2
	s_or_b32 exec_lo, exec_lo, s11
	v_bfe_u32 v0, v29, s14, 1
	v_lshrrev_b32_e32 v1, s14, v29
	; wave barrier
	s_delay_alu instid0(VALU_DEP_2) | instskip(NEXT) | instid1(VALU_DEP_1)
	v_add_co_u32 v0, s11, v0, -1
	v_cndmask_b32_e64 v2, 0, 1, s11
	s_delay_alu instid0(VALU_DEP_3)
	v_lshlrev_b32_e32 v3, 30, v1
	v_lshlrev_b32_e32 v4, 29, v1
	;; [unrolled: 1-line block ×4, first 2 shown]
	v_cmp_ne_u32_e32 vcc_lo, 0, v2
	v_not_b32_e32 v2, v3
	v_cmp_gt_i32_e64 s11, 0, v3
	v_not_b32_e32 v3, v4
	v_lshlrev_b32_e32 v7, 26, v1
	v_xor_b32_e32 v0, vcc_lo, v0
	v_ashrrev_i32_e32 v2, 31, v2
	v_cmp_gt_i32_e32 vcc_lo, 0, v4
	v_not_b32_e32 v4, v5
	v_ashrrev_i32_e32 v3, 31, v3
	v_and_b32_e32 v0, exec_lo, v0
	v_xor_b32_e32 v2, s11, v2
	v_cmp_gt_i32_e64 s11, 0, v5
	v_not_b32_e32 v5, v6
	v_ashrrev_i32_e32 v4, 31, v4
	v_xor_b32_e32 v3, vcc_lo, v3
	v_and_b32_e32 v0, v0, v2
	v_cmp_gt_i32_e32 vcc_lo, 0, v6
	v_not_b32_e32 v2, v7
	v_ashrrev_i32_e32 v5, 31, v5
	v_xor_b32_e32 v4, s11, v4
	v_and_b32_e32 v0, v0, v3
	v_lshlrev_b32_e32 v3, 25, v1
	v_cmp_gt_i32_e64 s11, 0, v7
	v_ashrrev_i32_e32 v2, 31, v2
	v_xor_b32_e32 v5, vcc_lo, v5
	v_and_b32_e32 v0, v0, v4
	v_not_b32_e32 v6, v3
	v_lshlrev_b32_e32 v1, 24, v1
	v_bfe_u32 v4, v29, s14, 8
	v_xor_b32_e32 v2, s11, v2
	v_and_b32_e32 v0, v0, v5
	v_cmp_gt_i32_e32 vcc_lo, 0, v3
	v_ashrrev_i32_e32 v3, 31, v6
	v_not_b32_e32 v5, v1
	v_lshlrev_b32_e32 v4, 1, v4
	v_and_b32_e32 v0, v0, v2
	s_delay_alu instid0(VALU_DEP_4) | instskip(SKIP_3) | instid1(VALU_DEP_4)
	v_xor_b32_e32 v2, vcc_lo, v3
	v_cmp_gt_i32_e32 vcc_lo, 0, v1
	v_ashrrev_i32_e32 v1, 31, v5
	v_add_lshl_u32 v3, v4, v22, 2
	v_and_b32_e32 v0, v0, v2
	s_delay_alu instid0(VALU_DEP_3) | instskip(SKIP_3) | instid1(VALU_DEP_1)
	v_xor_b32_e32 v1, vcc_lo, v1
	ds_load_b32 v32, v3 offset:8
	v_add_nc_u32_e32 v34, 8, v3
	; wave barrier
	v_and_b32_e32 v0, v0, v1
	v_mbcnt_lo_u32_b32 v33, v0, 0
	v_cmp_ne_u32_e64 s11, 0, v0
	s_delay_alu instid0(VALU_DEP_2) | instskip(NEXT) | instid1(VALU_DEP_2)
	v_cmp_eq_u32_e32 vcc_lo, 0, v33
	s_and_b32 s15, s11, vcc_lo
	s_delay_alu instid0(SALU_CYCLE_1)
	s_and_saveexec_b32 s11, s15
	s_cbranch_execz .LBB3_8
; %bb.7:                                ;   in Loop: Header=BB3_4 Depth=2
	s_waitcnt lgkmcnt(0)
	v_bcnt_u32_b32 v0, v0, v32
	ds_store_b32 v34, v0
.LBB3_8:                                ;   in Loop: Header=BB3_4 Depth=2
	s_or_b32 exec_lo, exec_lo, s11
	v_bfe_u32 v0, v28, s14, 1
	v_lshrrev_b32_e32 v1, s14, v28
	; wave barrier
	s_delay_alu instid0(VALU_DEP_2) | instskip(NEXT) | instid1(VALU_DEP_1)
	v_add_co_u32 v0, s11, v0, -1
	v_cndmask_b32_e64 v2, 0, 1, s11
	s_delay_alu instid0(VALU_DEP_3)
	v_lshlrev_b32_e32 v3, 30, v1
	v_lshlrev_b32_e32 v4, 29, v1
	;; [unrolled: 1-line block ×4, first 2 shown]
	v_cmp_ne_u32_e32 vcc_lo, 0, v2
	v_not_b32_e32 v2, v3
	v_cmp_gt_i32_e64 s11, 0, v3
	v_not_b32_e32 v3, v4
	v_lshlrev_b32_e32 v7, 26, v1
	v_xor_b32_e32 v0, vcc_lo, v0
	v_ashrrev_i32_e32 v2, 31, v2
	v_cmp_gt_i32_e32 vcc_lo, 0, v4
	v_not_b32_e32 v4, v5
	v_ashrrev_i32_e32 v3, 31, v3
	v_and_b32_e32 v0, exec_lo, v0
	v_xor_b32_e32 v2, s11, v2
	v_cmp_gt_i32_e64 s11, 0, v5
	v_not_b32_e32 v5, v6
	v_ashrrev_i32_e32 v4, 31, v4
	v_xor_b32_e32 v3, vcc_lo, v3
	v_and_b32_e32 v0, v0, v2
	v_cmp_gt_i32_e32 vcc_lo, 0, v6
	v_not_b32_e32 v2, v7
	v_ashrrev_i32_e32 v5, 31, v5
	v_xor_b32_e32 v4, s11, v4
	v_and_b32_e32 v0, v0, v3
	v_lshlrev_b32_e32 v3, 25, v1
	v_cmp_gt_i32_e64 s11, 0, v7
	v_ashrrev_i32_e32 v2, 31, v2
	v_xor_b32_e32 v5, vcc_lo, v5
	v_and_b32_e32 v0, v0, v4
	v_not_b32_e32 v6, v3
	v_lshlrev_b32_e32 v1, 24, v1
	v_bfe_u32 v4, v28, s14, 8
	v_xor_b32_e32 v2, s11, v2
	v_and_b32_e32 v0, v0, v5
	v_cmp_gt_i32_e32 vcc_lo, 0, v3
	v_ashrrev_i32_e32 v3, 31, v6
	v_not_b32_e32 v5, v1
	v_lshlrev_b32_e32 v4, 1, v4
	v_and_b32_e32 v0, v0, v2
	s_delay_alu instid0(VALU_DEP_4) | instskip(SKIP_3) | instid1(VALU_DEP_4)
	v_xor_b32_e32 v2, vcc_lo, v3
	v_cmp_gt_i32_e32 vcc_lo, 0, v1
	v_ashrrev_i32_e32 v1, 31, v5
	v_add_lshl_u32 v3, v4, v22, 2
	v_and_b32_e32 v0, v0, v2
	s_delay_alu instid0(VALU_DEP_3) | instskip(SKIP_3) | instid1(VALU_DEP_1)
	v_xor_b32_e32 v1, vcc_lo, v1
	ds_load_b32 v35, v3 offset:8
	v_add_nc_u32_e32 v37, 8, v3
	; wave barrier
	v_and_b32_e32 v0, v0, v1
	v_mbcnt_lo_u32_b32 v36, v0, 0
	v_cmp_ne_u32_e64 s11, 0, v0
	s_delay_alu instid0(VALU_DEP_2) | instskip(NEXT) | instid1(VALU_DEP_2)
	v_cmp_eq_u32_e32 vcc_lo, 0, v36
	s_and_b32 s15, s11, vcc_lo
	s_delay_alu instid0(SALU_CYCLE_1)
	s_and_saveexec_b32 s11, s15
	s_cbranch_execz .LBB3_10
; %bb.9:                                ;   in Loop: Header=BB3_4 Depth=2
	s_waitcnt lgkmcnt(0)
	v_bcnt_u32_b32 v0, v0, v35
	ds_store_b32 v37, v0
.LBB3_10:                               ;   in Loop: Header=BB3_4 Depth=2
	s_or_b32 exec_lo, exec_lo, s11
	; wave barrier
	s_waitcnt lgkmcnt(0)
	s_barrier
	buffer_gl0_inv
	ds_load_2addr_b64 v[4:7], v13 offset0:1 offset1:2
	ds_load_2addr_b64 v[0:3], v14 offset0:2 offset1:3
	s_waitcnt lgkmcnt(1)
	v_add_nc_u32_e32 v38, v5, v4
	s_delay_alu instid0(VALU_DEP_1) | instskip(SKIP_1) | instid1(VALU_DEP_1)
	v_add3_u32 v38, v38, v6, v7
	s_waitcnt lgkmcnt(0)
	v_add3_u32 v38, v38, v0, v1
	s_delay_alu instid0(VALU_DEP_1) | instskip(NEXT) | instid1(VALU_DEP_1)
	v_add3_u32 v3, v38, v2, v3
	v_mov_b32_dpp v38, v3 row_shr:1 row_mask:0xf bank_mask:0xf
	s_delay_alu instid0(VALU_DEP_1) | instskip(NEXT) | instid1(VALU_DEP_1)
	v_cndmask_b32_e64 v38, v38, 0, s1
	v_add_nc_u32_e32 v3, v38, v3
	s_delay_alu instid0(VALU_DEP_1) | instskip(NEXT) | instid1(VALU_DEP_1)
	v_mov_b32_dpp v38, v3 row_shr:2 row_mask:0xf bank_mask:0xf
	v_cndmask_b32_e64 v38, 0, v38, s2
	s_delay_alu instid0(VALU_DEP_1) | instskip(NEXT) | instid1(VALU_DEP_1)
	v_add_nc_u32_e32 v3, v3, v38
	v_mov_b32_dpp v38, v3 row_shr:4 row_mask:0xf bank_mask:0xf
	s_delay_alu instid0(VALU_DEP_1) | instskip(NEXT) | instid1(VALU_DEP_1)
	v_cndmask_b32_e64 v38, 0, v38, s3
	v_add_nc_u32_e32 v3, v3, v38
	s_delay_alu instid0(VALU_DEP_1) | instskip(NEXT) | instid1(VALU_DEP_1)
	v_mov_b32_dpp v38, v3 row_shr:8 row_mask:0xf bank_mask:0xf
	v_cndmask_b32_e64 v38, 0, v38, s4
	s_delay_alu instid0(VALU_DEP_1) | instskip(SKIP_3) | instid1(VALU_DEP_1)
	v_add_nc_u32_e32 v3, v3, v38
	ds_swizzle_b32 v38, v3 offset:swizzle(BROADCAST,32,15)
	s_waitcnt lgkmcnt(0)
	v_cndmask_b32_e64 v38, v38, 0, s5
	v_add_nc_u32_e32 v3, v3, v38
	s_and_saveexec_b32 s11, s10
	s_cbranch_execz .LBB3_12
; %bb.11:                               ;   in Loop: Header=BB3_4 Depth=2
	ds_store_b32 v16, v3
.LBB3_12:                               ;   in Loop: Header=BB3_4 Depth=2
	s_or_b32 exec_lo, exec_lo, s11
	s_waitcnt lgkmcnt(0)
	s_barrier
	buffer_gl0_inv
	s_and_saveexec_b32 s11, s6
	s_cbranch_execz .LBB3_14
; %bb.13:                               ;   in Loop: Header=BB3_4 Depth=2
	ds_load_b32 v38, v17
	s_waitcnt lgkmcnt(0)
	v_mov_b32_dpp v39, v38 row_shr:1 row_mask:0xf bank_mask:0xf
	s_delay_alu instid0(VALU_DEP_1) | instskip(NEXT) | instid1(VALU_DEP_1)
	v_cndmask_b32_e64 v39, v39, 0, s9
	v_add_nc_u32_e32 v38, v39, v38
	ds_store_b32 v17, v38
.LBB3_14:                               ;   in Loop: Header=BB3_4 Depth=2
	s_or_b32 exec_lo, exec_lo, s11
	v_mov_b32_e32 v38, 0
	s_waitcnt lgkmcnt(0)
	s_barrier
	buffer_gl0_inv
	s_and_saveexec_b32 s11, s7
	s_cbranch_execz .LBB3_16
; %bb.15:                               ;   in Loop: Header=BB3_4 Depth=2
	ds_load_b32 v38, v18
.LBB3_16:                               ;   in Loop: Header=BB3_4 Depth=2
	s_or_b32 exec_lo, exec_lo, s11
	s_waitcnt lgkmcnt(0)
	v_add_nc_u32_e32 v3, v38, v3
	s_cmp_gt_u32 s14, 23
	ds_bpermute_b32 v3, v15, v3
	s_waitcnt lgkmcnt(0)
	v_cndmask_b32_e64 v3, v3, v38, s0
	s_delay_alu instid0(VALU_DEP_1) | instskip(NEXT) | instid1(VALU_DEP_1)
	v_cndmask_b32_e64 v3, v3, 0, s8
	v_add_nc_u32_e32 v4, v3, v4
	s_delay_alu instid0(VALU_DEP_1) | instskip(NEXT) | instid1(VALU_DEP_1)
	v_add_nc_u32_e32 v5, v4, v5
	v_add_nc_u32_e32 v6, v5, v6
	s_delay_alu instid0(VALU_DEP_1) | instskip(NEXT) | instid1(VALU_DEP_1)
	v_add_nc_u32_e32 v38, v6, v7
	v_add_nc_u32_e32 v39, v38, v0
	s_delay_alu instid0(VALU_DEP_1) | instskip(NEXT) | instid1(VALU_DEP_1)
	v_add_nc_u32_e32 v0, v39, v1
	v_add_nc_u32_e32 v1, v0, v2
	ds_store_2addr_b64 v13, v[3:4], v[5:6] offset0:1 offset1:2
	ds_store_2addr_b64 v14, v[38:39], v[0:1] offset0:2 offset1:3
	s_waitcnt lgkmcnt(0)
	s_barrier
	buffer_gl0_inv
	ds_load_b32 v0, v31
	ds_load_b32 v1, v34
	;; [unrolled: 1-line block ×3, first 2 shown]
	s_waitcnt lgkmcnt(2)
	v_add_nc_u32_e32 v30, v0, v30
	s_waitcnt lgkmcnt(1)
	v_add3_u32 v7, v33, v32, v1
	s_waitcnt lgkmcnt(0)
	v_add3_u32 v6, v36, v35, v2
	s_cbranch_scc0 .LBB3_3
; %bb.17:                               ;   in Loop: Header=BB3_2 Depth=1
                                        ; implicit-def: $vgpr4
                                        ; implicit-def: $vgpr1
                                        ; implicit-def: $vgpr5
                                        ; implicit-def: $vgpr3
                                        ; implicit-def: $sgpr14
	s_branch .LBB3_1
.LBB3_18:
	s_waitcnt lgkmcnt(1)
	v_add_nc_u32_e32 v0, v4, v2
	v_add_nc_u32_e32 v2, v5, v3
	v_lshlrev_b32_e32 v3, 2, v8
	s_waitcnt lgkmcnt(0)
	v_add_nc_u32_e32 v1, v1, v6
	s_add_u32 s0, s18, s12
	s_addc_u32 s1, s19, s13
	s_clause 0x2
	global_store_b32 v3, v0, s[0:1]
	global_store_b32 v3, v2, s[0:1] offset:256
	global_store_b32 v3, v1, s[0:1] offset:512
	s_nop 0
	s_sendmsg sendmsg(MSG_DEALLOC_VGPRS)
	s_endpgm
	.section	.rodata,"a",@progbits
	.p2align	6, 0x0
	.amdhsa_kernel _Z17sort_pairs_kernelI22helper_blocked_blockediLj64ELj3ELj10EEvPKT0_PS1_
		.amdhsa_group_segment_fixed_size 2064
		.amdhsa_private_segment_fixed_size 0
		.amdhsa_kernarg_size 272
		.amdhsa_user_sgpr_count 15
		.amdhsa_user_sgpr_dispatch_ptr 0
		.amdhsa_user_sgpr_queue_ptr 0
		.amdhsa_user_sgpr_kernarg_segment_ptr 1
		.amdhsa_user_sgpr_dispatch_id 0
		.amdhsa_user_sgpr_private_segment_size 0
		.amdhsa_wavefront_size32 1
		.amdhsa_uses_dynamic_stack 0
		.amdhsa_enable_private_segment 0
		.amdhsa_system_sgpr_workgroup_id_x 1
		.amdhsa_system_sgpr_workgroup_id_y 0
		.amdhsa_system_sgpr_workgroup_id_z 0
		.amdhsa_system_sgpr_workgroup_info 0
		.amdhsa_system_vgpr_workitem_id 2
		.amdhsa_next_free_vgpr 40
		.amdhsa_next_free_sgpr 22
		.amdhsa_reserve_vcc 1
		.amdhsa_float_round_mode_32 0
		.amdhsa_float_round_mode_16_64 0
		.amdhsa_float_denorm_mode_32 3
		.amdhsa_float_denorm_mode_16_64 3
		.amdhsa_dx10_clamp 1
		.amdhsa_ieee_mode 1
		.amdhsa_fp16_overflow 0
		.amdhsa_workgroup_processor_mode 1
		.amdhsa_memory_ordered 1
		.amdhsa_forward_progress 0
		.amdhsa_shared_vgpr_count 0
		.amdhsa_exception_fp_ieee_invalid_op 0
		.amdhsa_exception_fp_denorm_src 0
		.amdhsa_exception_fp_ieee_div_zero 0
		.amdhsa_exception_fp_ieee_overflow 0
		.amdhsa_exception_fp_ieee_underflow 0
		.amdhsa_exception_fp_ieee_inexact 0
		.amdhsa_exception_int_div_zero 0
	.end_amdhsa_kernel
	.section	.text._Z17sort_pairs_kernelI22helper_blocked_blockediLj64ELj3ELj10EEvPKT0_PS1_,"axG",@progbits,_Z17sort_pairs_kernelI22helper_blocked_blockediLj64ELj3ELj10EEvPKT0_PS1_,comdat
.Lfunc_end3:
	.size	_Z17sort_pairs_kernelI22helper_blocked_blockediLj64ELj3ELj10EEvPKT0_PS1_, .Lfunc_end3-_Z17sort_pairs_kernelI22helper_blocked_blockediLj64ELj3ELj10EEvPKT0_PS1_
                                        ; -- End function
	.section	.AMDGPU.csdata,"",@progbits
; Kernel info:
; codeLenInByte = 2536
; NumSgprs: 24
; NumVgprs: 40
; ScratchSize: 0
; MemoryBound: 0
; FloatMode: 240
; IeeeMode: 1
; LDSByteSize: 2064 bytes/workgroup (compile time only)
; SGPRBlocks: 2
; VGPRBlocks: 4
; NumSGPRsForWavesPerEU: 24
; NumVGPRsForWavesPerEU: 40
; Occupancy: 16
; WaveLimiterHint : 1
; COMPUTE_PGM_RSRC2:SCRATCH_EN: 0
; COMPUTE_PGM_RSRC2:USER_SGPR: 15
; COMPUTE_PGM_RSRC2:TRAP_HANDLER: 0
; COMPUTE_PGM_RSRC2:TGID_X_EN: 1
; COMPUTE_PGM_RSRC2:TGID_Y_EN: 0
; COMPUTE_PGM_RSRC2:TGID_Z_EN: 0
; COMPUTE_PGM_RSRC2:TIDIG_COMP_CNT: 2
	.section	.text._Z16sort_keys_kernelI22helper_blocked_blockediLj64ELj4ELj10EEvPKT0_PS1_,"axG",@progbits,_Z16sort_keys_kernelI22helper_blocked_blockediLj64ELj4ELj10EEvPKT0_PS1_,comdat
	.protected	_Z16sort_keys_kernelI22helper_blocked_blockediLj64ELj4ELj10EEvPKT0_PS1_ ; -- Begin function _Z16sort_keys_kernelI22helper_blocked_blockediLj64ELj4ELj10EEvPKT0_PS1_
	.globl	_Z16sort_keys_kernelI22helper_blocked_blockediLj64ELj4ELj10EEvPKT0_PS1_
	.p2align	8
	.type	_Z16sort_keys_kernelI22helper_blocked_blockediLj64ELj4ELj10EEvPKT0_PS1_,@function
_Z16sort_keys_kernelI22helper_blocked_blockediLj64ELj4ELj10EEvPKT0_PS1_: ; @_Z16sort_keys_kernelI22helper_blocked_blockediLj64ELj4ELj10EEvPKT0_PS1_
; %bb.0:
	s_clause 0x1
	s_load_b128 s[16:19], s[0:1], 0x0
	s_load_b32 s2, s[0:1], 0x1c
	s_mov_b32 s23, 0
	s_lshl_b32 s22, s15, 8
	v_mbcnt_lo_u32_b32 v9, -1, 0
	s_lshl_b64 s[20:21], s[22:23], 2
	s_mov_b32 s22, s23
	v_and_b32_e32 v8, 0x3ff, v0
	v_bfe_u32 v5, v0, 10, 10
	v_bfe_u32 v0, v0, 20, 10
	s_mov_b32 s14, s23
	s_mov_b32 s15, s23
	v_lshlrev_b32_e32 v7, 2, v8
	v_dual_mov_b32 v11, s14 :: v_dual_and_b32 v10, 3, v9
	v_and_b32_e32 v13, 28, v9
	v_cmp_eq_u32_e64 s11, 0, v9
	v_mov_b32_e32 v12, s15
	s_waitcnt lgkmcnt(0)
	s_add_u32 s0, s16, s20
	s_addc_u32 s1, s17, s21
	s_clause 0x3
	global_load_b32 v2, v7, s[0:1]
	global_load_b32 v3, v7, s[0:1] offset:256
	global_load_b32 v4, v7, s[0:1] offset:512
	;; [unrolled: 1-line block ×3, first 2 shown]
	s_lshr_b32 s1, s2, 16
	s_and_b32 s2, s2, 0xffff
	v_mad_u32_u24 v0, v0, s1, v5
	v_cmp_eq_u32_e64 s0, 3, v10
	v_cmp_eq_u32_e64 s1, 2, v10
	s_delay_alu instid0(VALU_DEP_3) | instskip(SKIP_4) | instid1(VALU_DEP_4)
	v_mad_u64_u32 v[5:6], null, v0, s2, v[8:9]
	v_add_nc_u32_e32 v6, -1, v9
	v_and_b32_e32 v0, 15, v9
	v_cmp_eq_u32_e64 s2, 1, v10
	v_or_b32_e32 v10, 31, v8
	v_cmp_gt_i32_e32 vcc_lo, 0, v6
	v_lshrrev_b32_e32 v19, 5, v5
	v_and_b32_e32 v5, 16, v9
	v_cmp_eq_u32_e64 s3, 0, v0
	v_cmp_lt_u32_e64 s4, 1, v0
	v_cmp_lt_u32_e64 s5, 3, v0
	v_cmp_lt_u32_e64 s6, 7, v0
	v_cmp_eq_u32_e64 s7, 0, v5
	v_cndmask_b32_e32 v0, v6, v9, vcc_lo
	v_lshrrev_b32_e32 v5, 3, v8
	v_cmp_eq_u32_e64 s8, v10, v8
	s_delay_alu instid0(VALU_DEP_3) | instskip(SKIP_1) | instid1(VALU_DEP_4)
	v_lshlrev_b32_e32 v20, 2, v0
	v_and_b32_e32 v0, 1, v9
	v_and_b32_e32 v21, 4, v5
	v_and_or_b32 v5, 0x80, v7, v9
	v_dual_mov_b32 v9, s22 :: v_dual_lshlrev_b32 v14, 5, v8
	s_delay_alu instid0(VALU_DEP_4)
	v_cmp_eq_u32_e64 s13, 0, v0
	v_mul_u32_u24_e32 v0, 12, v8
	v_cmp_gt_u32_e64 s9, 2, v8
	v_cmp_lt_u32_e64 s10, 31, v8
	v_mad_i32_i24 v22, 0xffffffe4, v8, v14
	v_or_b32_e32 v18, 8, v14
	v_cmp_eq_u32_e64 s12, 0, v8
	v_add_nc_u32_e32 v23, -4, v21
	v_lshlrev_b32_e32 v24, 2, v5
	v_mov_b32_e32 v10, s23
	v_or_b32_e32 v15, 32, v13
	v_or_b32_e32 v16, 64, v13
	v_or_b32_e32 v17, 0x60, v13
	v_add_nc_u32_e32 v25, v22, v0
	s_branch .LBB4_2
.LBB4_1:                                ;   in Loop: Header=BB4_2 Depth=1
	v_lshlrev_b32_e32 v0, 2, v7
	v_lshlrev_b32_e32 v1, 2, v6
	;; [unrolled: 1-line block ×4, first 2 shown]
	s_barrier
	buffer_gl0_inv
	ds_store_b32 v0, v26
	ds_store_b32 v1, v29
	;; [unrolled: 1-line block ×4, first 2 shown]
	s_waitcnt lgkmcnt(0)
	s_barrier
	buffer_gl0_inv
	ds_load_2addr_b64 v[2:5], v25 offset1:1
	s_add_i32 s23, s23, 1
	s_delay_alu instid0(SALU_CYCLE_1)
	s_cmp_eq_u32 s23, 10
	s_waitcnt lgkmcnt(0)
	v_xor_b32_e32 v2, 0x80000000, v2
	v_xor_b32_e32 v3, 0x80000000, v3
	;; [unrolled: 1-line block ×4, first 2 shown]
	s_cbranch_scc1 .LBB4_20
.LBB4_2:                                ; =>This Loop Header: Depth=1
                                        ;     Child Loop BB4_4 Depth 2
	s_waitcnt vmcnt(3)
	v_xor_b32_e32 v0, 0x80000000, v2
	s_waitcnt vmcnt(2)
	v_xor_b32_e32 v2, 0x80000000, v3
	;; [unrolled: 2-line block ×4, first 2 shown]
	s_mov_b32 s15, 0
	ds_bpermute_b32 v4, v13, v0
	ds_bpermute_b32 v5, v13, v2
	;; [unrolled: 1-line block ×16, first 2 shown]
	s_waitcnt lgkmcnt(0)
	s_barrier
	v_cndmask_b32_e64 v1, v4, v5, s2
	v_cndmask_b32_e64 v4, v6, v7, s2
	;; [unrolled: 1-line block ×4, first 2 shown]
	s_delay_alu instid0(VALU_DEP_4) | instskip(NEXT) | instid1(VALU_DEP_4)
	v_cndmask_b32_e64 v1, v1, v28, s1
	v_cndmask_b32_e64 v2, v4, v29, s1
	s_delay_alu instid0(VALU_DEP_4) | instskip(NEXT) | instid1(VALU_DEP_4)
	v_cndmask_b32_e64 v4, v5, v30, s1
	v_cndmask_b32_e64 v3, v0, v3, s1
	;; [unrolled: 3-line block ×4, first 2 shown]
	s_branch .LBB4_4
.LBB4_3:                                ;   in Loop: Header=BB4_4 Depth=2
	v_lshlrev_b32_e32 v0, 2, v7
	v_lshlrev_b32_e32 v1, 2, v6
	v_lshlrev_b32_e32 v2, 2, v5
	v_lshlrev_b32_e32 v3, 2, v4
	s_barrier
	buffer_gl0_inv
	ds_store_b32 v0, v26
	ds_store_b32 v1, v29
	;; [unrolled: 1-line block ×4, first 2 shown]
	s_waitcnt lgkmcnt(0)
	s_barrier
	buffer_gl0_inv
	ds_load_2addr_b32 v[0:1], v24 offset1:32
	ds_load_2addr_b32 v[2:3], v24 offset0:64 offset1:96
	s_add_i32 s15, s15, 8
	s_waitcnt lgkmcnt(0)
	s_barrier
	s_cbranch_execz .LBB4_1
.LBB4_4:                                ;   Parent Loop BB4_2 Depth=1
                                        ; =>  This Inner Loop Header: Depth=2
	v_mov_b32_e32 v26, v0
	buffer_gl0_inv
	ds_store_2addr_b64 v14, v[9:10], v[11:12] offset0:1 offset1:2
	ds_store_2addr_b64 v18, v[9:10], v[11:12] offset0:2 offset1:3
	s_waitcnt lgkmcnt(0)
	s_barrier
	v_lshrrev_b32_e32 v4, s15, v26
	buffer_gl0_inv
	; wave barrier
	v_lshlrev_b32_e32 v7, 29, v4
	v_bfe_u32 v0, v26, s15, 1
	v_lshlrev_b32_e32 v6, 30, v4
	v_lshlrev_b32_e32 v27, 28, v4
	;; [unrolled: 1-line block ×4, first 2 shown]
	v_add_co_u32 v0, s14, v0, -1
	s_delay_alu instid0(VALU_DEP_1) | instskip(SKIP_3) | instid1(VALU_DEP_4)
	v_cndmask_b32_e64 v5, 0, 1, s14
	v_cmp_gt_i32_e64 s14, 0, v6
	v_lshlrev_b32_e32 v30, 25, v4
	v_lshlrev_b32_e32 v4, 24, v4
	v_cmp_ne_u32_e32 vcc_lo, 0, v5
	v_not_b32_e32 v5, v6
	v_not_b32_e32 v6, v7
	v_xor_b32_e32 v0, vcc_lo, v0
	s_delay_alu instid0(VALU_DEP_3)
	v_ashrrev_i32_e32 v5, 31, v5
	v_cmp_gt_i32_e32 vcc_lo, 0, v7
	v_not_b32_e32 v7, v27
	v_ashrrev_i32_e32 v6, 31, v6
	v_and_b32_e32 v0, exec_lo, v0
	v_xor_b32_e32 v5, s14, v5
	v_cmp_gt_i32_e64 s14, 0, v27
	v_ashrrev_i32_e32 v7, 31, v7
	v_xor_b32_e32 v6, vcc_lo, v6
	s_delay_alu instid0(VALU_DEP_4) | instskip(SKIP_1) | instid1(VALU_DEP_4)
	v_and_b32_e32 v0, v0, v5
	v_not_b32_e32 v5, v29
	v_xor_b32_e32 v7, s14, v7
	v_cmp_gt_i32_e64 s14, 0, v29
	v_mov_b32_e32 v29, v1
	v_not_b32_e32 v27, v28
	v_cmp_gt_i32_e32 vcc_lo, 0, v28
	v_and_b32_e32 v0, v0, v6
	v_not_b32_e32 v6, v30
	v_ashrrev_i32_e32 v5, 31, v5
	v_ashrrev_i32_e32 v27, 31, v27
	v_bfe_u32 v1, v26, s15, 8
	v_and_b32_e32 v0, v0, v7
	v_not_b32_e32 v7, v4
	v_ashrrev_i32_e32 v6, 31, v6
	v_xor_b32_e32 v27, vcc_lo, v27
	v_cmp_gt_i32_e32 vcc_lo, 0, v30
	v_xor_b32_e32 v5, s14, v5
	v_cmp_gt_i32_e64 s14, 0, v4
	v_ashrrev_i32_e32 v4, 31, v7
	v_and_b32_e32 v0, v0, v27
	v_xor_b32_e32 v6, vcc_lo, v6
	v_lshl_add_u32 v1, v1, 1, v19
	v_mov_b32_e32 v27, v3
	v_xor_b32_e32 v4, s14, v4
	v_and_b32_e32 v0, v0, v5
	v_mov_b32_e32 v28, v2
	v_lshl_add_u32 v31, v1, 2, 8
	s_delay_alu instid0(VALU_DEP_3) | instskip(NEXT) | instid1(VALU_DEP_1)
	v_and_b32_e32 v0, v0, v6
	v_and_b32_e32 v0, v0, v4
	s_delay_alu instid0(VALU_DEP_1) | instskip(SKIP_1) | instid1(VALU_DEP_2)
	v_mbcnt_lo_u32_b32 v30, v0, 0
	v_cmp_ne_u32_e64 s14, 0, v0
	v_cmp_eq_u32_e32 vcc_lo, 0, v30
	s_delay_alu instid0(VALU_DEP_2) | instskip(NEXT) | instid1(SALU_CYCLE_1)
	s_and_b32 s16, s14, vcc_lo
	s_and_saveexec_b32 s14, s16
	s_cbranch_execz .LBB4_6
; %bb.5:                                ;   in Loop: Header=BB4_4 Depth=2
	v_bcnt_u32_b32 v0, v0, 0
	ds_store_b32 v31, v0
.LBB4_6:                                ;   in Loop: Header=BB4_4 Depth=2
	s_or_b32 exec_lo, exec_lo, s14
	v_bfe_u32 v0, v29, s15, 1
	v_lshrrev_b32_e32 v1, s15, v29
	; wave barrier
	s_delay_alu instid0(VALU_DEP_2) | instskip(NEXT) | instid1(VALU_DEP_1)
	v_add_co_u32 v0, s14, v0, -1
	v_cndmask_b32_e64 v2, 0, 1, s14
	s_delay_alu instid0(VALU_DEP_3)
	v_lshlrev_b32_e32 v3, 30, v1
	v_lshlrev_b32_e32 v4, 29, v1
	;; [unrolled: 1-line block ×4, first 2 shown]
	v_cmp_ne_u32_e32 vcc_lo, 0, v2
	v_not_b32_e32 v2, v3
	v_cmp_gt_i32_e64 s14, 0, v3
	v_not_b32_e32 v3, v4
	v_lshlrev_b32_e32 v7, 26, v1
	v_xor_b32_e32 v0, vcc_lo, v0
	v_ashrrev_i32_e32 v2, 31, v2
	v_cmp_gt_i32_e32 vcc_lo, 0, v4
	v_not_b32_e32 v4, v5
	v_ashrrev_i32_e32 v3, 31, v3
	v_and_b32_e32 v0, exec_lo, v0
	v_xor_b32_e32 v2, s14, v2
	v_cmp_gt_i32_e64 s14, 0, v5
	v_not_b32_e32 v5, v6
	v_ashrrev_i32_e32 v4, 31, v4
	v_xor_b32_e32 v3, vcc_lo, v3
	v_and_b32_e32 v0, v0, v2
	v_cmp_gt_i32_e32 vcc_lo, 0, v6
	v_not_b32_e32 v2, v7
	v_ashrrev_i32_e32 v5, 31, v5
	v_xor_b32_e32 v4, s14, v4
	v_and_b32_e32 v0, v0, v3
	v_lshlrev_b32_e32 v3, 25, v1
	v_cmp_gt_i32_e64 s14, 0, v7
	v_ashrrev_i32_e32 v2, 31, v2
	v_xor_b32_e32 v5, vcc_lo, v5
	v_and_b32_e32 v0, v0, v4
	v_not_b32_e32 v6, v3
	v_lshlrev_b32_e32 v1, 24, v1
	v_bfe_u32 v4, v29, s15, 8
	v_xor_b32_e32 v2, s14, v2
	v_and_b32_e32 v0, v0, v5
	v_cmp_gt_i32_e32 vcc_lo, 0, v3
	v_ashrrev_i32_e32 v3, 31, v6
	v_not_b32_e32 v5, v1
	v_lshlrev_b32_e32 v4, 1, v4
	v_and_b32_e32 v0, v0, v2
	s_delay_alu instid0(VALU_DEP_4) | instskip(SKIP_3) | instid1(VALU_DEP_4)
	v_xor_b32_e32 v2, vcc_lo, v3
	v_cmp_gt_i32_e32 vcc_lo, 0, v1
	v_ashrrev_i32_e32 v1, 31, v5
	v_add_lshl_u32 v3, v4, v19, 2
	v_and_b32_e32 v0, v0, v2
	s_delay_alu instid0(VALU_DEP_3) | instskip(SKIP_3) | instid1(VALU_DEP_1)
	v_xor_b32_e32 v1, vcc_lo, v1
	ds_load_b32 v32, v3 offset:8
	v_add_nc_u32_e32 v34, 8, v3
	; wave barrier
	v_and_b32_e32 v0, v0, v1
	v_mbcnt_lo_u32_b32 v33, v0, 0
	v_cmp_ne_u32_e64 s14, 0, v0
	s_delay_alu instid0(VALU_DEP_2) | instskip(NEXT) | instid1(VALU_DEP_2)
	v_cmp_eq_u32_e32 vcc_lo, 0, v33
	s_and_b32 s16, s14, vcc_lo
	s_delay_alu instid0(SALU_CYCLE_1)
	s_and_saveexec_b32 s14, s16
	s_cbranch_execz .LBB4_8
; %bb.7:                                ;   in Loop: Header=BB4_4 Depth=2
	s_waitcnt lgkmcnt(0)
	v_bcnt_u32_b32 v0, v0, v32
	ds_store_b32 v34, v0
.LBB4_8:                                ;   in Loop: Header=BB4_4 Depth=2
	s_or_b32 exec_lo, exec_lo, s14
	v_bfe_u32 v0, v28, s15, 1
	v_lshrrev_b32_e32 v1, s15, v28
	; wave barrier
	s_delay_alu instid0(VALU_DEP_2) | instskip(NEXT) | instid1(VALU_DEP_1)
	v_add_co_u32 v0, s14, v0, -1
	v_cndmask_b32_e64 v2, 0, 1, s14
	s_delay_alu instid0(VALU_DEP_3)
	v_lshlrev_b32_e32 v3, 30, v1
	v_lshlrev_b32_e32 v4, 29, v1
	;; [unrolled: 1-line block ×4, first 2 shown]
	v_cmp_ne_u32_e32 vcc_lo, 0, v2
	v_not_b32_e32 v2, v3
	v_cmp_gt_i32_e64 s14, 0, v3
	v_not_b32_e32 v3, v4
	v_lshlrev_b32_e32 v7, 26, v1
	v_xor_b32_e32 v0, vcc_lo, v0
	v_ashrrev_i32_e32 v2, 31, v2
	v_cmp_gt_i32_e32 vcc_lo, 0, v4
	v_not_b32_e32 v4, v5
	v_ashrrev_i32_e32 v3, 31, v3
	v_and_b32_e32 v0, exec_lo, v0
	v_xor_b32_e32 v2, s14, v2
	v_cmp_gt_i32_e64 s14, 0, v5
	v_not_b32_e32 v5, v6
	v_ashrrev_i32_e32 v4, 31, v4
	v_xor_b32_e32 v3, vcc_lo, v3
	v_and_b32_e32 v0, v0, v2
	v_cmp_gt_i32_e32 vcc_lo, 0, v6
	v_not_b32_e32 v2, v7
	v_ashrrev_i32_e32 v5, 31, v5
	v_xor_b32_e32 v4, s14, v4
	v_and_b32_e32 v0, v0, v3
	v_lshlrev_b32_e32 v3, 25, v1
	v_cmp_gt_i32_e64 s14, 0, v7
	v_ashrrev_i32_e32 v2, 31, v2
	v_xor_b32_e32 v5, vcc_lo, v5
	v_and_b32_e32 v0, v0, v4
	v_not_b32_e32 v6, v3
	v_lshlrev_b32_e32 v1, 24, v1
	v_bfe_u32 v4, v28, s15, 8
	v_xor_b32_e32 v2, s14, v2
	v_and_b32_e32 v0, v0, v5
	v_cmp_gt_i32_e32 vcc_lo, 0, v3
	v_ashrrev_i32_e32 v3, 31, v6
	v_not_b32_e32 v5, v1
	v_lshlrev_b32_e32 v4, 1, v4
	v_and_b32_e32 v0, v0, v2
	s_delay_alu instid0(VALU_DEP_4) | instskip(SKIP_3) | instid1(VALU_DEP_4)
	v_xor_b32_e32 v2, vcc_lo, v3
	v_cmp_gt_i32_e32 vcc_lo, 0, v1
	v_ashrrev_i32_e32 v1, 31, v5
	v_add_lshl_u32 v3, v4, v19, 2
	v_and_b32_e32 v0, v0, v2
	s_delay_alu instid0(VALU_DEP_3) | instskip(SKIP_3) | instid1(VALU_DEP_1)
	v_xor_b32_e32 v1, vcc_lo, v1
	ds_load_b32 v35, v3 offset:8
	v_add_nc_u32_e32 v37, 8, v3
	; wave barrier
	v_and_b32_e32 v0, v0, v1
	v_mbcnt_lo_u32_b32 v36, v0, 0
	v_cmp_ne_u32_e64 s14, 0, v0
	s_delay_alu instid0(VALU_DEP_2) | instskip(NEXT) | instid1(VALU_DEP_2)
	v_cmp_eq_u32_e32 vcc_lo, 0, v36
	s_and_b32 s16, s14, vcc_lo
	s_delay_alu instid0(SALU_CYCLE_1)
	s_and_saveexec_b32 s14, s16
	s_cbranch_execz .LBB4_10
; %bb.9:                                ;   in Loop: Header=BB4_4 Depth=2
	s_waitcnt lgkmcnt(0)
	v_bcnt_u32_b32 v0, v0, v35
	ds_store_b32 v37, v0
.LBB4_10:                               ;   in Loop: Header=BB4_4 Depth=2
	s_or_b32 exec_lo, exec_lo, s14
	v_bfe_u32 v0, v27, s15, 1
	v_lshrrev_b32_e32 v1, s15, v27
	; wave barrier
	s_delay_alu instid0(VALU_DEP_2) | instskip(NEXT) | instid1(VALU_DEP_1)
	v_add_co_u32 v0, s14, v0, -1
	v_cndmask_b32_e64 v2, 0, 1, s14
	s_delay_alu instid0(VALU_DEP_3)
	v_lshlrev_b32_e32 v3, 30, v1
	v_lshlrev_b32_e32 v4, 29, v1
	;; [unrolled: 1-line block ×4, first 2 shown]
	v_cmp_ne_u32_e32 vcc_lo, 0, v2
	v_not_b32_e32 v2, v3
	v_cmp_gt_i32_e64 s14, 0, v3
	v_not_b32_e32 v3, v4
	v_lshlrev_b32_e32 v7, 26, v1
	v_xor_b32_e32 v0, vcc_lo, v0
	v_ashrrev_i32_e32 v2, 31, v2
	v_cmp_gt_i32_e32 vcc_lo, 0, v4
	v_not_b32_e32 v4, v5
	v_ashrrev_i32_e32 v3, 31, v3
	v_and_b32_e32 v0, exec_lo, v0
	v_xor_b32_e32 v2, s14, v2
	v_cmp_gt_i32_e64 s14, 0, v5
	v_not_b32_e32 v5, v6
	v_ashrrev_i32_e32 v4, 31, v4
	v_xor_b32_e32 v3, vcc_lo, v3
	v_and_b32_e32 v0, v0, v2
	v_cmp_gt_i32_e32 vcc_lo, 0, v6
	v_not_b32_e32 v2, v7
	v_ashrrev_i32_e32 v5, 31, v5
	v_xor_b32_e32 v4, s14, v4
	v_and_b32_e32 v0, v0, v3
	v_lshlrev_b32_e32 v3, 25, v1
	v_cmp_gt_i32_e64 s14, 0, v7
	v_ashrrev_i32_e32 v2, 31, v2
	v_xor_b32_e32 v5, vcc_lo, v5
	v_and_b32_e32 v0, v0, v4
	v_not_b32_e32 v6, v3
	v_lshlrev_b32_e32 v1, 24, v1
	v_bfe_u32 v4, v27, s15, 8
	v_xor_b32_e32 v2, s14, v2
	v_and_b32_e32 v0, v0, v5
	v_cmp_gt_i32_e32 vcc_lo, 0, v3
	v_ashrrev_i32_e32 v3, 31, v6
	v_not_b32_e32 v5, v1
	v_lshlrev_b32_e32 v4, 1, v4
	v_and_b32_e32 v0, v0, v2
	s_delay_alu instid0(VALU_DEP_4) | instskip(SKIP_3) | instid1(VALU_DEP_4)
	v_xor_b32_e32 v2, vcc_lo, v3
	v_cmp_gt_i32_e32 vcc_lo, 0, v1
	v_ashrrev_i32_e32 v1, 31, v5
	v_add_lshl_u32 v3, v4, v19, 2
	v_and_b32_e32 v0, v0, v2
	s_delay_alu instid0(VALU_DEP_3) | instskip(SKIP_3) | instid1(VALU_DEP_1)
	v_xor_b32_e32 v1, vcc_lo, v1
	ds_load_b32 v38, v3 offset:8
	v_add_nc_u32_e32 v40, 8, v3
	; wave barrier
	v_and_b32_e32 v0, v0, v1
	v_mbcnt_lo_u32_b32 v39, v0, 0
	v_cmp_ne_u32_e64 s14, 0, v0
	s_delay_alu instid0(VALU_DEP_2) | instskip(NEXT) | instid1(VALU_DEP_2)
	v_cmp_eq_u32_e32 vcc_lo, 0, v39
	s_and_b32 s16, s14, vcc_lo
	s_delay_alu instid0(SALU_CYCLE_1)
	s_and_saveexec_b32 s14, s16
	s_cbranch_execz .LBB4_12
; %bb.11:                               ;   in Loop: Header=BB4_4 Depth=2
	s_waitcnt lgkmcnt(0)
	v_bcnt_u32_b32 v0, v0, v38
	ds_store_b32 v40, v0
.LBB4_12:                               ;   in Loop: Header=BB4_4 Depth=2
	s_or_b32 exec_lo, exec_lo, s14
	; wave barrier
	s_waitcnt lgkmcnt(0)
	s_barrier
	buffer_gl0_inv
	ds_load_2addr_b64 v[4:7], v14 offset0:1 offset1:2
	ds_load_2addr_b64 v[0:3], v18 offset0:2 offset1:3
	s_waitcnt lgkmcnt(1)
	v_add_nc_u32_e32 v41, v5, v4
	s_delay_alu instid0(VALU_DEP_1) | instskip(SKIP_1) | instid1(VALU_DEP_1)
	v_add3_u32 v41, v41, v6, v7
	s_waitcnt lgkmcnt(0)
	v_add3_u32 v41, v41, v0, v1
	s_delay_alu instid0(VALU_DEP_1) | instskip(NEXT) | instid1(VALU_DEP_1)
	v_add3_u32 v3, v41, v2, v3
	v_mov_b32_dpp v41, v3 row_shr:1 row_mask:0xf bank_mask:0xf
	s_delay_alu instid0(VALU_DEP_1) | instskip(NEXT) | instid1(VALU_DEP_1)
	v_cndmask_b32_e64 v41, v41, 0, s3
	v_add_nc_u32_e32 v3, v41, v3
	s_delay_alu instid0(VALU_DEP_1) | instskip(NEXT) | instid1(VALU_DEP_1)
	v_mov_b32_dpp v41, v3 row_shr:2 row_mask:0xf bank_mask:0xf
	v_cndmask_b32_e64 v41, 0, v41, s4
	s_delay_alu instid0(VALU_DEP_1) | instskip(NEXT) | instid1(VALU_DEP_1)
	v_add_nc_u32_e32 v3, v3, v41
	v_mov_b32_dpp v41, v3 row_shr:4 row_mask:0xf bank_mask:0xf
	s_delay_alu instid0(VALU_DEP_1) | instskip(NEXT) | instid1(VALU_DEP_1)
	v_cndmask_b32_e64 v41, 0, v41, s5
	v_add_nc_u32_e32 v3, v3, v41
	s_delay_alu instid0(VALU_DEP_1) | instskip(NEXT) | instid1(VALU_DEP_1)
	v_mov_b32_dpp v41, v3 row_shr:8 row_mask:0xf bank_mask:0xf
	v_cndmask_b32_e64 v41, 0, v41, s6
	s_delay_alu instid0(VALU_DEP_1) | instskip(SKIP_3) | instid1(VALU_DEP_1)
	v_add_nc_u32_e32 v3, v3, v41
	ds_swizzle_b32 v41, v3 offset:swizzle(BROADCAST,32,15)
	s_waitcnt lgkmcnt(0)
	v_cndmask_b32_e64 v41, v41, 0, s7
	v_add_nc_u32_e32 v3, v3, v41
	s_and_saveexec_b32 s14, s8
	s_cbranch_execz .LBB4_14
; %bb.13:                               ;   in Loop: Header=BB4_4 Depth=2
	ds_store_b32 v21, v3
.LBB4_14:                               ;   in Loop: Header=BB4_4 Depth=2
	s_or_b32 exec_lo, exec_lo, s14
	s_waitcnt lgkmcnt(0)
	s_barrier
	buffer_gl0_inv
	s_and_saveexec_b32 s14, s9
	s_cbranch_execz .LBB4_16
; %bb.15:                               ;   in Loop: Header=BB4_4 Depth=2
	ds_load_b32 v41, v22
	s_waitcnt lgkmcnt(0)
	v_mov_b32_dpp v42, v41 row_shr:1 row_mask:0xf bank_mask:0xf
	s_delay_alu instid0(VALU_DEP_1) | instskip(NEXT) | instid1(VALU_DEP_1)
	v_cndmask_b32_e64 v42, v42, 0, s13
	v_add_nc_u32_e32 v41, v42, v41
	ds_store_b32 v22, v41
.LBB4_16:                               ;   in Loop: Header=BB4_4 Depth=2
	s_or_b32 exec_lo, exec_lo, s14
	v_mov_b32_e32 v41, 0
	s_waitcnt lgkmcnt(0)
	s_barrier
	buffer_gl0_inv
	s_and_saveexec_b32 s14, s10
	s_cbranch_execz .LBB4_18
; %bb.17:                               ;   in Loop: Header=BB4_4 Depth=2
	ds_load_b32 v41, v23
.LBB4_18:                               ;   in Loop: Header=BB4_4 Depth=2
	s_or_b32 exec_lo, exec_lo, s14
	s_waitcnt lgkmcnt(0)
	v_add_nc_u32_e32 v3, v41, v3
	s_cmp_gt_u32 s15, 23
	ds_bpermute_b32 v3, v20, v3
	s_waitcnt lgkmcnt(0)
	v_cndmask_b32_e64 v3, v3, v41, s11
	s_delay_alu instid0(VALU_DEP_1) | instskip(NEXT) | instid1(VALU_DEP_1)
	v_cndmask_b32_e64 v3, v3, 0, s12
	v_add_nc_u32_e32 v4, v3, v4
	s_delay_alu instid0(VALU_DEP_1) | instskip(NEXT) | instid1(VALU_DEP_1)
	v_add_nc_u32_e32 v5, v4, v5
	v_add_nc_u32_e32 v6, v5, v6
	s_delay_alu instid0(VALU_DEP_1) | instskip(NEXT) | instid1(VALU_DEP_1)
	v_add_nc_u32_e32 v41, v6, v7
	;; [unrolled: 3-line block ×3, first 2 shown]
	v_add_nc_u32_e32 v1, v0, v2
	ds_store_2addr_b64 v14, v[3:4], v[5:6] offset0:1 offset1:2
	ds_store_2addr_b64 v18, v[41:42], v[0:1] offset0:2 offset1:3
	s_waitcnt lgkmcnt(0)
	s_barrier
	buffer_gl0_inv
	ds_load_b32 v0, v31
	ds_load_b32 v1, v34
	;; [unrolled: 1-line block ×4, first 2 shown]
	s_waitcnt lgkmcnt(3)
	v_add_nc_u32_e32 v7, v0, v30
	s_waitcnt lgkmcnt(2)
	v_add3_u32 v6, v33, v32, v1
	s_waitcnt lgkmcnt(1)
	v_add3_u32 v5, v36, v35, v2
	;; [unrolled: 2-line block ×3, first 2 shown]
	s_cbranch_scc0 .LBB4_3
; %bb.19:                               ;   in Loop: Header=BB4_2 Depth=1
                                        ; implicit-def: $vgpr3
                                        ; implicit-def: $vgpr1
                                        ; implicit-def: $sgpr15
	s_branch .LBB4_1
.LBB4_20:
	v_lshlrev_b32_e32 v0, 2, v8
	s_add_u32 s0, s18, s20
	s_addc_u32 s1, s19, s21
	s_clause 0x3
	global_store_b32 v0, v2, s[0:1]
	global_store_b32 v0, v3, s[0:1] offset:256
	global_store_b32 v0, v4, s[0:1] offset:512
	;; [unrolled: 1-line block ×3, first 2 shown]
	s_nop 0
	s_sendmsg sendmsg(MSG_DEALLOC_VGPRS)
	s_endpgm
	.section	.rodata,"a",@progbits
	.p2align	6, 0x0
	.amdhsa_kernel _Z16sort_keys_kernelI22helper_blocked_blockediLj64ELj4ELj10EEvPKT0_PS1_
		.amdhsa_group_segment_fixed_size 2064
		.amdhsa_private_segment_fixed_size 0
		.amdhsa_kernarg_size 272
		.amdhsa_user_sgpr_count 15
		.amdhsa_user_sgpr_dispatch_ptr 0
		.amdhsa_user_sgpr_queue_ptr 0
		.amdhsa_user_sgpr_kernarg_segment_ptr 1
		.amdhsa_user_sgpr_dispatch_id 0
		.amdhsa_user_sgpr_private_segment_size 0
		.amdhsa_wavefront_size32 1
		.amdhsa_uses_dynamic_stack 0
		.amdhsa_enable_private_segment 0
		.amdhsa_system_sgpr_workgroup_id_x 1
		.amdhsa_system_sgpr_workgroup_id_y 0
		.amdhsa_system_sgpr_workgroup_id_z 0
		.amdhsa_system_sgpr_workgroup_info 0
		.amdhsa_system_vgpr_workitem_id 2
		.amdhsa_next_free_vgpr 43
		.amdhsa_next_free_sgpr 24
		.amdhsa_reserve_vcc 1
		.amdhsa_float_round_mode_32 0
		.amdhsa_float_round_mode_16_64 0
		.amdhsa_float_denorm_mode_32 3
		.amdhsa_float_denorm_mode_16_64 3
		.amdhsa_dx10_clamp 1
		.amdhsa_ieee_mode 1
		.amdhsa_fp16_overflow 0
		.amdhsa_workgroup_processor_mode 1
		.amdhsa_memory_ordered 1
		.amdhsa_forward_progress 0
		.amdhsa_shared_vgpr_count 0
		.amdhsa_exception_fp_ieee_invalid_op 0
		.amdhsa_exception_fp_denorm_src 0
		.amdhsa_exception_fp_ieee_div_zero 0
		.amdhsa_exception_fp_ieee_overflow 0
		.amdhsa_exception_fp_ieee_underflow 0
		.amdhsa_exception_fp_ieee_inexact 0
		.amdhsa_exception_int_div_zero 0
	.end_amdhsa_kernel
	.section	.text._Z16sort_keys_kernelI22helper_blocked_blockediLj64ELj4ELj10EEvPKT0_PS1_,"axG",@progbits,_Z16sort_keys_kernelI22helper_blocked_blockediLj64ELj4ELj10EEvPKT0_PS1_,comdat
.Lfunc_end4:
	.size	_Z16sort_keys_kernelI22helper_blocked_blockediLj64ELj4ELj10EEvPKT0_PS1_, .Lfunc_end4-_Z16sort_keys_kernelI22helper_blocked_blockediLj64ELj4ELj10EEvPKT0_PS1_
                                        ; -- End function
	.section	.AMDGPU.csdata,"",@progbits
; Kernel info:
; codeLenInByte = 2936
; NumSgprs: 26
; NumVgprs: 43
; ScratchSize: 0
; MemoryBound: 0
; FloatMode: 240
; IeeeMode: 1
; LDSByteSize: 2064 bytes/workgroup (compile time only)
; SGPRBlocks: 3
; VGPRBlocks: 5
; NumSGPRsForWavesPerEU: 26
; NumVGPRsForWavesPerEU: 43
; Occupancy: 16
; WaveLimiterHint : 1
; COMPUTE_PGM_RSRC2:SCRATCH_EN: 0
; COMPUTE_PGM_RSRC2:USER_SGPR: 15
; COMPUTE_PGM_RSRC2:TRAP_HANDLER: 0
; COMPUTE_PGM_RSRC2:TGID_X_EN: 1
; COMPUTE_PGM_RSRC2:TGID_Y_EN: 0
; COMPUTE_PGM_RSRC2:TGID_Z_EN: 0
; COMPUTE_PGM_RSRC2:TIDIG_COMP_CNT: 2
	.section	.text._Z17sort_pairs_kernelI22helper_blocked_blockediLj64ELj4ELj10EEvPKT0_PS1_,"axG",@progbits,_Z17sort_pairs_kernelI22helper_blocked_blockediLj64ELj4ELj10EEvPKT0_PS1_,comdat
	.protected	_Z17sort_pairs_kernelI22helper_blocked_blockediLj64ELj4ELj10EEvPKT0_PS1_ ; -- Begin function _Z17sort_pairs_kernelI22helper_blocked_blockediLj64ELj4ELj10EEvPKT0_PS1_
	.globl	_Z17sort_pairs_kernelI22helper_blocked_blockediLj64ELj4ELj10EEvPKT0_PS1_
	.p2align	8
	.type	_Z17sort_pairs_kernelI22helper_blocked_blockediLj64ELj4ELj10EEvPKT0_PS1_,@function
_Z17sort_pairs_kernelI22helper_blocked_blockediLj64ELj4ELj10EEvPKT0_PS1_: ; @_Z17sort_pairs_kernelI22helper_blocked_blockediLj64ELj4ELj10EEvPKT0_PS1_
; %bb.0:
	s_clause 0x1
	s_load_b128 s[16:19], s[0:1], 0x0
	s_load_b32 s13, s[0:1], 0x1c
	v_and_b32_e32 v8, 0x3ff, v0
	s_mov_b32 s23, 0
	s_lshl_b32 s22, s15, 8
	v_mbcnt_lo_u32_b32 v3, -1, 0
	s_lshl_b64 s[20:21], s[22:23], 2
	s_mov_b32 s22, s23
	s_delay_alu instid0(SALU_CYCLE_1)
	v_dual_mov_b32 v11, s22 :: v_dual_lshlrev_b32 v2, 2, v8
	v_bfe_u32 v18, v0, 10, 10
	v_bfe_u32 v0, v0, 20, 10
	v_and_b32_e32 v22, 1, v3
	v_add_nc_u32_e32 v21, -1, v3
	v_and_b32_e32 v19, 15, v3
	v_and_b32_e32 v20, 16, v3
	v_dual_mov_b32 v12, s23 :: v_dual_and_b32 v13, 28, v3
	v_cmp_eq_u32_e64 s12, 0, v22
	v_cmp_gt_i32_e32 vcc_lo, 0, v21
	s_waitcnt lgkmcnt(0)
	s_add_u32 s0, s16, s20
	s_addc_u32 s1, s17, s21
	s_lshr_b32 s14, s13, 16
	s_clause 0x3
	global_load_b32 v5, v2, s[0:1]
	global_load_b32 v6, v2, s[0:1] offset:256
	global_load_b32 v7, v2, s[0:1] offset:512
	;; [unrolled: 1-line block ×3, first 2 shown]
	s_mov_b32 s1, s23
	s_mov_b32 s0, s23
	v_dual_mov_b32 v10, s1 :: v_dual_and_b32 v1, 3, v3
	v_mov_b32_e32 v9, s0
	v_mad_u32_u24 v22, v0, s14, v18
	s_and_b32 s13, s13, 0xffff
	v_lshlrev_b32_e32 v17, 5, v8
	v_cmp_eq_u32_e64 s1, 3, v1
	v_cmp_eq_u32_e64 s2, 2, v1
	v_cmp_eq_u32_e64 s3, 1, v1
	v_mad_u64_u32 v[0:1], null, v22, s13, v[8:9]
	v_cmp_eq_u32_e64 s4, 0, v19
	v_cmp_lt_u32_e64 s5, 1, v19
	v_cmp_lt_u32_e64 s6, 3, v19
	;; [unrolled: 1-line block ×3, first 2 shown]
	v_cmp_eq_u32_e64 s8, 0, v20
	v_or_b32_e32 v20, 31, v8
	v_cndmask_b32_e32 v21, v21, v3, vcc_lo
	v_lshrrev_b32_e32 v19, 3, v8
	v_mul_u32_u24_e32 v25, 12, v8
	v_and_or_b32 v1, 0x80, v2, v3
	v_cmp_eq_u32_e64 s13, v20, v8
	v_lshrrev_b32_e32 v24, 5, v0
	v_and_b32_e32 v19, 4, v19
	v_cmp_eq_u32_e64 s0, 0, v3
	v_or_b32_e32 v14, 32, v13
	v_or_b32_e32 v15, 64, v13
	;; [unrolled: 1-line block ×3, first 2 shown]
	v_cmp_gt_u32_e64 s9, 2, v8
	v_cmp_lt_u32_e64 s10, 31, v8
	v_cmp_eq_u32_e64 s11, 0, v8
	v_or_b32_e32 v18, 8, v17
	v_add_nc_u32_e32 v22, -4, v19
	v_lshlrev_b32_e32 v23, 2, v1
	s_waitcnt vmcnt(3)
	v_add_nc_u32_e32 v0, 1, v5
	v_lshlrev_b32_e32 v20, 2, v21
	v_mad_i32_i24 v21, 0xffffffe4, v8, v17
	s_waitcnt vmcnt(2)
	v_add_nc_u32_e32 v1, 1, v6
	s_waitcnt vmcnt(1)
	v_add_nc_u32_e32 v2, 1, v7
	;; [unrolled: 2-line block ×3, first 2 shown]
	v_add_nc_u32_e32 v25, v21, v25
	s_branch .LBB5_2
.LBB5_1:                                ;   in Loop: Header=BB5_2 Depth=1
	v_lshlrev_b32_e32 v0, 2, v38
	v_lshlrev_b32_e32 v1, 2, v36
	;; [unrolled: 1-line block ×4, first 2 shown]
	s_barrier
	buffer_gl0_inv
	ds_store_b32 v0, v26
	ds_store_b32 v1, v33
	;; [unrolled: 1-line block ×4, first 2 shown]
	s_waitcnt lgkmcnt(0)
	s_barrier
	buffer_gl0_inv
	ds_load_2addr_b64 v[32:35], v25 offset1:1
	s_waitcnt lgkmcnt(0)
	s_barrier
	buffer_gl0_inv
	ds_store_b32 v0, v31
	ds_store_b32 v1, v29
	;; [unrolled: 1-line block ×4, first 2 shown]
	s_waitcnt lgkmcnt(0)
	s_barrier
	buffer_gl0_inv
	ds_load_2addr_b64 v[0:3], v25 offset1:1
	s_add_i32 s23, s23, 1
	s_delay_alu instid0(SALU_CYCLE_1)
	s_cmp_eq_u32 s23, 10
	v_xor_b32_e32 v5, 0x80000000, v32
	v_xor_b32_e32 v6, 0x80000000, v33
	;; [unrolled: 1-line block ×4, first 2 shown]
	s_cbranch_scc1 .LBB5_20
.LBB5_2:                                ; =>This Loop Header: Depth=1
                                        ;     Child Loop BB5_4 Depth 2
	v_xor_b32_e32 v5, 0x80000000, v5
	v_xor_b32_e32 v6, 0x80000000, v6
	;; [unrolled: 1-line block ×4, first 2 shown]
	s_waitcnt lgkmcnt(0)
	ds_bpermute_b32 v35, v13, v0
	ds_bpermute_b32 v26, v13, v5
	;; [unrolled: 1-line block ×22, first 2 shown]
	s_waitcnt lgkmcnt(19)
	v_cndmask_b32_e64 v26, v26, v27, s3
	ds_bpermute_b32 v4, v16, v4
	s_waitcnt lgkmcnt(18)
	v_cndmask_b32_e64 v27, v28, v29, s3
	ds_bpermute_b32 v29, v16, v1
	s_waitcnt lgkmcnt(17)
	v_cndmask_b32_e64 v28, v30, v31, s3
	s_waitcnt lgkmcnt(16)
	v_cndmask_b32_e64 v26, v26, v32, s2
	ds_bpermute_b32 v30, v13, v2
	s_waitcnt lgkmcnt(16)
	v_cndmask_b32_e64 v27, v27, v33, s2
	ds_bpermute_b32 v31, v14, v2
	ds_bpermute_b32 v32, v15, v2
	;; [unrolled: 1-line block ×3, first 2 shown]
	s_waitcnt lgkmcnt(18)
	v_cndmask_b32_e64 v28, v28, v34, s2
	ds_bpermute_b32 v34, v13, v3
	ds_bpermute_b32 v44, v14, v3
	;; [unrolled: 1-line block ×4, first 2 shown]
	s_waitcnt lgkmcnt(15)
	v_cndmask_b32_e64 v0, v26, v0, s1
	s_waitcnt lgkmcnt(14)
	v_cndmask_b32_e64 v1, v27, v42, s1
	;; [unrolled: 2-line block ×3, first 2 shown]
	v_cndmask_b32_e64 v5, v35, v36, s3
	v_cndmask_b32_e64 v6, v37, v38, s3
	;; [unrolled: 1-line block ×3, first 2 shown]
	s_waitcnt lgkmcnt(10)
	v_cndmask_b32_e64 v2, v28, v43, s1
	s_waitcnt lgkmcnt(8)
	v_cndmask_b32_e64 v27, v41, v29, s3
	v_cndmask_b32_e64 v3, v3, v7, s2
	s_mov_b32 s15, 0
	s_waitcnt lgkmcnt(7)
	v_cndmask_b32_e64 v5, v5, v30, s2
	s_waitcnt lgkmcnt(0)
	v_cndmask_b32_e64 v6, v6, v31, s2
	v_cndmask_b32_e64 v7, v26, v32, s2
	;; [unrolled: 1-line block ×8, first 2 shown]
	s_barrier
	s_branch .LBB5_4
.LBB5_3:                                ;   in Loop: Header=BB5_4 Depth=2
	v_lshlrev_b32_e32 v4, 2, v38
	v_lshlrev_b32_e32 v5, 2, v36
	;; [unrolled: 1-line block ×4, first 2 shown]
	s_barrier
	buffer_gl0_inv
	ds_store_b32 v4, v26
	ds_store_b32 v5, v33
	;; [unrolled: 1-line block ×4, first 2 shown]
	s_waitcnt lgkmcnt(0)
	s_barrier
	buffer_gl0_inv
	ds_load_2addr_b32 v[0:1], v23 offset1:32
	ds_load_2addr_b32 v[2:3], v23 offset0:64 offset1:96
	s_waitcnt lgkmcnt(0)
	s_barrier
	buffer_gl0_inv
	ds_store_b32 v4, v31
	ds_store_b32 v5, v29
	;; [unrolled: 1-line block ×4, first 2 shown]
	s_waitcnt lgkmcnt(0)
	s_barrier
	buffer_gl0_inv
	ds_load_2addr_b32 v[4:5], v23 offset1:32
	ds_load_2addr_b32 v[6:7], v23 offset0:64 offset1:96
	s_add_i32 s15, s15, 8
	s_waitcnt lgkmcnt(0)
	s_barrier
	s_cbranch_execz .LBB5_1
.LBB5_4:                                ;   Parent Loop BB5_2 Depth=1
                                        ; =>  This Inner Loop Header: Depth=2
	v_mov_b32_e32 v26, v0
	buffer_gl0_inv
	ds_store_2addr_b64 v17, v[11:12], v[9:10] offset0:1 offset1:2
	ds_store_2addr_b64 v18, v[11:12], v[9:10] offset0:2 offset1:3
	s_waitcnt lgkmcnt(0)
	s_barrier
	v_lshrrev_b32_e32 v27, s15, v26
	buffer_gl0_inv
	; wave barrier
	v_lshlrev_b32_e32 v29, 30, v27
	v_bfe_u32 v0, v26, s15, 1
	v_lshlrev_b32_e32 v30, 29, v27
	v_lshlrev_b32_e32 v31, 28, v27
	;; [unrolled: 1-line block ×4, first 2 shown]
	v_add_co_u32 v0, s14, v0, -1
	s_delay_alu instid0(VALU_DEP_1) | instskip(SKIP_3) | instid1(VALU_DEP_4)
	v_cndmask_b32_e64 v28, 0, 1, s14
	v_cmp_gt_i32_e64 s14, 0, v29
	v_lshlrev_b32_e32 v34, 25, v27
	v_lshlrev_b32_e32 v27, 24, v27
	v_cmp_ne_u32_e32 vcc_lo, 0, v28
	v_not_b32_e32 v28, v29
	v_not_b32_e32 v29, v30
	v_xor_b32_e32 v0, vcc_lo, v0
	s_delay_alu instid0(VALU_DEP_3)
	v_ashrrev_i32_e32 v28, 31, v28
	v_cmp_gt_i32_e32 vcc_lo, 0, v30
	v_not_b32_e32 v30, v31
	v_ashrrev_i32_e32 v29, 31, v29
	v_and_b32_e32 v0, exec_lo, v0
	v_xor_b32_e32 v28, s14, v28
	v_cmp_gt_i32_e64 s14, 0, v31
	v_ashrrev_i32_e32 v30, 31, v30
	v_xor_b32_e32 v29, vcc_lo, v29
	s_delay_alu instid0(VALU_DEP_4) | instskip(SKIP_1) | instid1(VALU_DEP_4)
	v_and_b32_e32 v0, v0, v28
	v_not_b32_e32 v28, v33
	v_xor_b32_e32 v30, s14, v30
	v_cmp_gt_i32_e64 s14, 0, v33
	s_delay_alu instid0(VALU_DEP_4) | instskip(NEXT) | instid1(VALU_DEP_4)
	v_dual_mov_b32 v33, v1 :: v_dual_and_b32 v0, v0, v29
	v_ashrrev_i32_e32 v28, 31, v28
	v_not_b32_e32 v29, v34
	v_bfe_u32 v1, v26, s15, 8
	s_delay_alu instid0(VALU_DEP_4)
	v_and_b32_e32 v0, v0, v30
	v_not_b32_e32 v30, v27
	v_xor_b32_e32 v28, s14, v28
	v_cmp_gt_i32_e64 s14, 0, v27
	v_ashrrev_i32_e32 v29, 31, v29
	v_lshl_add_u32 v1, v1, 1, v24
	v_ashrrev_i32_e32 v27, 31, v30
	v_mov_b32_e32 v30, v3
	s_delay_alu instid0(VALU_DEP_3) | instskip(NEXT) | instid1(VALU_DEP_3)
	v_lshl_add_u32 v35, v1, 2, 8
	v_xor_b32_e32 v3, s14, v27
	v_mov_b32_e32 v27, v7
	v_not_b32_e32 v31, v32
	v_cmp_gt_i32_e32 vcc_lo, 0, v32
	v_mov_b32_e32 v32, v2
	s_delay_alu instid0(VALU_DEP_3) | instskip(NEXT) | instid1(VALU_DEP_1)
	v_ashrrev_i32_e32 v31, 31, v31
	v_xor_b32_e32 v31, vcc_lo, v31
	v_cmp_gt_i32_e32 vcc_lo, 0, v34
	s_delay_alu instid0(VALU_DEP_2) | instskip(SKIP_2) | instid1(VALU_DEP_3)
	v_and_b32_e32 v0, v0, v31
	v_mov_b32_e32 v31, v4
	v_xor_b32_e32 v29, vcc_lo, v29
	v_and_b32_e32 v0, v0, v28
	v_mov_b32_e32 v28, v6
	s_delay_alu instid0(VALU_DEP_2) | instskip(NEXT) | instid1(VALU_DEP_1)
	v_dual_mov_b32 v29, v5 :: v_dual_and_b32 v0, v0, v29
	v_and_b32_e32 v0, v0, v3
	s_delay_alu instid0(VALU_DEP_1) | instskip(SKIP_1) | instid1(VALU_DEP_2)
	v_mbcnt_lo_u32_b32 v34, v0, 0
	v_cmp_ne_u32_e64 s14, 0, v0
	v_cmp_eq_u32_e32 vcc_lo, 0, v34
	s_delay_alu instid0(VALU_DEP_2) | instskip(NEXT) | instid1(SALU_CYCLE_1)
	s_and_b32 s16, s14, vcc_lo
	s_and_saveexec_b32 s14, s16
	s_cbranch_execz .LBB5_6
; %bb.5:                                ;   in Loop: Header=BB5_4 Depth=2
	v_bcnt_u32_b32 v0, v0, 0
	ds_store_b32 v35, v0
.LBB5_6:                                ;   in Loop: Header=BB5_4 Depth=2
	s_or_b32 exec_lo, exec_lo, s14
	v_bfe_u32 v0, v33, s15, 1
	v_lshrrev_b32_e32 v1, s15, v33
	; wave barrier
	s_delay_alu instid0(VALU_DEP_2) | instskip(NEXT) | instid1(VALU_DEP_1)
	v_add_co_u32 v0, s14, v0, -1
	v_cndmask_b32_e64 v2, 0, 1, s14
	s_delay_alu instid0(VALU_DEP_3)
	v_lshlrev_b32_e32 v3, 30, v1
	v_lshlrev_b32_e32 v4, 29, v1
	;; [unrolled: 1-line block ×4, first 2 shown]
	v_cmp_ne_u32_e32 vcc_lo, 0, v2
	v_not_b32_e32 v2, v3
	v_cmp_gt_i32_e64 s14, 0, v3
	v_not_b32_e32 v3, v4
	v_lshlrev_b32_e32 v7, 26, v1
	v_xor_b32_e32 v0, vcc_lo, v0
	v_ashrrev_i32_e32 v2, 31, v2
	v_cmp_gt_i32_e32 vcc_lo, 0, v4
	v_not_b32_e32 v4, v5
	v_ashrrev_i32_e32 v3, 31, v3
	v_and_b32_e32 v0, exec_lo, v0
	v_xor_b32_e32 v2, s14, v2
	v_cmp_gt_i32_e64 s14, 0, v5
	v_not_b32_e32 v5, v6
	v_ashrrev_i32_e32 v4, 31, v4
	v_xor_b32_e32 v3, vcc_lo, v3
	v_and_b32_e32 v0, v0, v2
	v_cmp_gt_i32_e32 vcc_lo, 0, v6
	v_not_b32_e32 v2, v7
	v_ashrrev_i32_e32 v5, 31, v5
	v_xor_b32_e32 v4, s14, v4
	v_and_b32_e32 v0, v0, v3
	v_lshlrev_b32_e32 v3, 25, v1
	v_cmp_gt_i32_e64 s14, 0, v7
	v_ashrrev_i32_e32 v2, 31, v2
	v_xor_b32_e32 v5, vcc_lo, v5
	v_and_b32_e32 v0, v0, v4
	v_not_b32_e32 v6, v3
	v_lshlrev_b32_e32 v1, 24, v1
	v_bfe_u32 v4, v33, s15, 8
	v_xor_b32_e32 v2, s14, v2
	v_and_b32_e32 v0, v0, v5
	v_cmp_gt_i32_e32 vcc_lo, 0, v3
	v_ashrrev_i32_e32 v3, 31, v6
	v_not_b32_e32 v5, v1
	v_lshlrev_b32_e32 v4, 1, v4
	v_and_b32_e32 v0, v0, v2
	s_delay_alu instid0(VALU_DEP_4) | instskip(SKIP_3) | instid1(VALU_DEP_4)
	v_xor_b32_e32 v2, vcc_lo, v3
	v_cmp_gt_i32_e32 vcc_lo, 0, v1
	v_ashrrev_i32_e32 v1, 31, v5
	v_add_lshl_u32 v3, v4, v24, 2
	v_and_b32_e32 v0, v0, v2
	s_delay_alu instid0(VALU_DEP_3) | instskip(SKIP_3) | instid1(VALU_DEP_1)
	v_xor_b32_e32 v1, vcc_lo, v1
	ds_load_b32 v36, v3 offset:8
	v_add_nc_u32_e32 v38, 8, v3
	; wave barrier
	v_and_b32_e32 v0, v0, v1
	v_mbcnt_lo_u32_b32 v37, v0, 0
	v_cmp_ne_u32_e64 s14, 0, v0
	s_delay_alu instid0(VALU_DEP_2) | instskip(NEXT) | instid1(VALU_DEP_2)
	v_cmp_eq_u32_e32 vcc_lo, 0, v37
	s_and_b32 s16, s14, vcc_lo
	s_delay_alu instid0(SALU_CYCLE_1)
	s_and_saveexec_b32 s14, s16
	s_cbranch_execz .LBB5_8
; %bb.7:                                ;   in Loop: Header=BB5_4 Depth=2
	s_waitcnt lgkmcnt(0)
	v_bcnt_u32_b32 v0, v0, v36
	ds_store_b32 v38, v0
.LBB5_8:                                ;   in Loop: Header=BB5_4 Depth=2
	s_or_b32 exec_lo, exec_lo, s14
	v_bfe_u32 v0, v32, s15, 1
	v_lshrrev_b32_e32 v1, s15, v32
	; wave barrier
	s_delay_alu instid0(VALU_DEP_2) | instskip(NEXT) | instid1(VALU_DEP_1)
	v_add_co_u32 v0, s14, v0, -1
	v_cndmask_b32_e64 v2, 0, 1, s14
	s_delay_alu instid0(VALU_DEP_3)
	v_lshlrev_b32_e32 v3, 30, v1
	v_lshlrev_b32_e32 v4, 29, v1
	;; [unrolled: 1-line block ×4, first 2 shown]
	v_cmp_ne_u32_e32 vcc_lo, 0, v2
	v_not_b32_e32 v2, v3
	v_cmp_gt_i32_e64 s14, 0, v3
	v_not_b32_e32 v3, v4
	v_lshlrev_b32_e32 v7, 26, v1
	v_xor_b32_e32 v0, vcc_lo, v0
	v_ashrrev_i32_e32 v2, 31, v2
	v_cmp_gt_i32_e32 vcc_lo, 0, v4
	v_not_b32_e32 v4, v5
	v_ashrrev_i32_e32 v3, 31, v3
	v_and_b32_e32 v0, exec_lo, v0
	v_xor_b32_e32 v2, s14, v2
	v_cmp_gt_i32_e64 s14, 0, v5
	v_not_b32_e32 v5, v6
	v_ashrrev_i32_e32 v4, 31, v4
	v_xor_b32_e32 v3, vcc_lo, v3
	v_and_b32_e32 v0, v0, v2
	v_cmp_gt_i32_e32 vcc_lo, 0, v6
	v_not_b32_e32 v2, v7
	v_ashrrev_i32_e32 v5, 31, v5
	v_xor_b32_e32 v4, s14, v4
	v_and_b32_e32 v0, v0, v3
	v_lshlrev_b32_e32 v3, 25, v1
	v_cmp_gt_i32_e64 s14, 0, v7
	v_ashrrev_i32_e32 v2, 31, v2
	v_xor_b32_e32 v5, vcc_lo, v5
	v_and_b32_e32 v0, v0, v4
	v_not_b32_e32 v6, v3
	v_lshlrev_b32_e32 v1, 24, v1
	v_bfe_u32 v4, v32, s15, 8
	v_xor_b32_e32 v2, s14, v2
	v_and_b32_e32 v0, v0, v5
	v_cmp_gt_i32_e32 vcc_lo, 0, v3
	v_ashrrev_i32_e32 v3, 31, v6
	v_not_b32_e32 v5, v1
	v_lshlrev_b32_e32 v4, 1, v4
	v_and_b32_e32 v0, v0, v2
	s_delay_alu instid0(VALU_DEP_4) | instskip(SKIP_3) | instid1(VALU_DEP_4)
	v_xor_b32_e32 v2, vcc_lo, v3
	v_cmp_gt_i32_e32 vcc_lo, 0, v1
	v_ashrrev_i32_e32 v1, 31, v5
	v_add_lshl_u32 v3, v4, v24, 2
	v_and_b32_e32 v0, v0, v2
	s_delay_alu instid0(VALU_DEP_3) | instskip(SKIP_3) | instid1(VALU_DEP_1)
	v_xor_b32_e32 v1, vcc_lo, v1
	ds_load_b32 v39, v3 offset:8
	v_add_nc_u32_e32 v41, 8, v3
	; wave barrier
	v_and_b32_e32 v0, v0, v1
	v_mbcnt_lo_u32_b32 v40, v0, 0
	v_cmp_ne_u32_e64 s14, 0, v0
	s_delay_alu instid0(VALU_DEP_2) | instskip(NEXT) | instid1(VALU_DEP_2)
	v_cmp_eq_u32_e32 vcc_lo, 0, v40
	s_and_b32 s16, s14, vcc_lo
	s_delay_alu instid0(SALU_CYCLE_1)
	s_and_saveexec_b32 s14, s16
	s_cbranch_execz .LBB5_10
; %bb.9:                                ;   in Loop: Header=BB5_4 Depth=2
	s_waitcnt lgkmcnt(0)
	v_bcnt_u32_b32 v0, v0, v39
	ds_store_b32 v41, v0
.LBB5_10:                               ;   in Loop: Header=BB5_4 Depth=2
	s_or_b32 exec_lo, exec_lo, s14
	v_bfe_u32 v0, v30, s15, 1
	v_lshrrev_b32_e32 v1, s15, v30
	; wave barrier
	s_delay_alu instid0(VALU_DEP_2) | instskip(NEXT) | instid1(VALU_DEP_1)
	v_add_co_u32 v0, s14, v0, -1
	v_cndmask_b32_e64 v2, 0, 1, s14
	s_delay_alu instid0(VALU_DEP_3)
	v_lshlrev_b32_e32 v3, 30, v1
	v_lshlrev_b32_e32 v4, 29, v1
	;; [unrolled: 1-line block ×4, first 2 shown]
	v_cmp_ne_u32_e32 vcc_lo, 0, v2
	v_not_b32_e32 v2, v3
	v_cmp_gt_i32_e64 s14, 0, v3
	v_not_b32_e32 v3, v4
	v_lshlrev_b32_e32 v7, 26, v1
	v_xor_b32_e32 v0, vcc_lo, v0
	v_ashrrev_i32_e32 v2, 31, v2
	v_cmp_gt_i32_e32 vcc_lo, 0, v4
	v_not_b32_e32 v4, v5
	v_ashrrev_i32_e32 v3, 31, v3
	v_and_b32_e32 v0, exec_lo, v0
	v_xor_b32_e32 v2, s14, v2
	v_cmp_gt_i32_e64 s14, 0, v5
	v_not_b32_e32 v5, v6
	v_ashrrev_i32_e32 v4, 31, v4
	v_xor_b32_e32 v3, vcc_lo, v3
	v_and_b32_e32 v0, v0, v2
	v_cmp_gt_i32_e32 vcc_lo, 0, v6
	v_not_b32_e32 v2, v7
	v_ashrrev_i32_e32 v5, 31, v5
	v_xor_b32_e32 v4, s14, v4
	v_and_b32_e32 v0, v0, v3
	v_lshlrev_b32_e32 v3, 25, v1
	v_cmp_gt_i32_e64 s14, 0, v7
	v_ashrrev_i32_e32 v2, 31, v2
	v_xor_b32_e32 v5, vcc_lo, v5
	v_and_b32_e32 v0, v0, v4
	v_not_b32_e32 v6, v3
	v_lshlrev_b32_e32 v1, 24, v1
	v_bfe_u32 v4, v30, s15, 8
	v_xor_b32_e32 v2, s14, v2
	v_and_b32_e32 v0, v0, v5
	v_cmp_gt_i32_e32 vcc_lo, 0, v3
	v_ashrrev_i32_e32 v3, 31, v6
	v_not_b32_e32 v5, v1
	v_lshlrev_b32_e32 v4, 1, v4
	v_and_b32_e32 v0, v0, v2
	s_delay_alu instid0(VALU_DEP_4) | instskip(SKIP_3) | instid1(VALU_DEP_4)
	v_xor_b32_e32 v2, vcc_lo, v3
	v_cmp_gt_i32_e32 vcc_lo, 0, v1
	v_ashrrev_i32_e32 v1, 31, v5
	v_add_lshl_u32 v3, v4, v24, 2
	v_and_b32_e32 v0, v0, v2
	s_delay_alu instid0(VALU_DEP_3) | instskip(SKIP_3) | instid1(VALU_DEP_1)
	v_xor_b32_e32 v1, vcc_lo, v1
	ds_load_b32 v42, v3 offset:8
	v_add_nc_u32_e32 v44, 8, v3
	; wave barrier
	v_and_b32_e32 v0, v0, v1
	v_mbcnt_lo_u32_b32 v43, v0, 0
	v_cmp_ne_u32_e64 s14, 0, v0
	s_delay_alu instid0(VALU_DEP_2) | instskip(NEXT) | instid1(VALU_DEP_2)
	v_cmp_eq_u32_e32 vcc_lo, 0, v43
	s_and_b32 s16, s14, vcc_lo
	s_delay_alu instid0(SALU_CYCLE_1)
	s_and_saveexec_b32 s14, s16
	s_cbranch_execz .LBB5_12
; %bb.11:                               ;   in Loop: Header=BB5_4 Depth=2
	s_waitcnt lgkmcnt(0)
	v_bcnt_u32_b32 v0, v0, v42
	ds_store_b32 v44, v0
.LBB5_12:                               ;   in Loop: Header=BB5_4 Depth=2
	s_or_b32 exec_lo, exec_lo, s14
	; wave barrier
	s_waitcnt lgkmcnt(0)
	s_barrier
	buffer_gl0_inv
	ds_load_2addr_b64 v[4:7], v17 offset0:1 offset1:2
	ds_load_2addr_b64 v[0:3], v18 offset0:2 offset1:3
	s_waitcnt lgkmcnt(1)
	v_add_nc_u32_e32 v45, v5, v4
	s_delay_alu instid0(VALU_DEP_1) | instskip(SKIP_1) | instid1(VALU_DEP_1)
	v_add3_u32 v45, v45, v6, v7
	s_waitcnt lgkmcnt(0)
	v_add3_u32 v45, v45, v0, v1
	s_delay_alu instid0(VALU_DEP_1) | instskip(NEXT) | instid1(VALU_DEP_1)
	v_add3_u32 v3, v45, v2, v3
	v_mov_b32_dpp v45, v3 row_shr:1 row_mask:0xf bank_mask:0xf
	s_delay_alu instid0(VALU_DEP_1) | instskip(NEXT) | instid1(VALU_DEP_1)
	v_cndmask_b32_e64 v45, v45, 0, s4
	v_add_nc_u32_e32 v3, v45, v3
	s_delay_alu instid0(VALU_DEP_1) | instskip(NEXT) | instid1(VALU_DEP_1)
	v_mov_b32_dpp v45, v3 row_shr:2 row_mask:0xf bank_mask:0xf
	v_cndmask_b32_e64 v45, 0, v45, s5
	s_delay_alu instid0(VALU_DEP_1) | instskip(NEXT) | instid1(VALU_DEP_1)
	v_add_nc_u32_e32 v3, v3, v45
	v_mov_b32_dpp v45, v3 row_shr:4 row_mask:0xf bank_mask:0xf
	s_delay_alu instid0(VALU_DEP_1) | instskip(NEXT) | instid1(VALU_DEP_1)
	v_cndmask_b32_e64 v45, 0, v45, s6
	v_add_nc_u32_e32 v3, v3, v45
	s_delay_alu instid0(VALU_DEP_1) | instskip(NEXT) | instid1(VALU_DEP_1)
	v_mov_b32_dpp v45, v3 row_shr:8 row_mask:0xf bank_mask:0xf
	v_cndmask_b32_e64 v45, 0, v45, s7
	s_delay_alu instid0(VALU_DEP_1) | instskip(SKIP_3) | instid1(VALU_DEP_1)
	v_add_nc_u32_e32 v3, v3, v45
	ds_swizzle_b32 v45, v3 offset:swizzle(BROADCAST,32,15)
	s_waitcnt lgkmcnt(0)
	v_cndmask_b32_e64 v45, v45, 0, s8
	v_add_nc_u32_e32 v3, v3, v45
	s_and_saveexec_b32 s14, s13
	s_cbranch_execz .LBB5_14
; %bb.13:                               ;   in Loop: Header=BB5_4 Depth=2
	ds_store_b32 v19, v3
.LBB5_14:                               ;   in Loop: Header=BB5_4 Depth=2
	s_or_b32 exec_lo, exec_lo, s14
	s_waitcnt lgkmcnt(0)
	s_barrier
	buffer_gl0_inv
	s_and_saveexec_b32 s14, s9
	s_cbranch_execz .LBB5_16
; %bb.15:                               ;   in Loop: Header=BB5_4 Depth=2
	ds_load_b32 v45, v21
	s_waitcnt lgkmcnt(0)
	v_mov_b32_dpp v46, v45 row_shr:1 row_mask:0xf bank_mask:0xf
	s_delay_alu instid0(VALU_DEP_1) | instskip(NEXT) | instid1(VALU_DEP_1)
	v_cndmask_b32_e64 v46, v46, 0, s12
	v_add_nc_u32_e32 v45, v46, v45
	ds_store_b32 v21, v45
.LBB5_16:                               ;   in Loop: Header=BB5_4 Depth=2
	s_or_b32 exec_lo, exec_lo, s14
	v_mov_b32_e32 v45, 0
	s_waitcnt lgkmcnt(0)
	s_barrier
	buffer_gl0_inv
	s_and_saveexec_b32 s14, s10
	s_cbranch_execz .LBB5_18
; %bb.17:                               ;   in Loop: Header=BB5_4 Depth=2
	ds_load_b32 v45, v22
.LBB5_18:                               ;   in Loop: Header=BB5_4 Depth=2
	s_or_b32 exec_lo, exec_lo, s14
	s_waitcnt lgkmcnt(0)
	v_add_nc_u32_e32 v3, v45, v3
	s_cmp_gt_u32 s15, 23
	ds_bpermute_b32 v3, v20, v3
	s_waitcnt lgkmcnt(0)
	v_cndmask_b32_e64 v3, v3, v45, s0
	s_delay_alu instid0(VALU_DEP_1) | instskip(NEXT) | instid1(VALU_DEP_1)
	v_cndmask_b32_e64 v3, v3, 0, s11
	v_add_nc_u32_e32 v4, v3, v4
	s_delay_alu instid0(VALU_DEP_1) | instskip(NEXT) | instid1(VALU_DEP_1)
	v_add_nc_u32_e32 v5, v4, v5
	v_add_nc_u32_e32 v6, v5, v6
	s_delay_alu instid0(VALU_DEP_1) | instskip(NEXT) | instid1(VALU_DEP_1)
	v_add_nc_u32_e32 v45, v6, v7
	;; [unrolled: 3-line block ×3, first 2 shown]
	v_add_nc_u32_e32 v1, v0, v2
	ds_store_2addr_b64 v17, v[3:4], v[5:6] offset0:1 offset1:2
	ds_store_2addr_b64 v18, v[45:46], v[0:1] offset0:2 offset1:3
	s_waitcnt lgkmcnt(0)
	s_barrier
	buffer_gl0_inv
	ds_load_b32 v0, v35
	ds_load_b32 v1, v38
	;; [unrolled: 1-line block ×4, first 2 shown]
	s_waitcnt lgkmcnt(3)
	v_add_nc_u32_e32 v38, v0, v34
	s_waitcnt lgkmcnt(2)
	v_add3_u32 v36, v37, v36, v1
	s_waitcnt lgkmcnt(1)
	v_add3_u32 v35, v40, v39, v2
	;; [unrolled: 2-line block ×3, first 2 shown]
	s_cbranch_scc0 .LBB5_3
; %bb.19:                               ;   in Loop: Header=BB5_2 Depth=1
                                        ; implicit-def: $vgpr3
                                        ; implicit-def: $vgpr1
                                        ; implicit-def: $vgpr7
                                        ; implicit-def: $vgpr5
                                        ; implicit-def: $sgpr15
	s_branch .LBB5_1
.LBB5_20:
	s_waitcnt lgkmcnt(0)
	v_add_nc_u32_e32 v0, v5, v0
	v_lshlrev_b32_e32 v5, 2, v8
	v_add_nc_u32_e32 v1, v6, v1
	v_add_nc_u32_e32 v2, v7, v2
	s_add_u32 s0, s18, s20
	v_add_nc_u32_e32 v3, v4, v3
	s_addc_u32 s1, s19, s21
	s_clause 0x3
	global_store_b32 v5, v0, s[0:1]
	global_store_b32 v5, v1, s[0:1] offset:256
	global_store_b32 v5, v2, s[0:1] offset:512
	;; [unrolled: 1-line block ×3, first 2 shown]
	s_nop 0
	s_sendmsg sendmsg(MSG_DEALLOC_VGPRS)
	s_endpgm
	.section	.rodata,"a",@progbits
	.p2align	6, 0x0
	.amdhsa_kernel _Z17sort_pairs_kernelI22helper_blocked_blockediLj64ELj4ELj10EEvPKT0_PS1_
		.amdhsa_group_segment_fixed_size 2064
		.amdhsa_private_segment_fixed_size 0
		.amdhsa_kernarg_size 272
		.amdhsa_user_sgpr_count 15
		.amdhsa_user_sgpr_dispatch_ptr 0
		.amdhsa_user_sgpr_queue_ptr 0
		.amdhsa_user_sgpr_kernarg_segment_ptr 1
		.amdhsa_user_sgpr_dispatch_id 0
		.amdhsa_user_sgpr_private_segment_size 0
		.amdhsa_wavefront_size32 1
		.amdhsa_uses_dynamic_stack 0
		.amdhsa_enable_private_segment 0
		.amdhsa_system_sgpr_workgroup_id_x 1
		.amdhsa_system_sgpr_workgroup_id_y 0
		.amdhsa_system_sgpr_workgroup_id_z 0
		.amdhsa_system_sgpr_workgroup_info 0
		.amdhsa_system_vgpr_workitem_id 2
		.amdhsa_next_free_vgpr 47
		.amdhsa_next_free_sgpr 24
		.amdhsa_reserve_vcc 1
		.amdhsa_float_round_mode_32 0
		.amdhsa_float_round_mode_16_64 0
		.amdhsa_float_denorm_mode_32 3
		.amdhsa_float_denorm_mode_16_64 3
		.amdhsa_dx10_clamp 1
		.amdhsa_ieee_mode 1
		.amdhsa_fp16_overflow 0
		.amdhsa_workgroup_processor_mode 1
		.amdhsa_memory_ordered 1
		.amdhsa_forward_progress 0
		.amdhsa_shared_vgpr_count 0
		.amdhsa_exception_fp_ieee_invalid_op 0
		.amdhsa_exception_fp_denorm_src 0
		.amdhsa_exception_fp_ieee_div_zero 0
		.amdhsa_exception_fp_ieee_overflow 0
		.amdhsa_exception_fp_ieee_underflow 0
		.amdhsa_exception_fp_ieee_inexact 0
		.amdhsa_exception_int_div_zero 0
	.end_amdhsa_kernel
	.section	.text._Z17sort_pairs_kernelI22helper_blocked_blockediLj64ELj4ELj10EEvPKT0_PS1_,"axG",@progbits,_Z17sort_pairs_kernelI22helper_blocked_blockediLj64ELj4ELj10EEvPKT0_PS1_,comdat
.Lfunc_end5:
	.size	_Z17sort_pairs_kernelI22helper_blocked_blockediLj64ELj4ELj10EEvPKT0_PS1_, .Lfunc_end5-_Z17sort_pairs_kernelI22helper_blocked_blockediLj64ELj4ELj10EEvPKT0_PS1_
                                        ; -- End function
	.section	.AMDGPU.csdata,"",@progbits
; Kernel info:
; codeLenInByte = 3408
; NumSgprs: 26
; NumVgprs: 47
; ScratchSize: 0
; MemoryBound: 0
; FloatMode: 240
; IeeeMode: 1
; LDSByteSize: 2064 bytes/workgroup (compile time only)
; SGPRBlocks: 3
; VGPRBlocks: 5
; NumSGPRsForWavesPerEU: 26
; NumVGPRsForWavesPerEU: 47
; Occupancy: 16
; WaveLimiterHint : 1
; COMPUTE_PGM_RSRC2:SCRATCH_EN: 0
; COMPUTE_PGM_RSRC2:USER_SGPR: 15
; COMPUTE_PGM_RSRC2:TRAP_HANDLER: 0
; COMPUTE_PGM_RSRC2:TGID_X_EN: 1
; COMPUTE_PGM_RSRC2:TGID_Y_EN: 0
; COMPUTE_PGM_RSRC2:TGID_Z_EN: 0
; COMPUTE_PGM_RSRC2:TIDIG_COMP_CNT: 2
	.section	.text._Z16sort_keys_kernelI22helper_blocked_blockediLj64ELj8ELj10EEvPKT0_PS1_,"axG",@progbits,_Z16sort_keys_kernelI22helper_blocked_blockediLj64ELj8ELj10EEvPKT0_PS1_,comdat
	.protected	_Z16sort_keys_kernelI22helper_blocked_blockediLj64ELj8ELj10EEvPKT0_PS1_ ; -- Begin function _Z16sort_keys_kernelI22helper_blocked_blockediLj64ELj8ELj10EEvPKT0_PS1_
	.globl	_Z16sort_keys_kernelI22helper_blocked_blockediLj64ELj8ELj10EEvPKT0_PS1_
	.p2align	8
	.type	_Z16sort_keys_kernelI22helper_blocked_blockediLj64ELj8ELj10EEvPKT0_PS1_,@function
_Z16sort_keys_kernelI22helper_blocked_blockediLj64ELj8ELj10EEvPKT0_PS1_: ; @_Z16sort_keys_kernelI22helper_blocked_blockediLj64ELj8ELj10EEvPKT0_PS1_
; %bb.0:
	s_clause 0x1
	s_load_b128 s[16:19], s[0:1], 0x0
	s_load_b32 s2, s[0:1], 0x1c
	s_mov_b32 s21, 0
	s_lshl_b32 s20, s15, 9
	v_mbcnt_lo_u32_b32 v11, -1, 0
	s_lshl_b64 s[12:13], s[20:21], 2
	s_mov_b32 s20, s21
	v_and_b32_e32 v8, 0x3ff, v0
	v_bfe_u32 v9, v0, 10, 10
	v_bfe_u32 v0, v0, 20, 10
	s_mov_b32 s14, s21
	s_mov_b32 s15, s21
	v_lshlrev_b32_e32 v1, 2, v8
	v_lshlrev_b32_e32 v13, 3, v8
	v_cmp_eq_u32_e64 s8, 0, v11
	s_waitcnt lgkmcnt(0)
	s_add_u32 s0, s16, s12
	s_addc_u32 s1, s17, s13
	s_clause 0x7
	global_load_b32 v2, v1, s[0:1]
	global_load_b32 v3, v1, s[0:1] offset:256
	global_load_b32 v4, v1, s[0:1] offset:512
	;; [unrolled: 1-line block ×7, first 2 shown]
	s_lshr_b32 s0, s2, 16
	s_delay_alu instid0(SALU_CYCLE_1)
	v_mad_u32_u24 v0, v0, s0, v9
	s_and_b32 s0, s2, 0xffff
	s_delay_alu instid0(VALU_DEP_1) | instid1(SALU_CYCLE_1)
	v_mad_u64_u32 v[9:10], null, v0, s0, v[8:9]
	v_and_or_b32 v0, 0x100, v13, v11
	v_and_b32_e32 v10, 15, v11
	s_delay_alu instid0(VALU_DEP_2) | instskip(NEXT) | instid1(VALU_DEP_4)
	v_lshlrev_b32_e32 v15, 2, v0
	v_lshrrev_b32_e32 v17, 5, v9
	v_add_nc_u32_e32 v9, -1, v11
	v_and_b32_e32 v0, 16, v11
	v_cmp_eq_u32_e64 s0, 0, v10
	v_cmp_lt_u32_e64 s1, 1, v10
	v_cmp_lt_u32_e64 s2, 3, v10
	v_cmp_gt_i32_e32 vcc_lo, 0, v9
	v_cmp_eq_u32_e64 s4, 0, v0
	v_cmp_lt_u32_e64 s3, 7, v10
	v_cndmask_b32_e32 v0, v9, v11, vcc_lo
	v_lshrrev_b32_e32 v9, 3, v8
	s_delay_alu instid0(VALU_DEP_2) | instskip(NEXT) | instid1(VALU_DEP_2)
	v_lshlrev_b32_e32 v18, 2, v0
	v_and_b32_e32 v19, 4, v9
	v_dual_mov_b32 v9, s20 :: v_dual_and_b32 v12, 32, v8
	v_lshlrev_b32_e32 v13, 5, v8
	v_and_b32_e32 v0, 1, v11
	v_cmp_gt_u32_e64 s6, 2, v8
	v_cmp_lt_u32_e64 s7, 31, v8
	v_or_b32_e32 v14, v11, v12
	v_or_b32_e32 v12, 31, v12
	v_cmp_eq_u32_e64 s10, 0, v0
	v_mul_u32_u24_e32 v0, 28, v8
	v_cmp_eq_u32_e64 s9, 0, v8
	v_lshlrev_b32_e32 v14, 5, v14
	v_cmp_eq_u32_e64 s5, v12, v8
	v_dual_mov_b32 v11, s14 :: v_dual_mov_b32 v12, s15
	v_mad_i32_i24 v20, 0xffffffe4, v8, v13
	v_or_b32_e32 v16, 8, v13
	v_dual_mov_b32 v10, s21 :: v_dual_add_nc_u32 v21, -4, v19
	s_delay_alu instid0(VALU_DEP_3)
	v_add_nc_u32_e32 v22, v20, v0
	s_branch .LBB6_2
.LBB6_1:                                ;   in Loop: Header=BB6_2 Depth=1
	v_lshlrev_b32_e32 v0, 2, v41
	v_lshlrev_b32_e32 v1, 2, v38
	v_lshlrev_b32_e32 v2, 2, v36
	s_barrier
	buffer_gl0_inv
	ds_store_b32 v0, v23
	ds_store_b32 v1, v30
	;; [unrolled: 1-line block ×3, first 2 shown]
	v_lshlrev_b32_e32 v0, 2, v35
	v_lshlrev_b32_e32 v1, 2, v34
	;; [unrolled: 1-line block ×5, first 2 shown]
	ds_store_b32 v0, v28
	ds_store_b32 v1, v27
	;; [unrolled: 1-line block ×5, first 2 shown]
	s_waitcnt lgkmcnt(0)
	s_barrier
	buffer_gl0_inv
	ds_load_2addr_b64 v[2:5], v22 offset1:1
	ds_load_2addr_b64 v[23:26], v22 offset0:2 offset1:3
	s_add_i32 s21, s21, 1
	s_delay_alu instid0(SALU_CYCLE_1)
	s_cmp_eq_u32 s21, 10
	s_waitcnt lgkmcnt(1)
	v_xor_b32_e32 v2, 0x80000000, v2
	v_xor_b32_e32 v3, 0x80000000, v3
	;; [unrolled: 1-line block ×4, first 2 shown]
	s_waitcnt lgkmcnt(0)
	v_xor_b32_e32 v6, 0x80000000, v23
	v_xor_b32_e32 v7, 0x80000000, v24
	;; [unrolled: 1-line block ×4, first 2 shown]
	s_cbranch_scc1 .LBB6_28
.LBB6_2:                                ; =>This Loop Header: Depth=1
                                        ;     Child Loop BB6_4 Depth 2
	s_waitcnt vmcnt(7)
	v_xor_b32_e32 v2, 0x80000000, v2
	s_waitcnt vmcnt(6)
	v_xor_b32_e32 v3, 0x80000000, v3
	;; [unrolled: 2-line block ×8, first 2 shown]
	ds_store_2addr_b64 v14, v[2:3], v[4:5] offset1:1
	ds_store_2addr_b64 v14, v[6:7], v[0:1] offset0:2 offset1:3
	; wave barrier
	ds_load_2addr_b32 v[0:1], v15 offset1:32
	ds_load_2addr_b32 v[2:3], v15 offset0:64 offset1:96
	ds_load_2addr_b32 v[4:5], v15 offset0:128 offset1:160
	;; [unrolled: 1-line block ×3, first 2 shown]
	s_mov_b32 s14, 0
	s_waitcnt lgkmcnt(0)
	s_barrier
	buffer_gl0_inv
	; wave barrier
	s_barrier
	s_branch .LBB6_4
.LBB6_3:                                ;   in Loop: Header=BB6_4 Depth=2
	v_lshlrev_b32_e32 v0, 2, v41
	v_lshlrev_b32_e32 v1, 2, v38
	;; [unrolled: 1-line block ×3, first 2 shown]
	s_barrier
	buffer_gl0_inv
	ds_store_b32 v0, v23
	ds_store_b32 v1, v30
	;; [unrolled: 1-line block ×3, first 2 shown]
	v_lshlrev_b32_e32 v0, 2, v35
	v_lshlrev_b32_e32 v1, 2, v34
	;; [unrolled: 1-line block ×5, first 2 shown]
	ds_store_b32 v0, v28
	ds_store_b32 v1, v27
	ds_store_b32 v2, v26
	ds_store_b32 v3, v25
	ds_store_b32 v4, v24
	s_waitcnt lgkmcnt(0)
	s_barrier
	buffer_gl0_inv
	ds_load_2addr_b32 v[0:1], v15 offset1:32
	ds_load_2addr_b32 v[2:3], v15 offset0:64 offset1:96
	ds_load_2addr_b32 v[4:5], v15 offset0:128 offset1:160
	;; [unrolled: 1-line block ×3, first 2 shown]
	s_add_i32 s14, s14, 8
	s_waitcnt lgkmcnt(0)
	s_barrier
	s_cbranch_execz .LBB6_1
.LBB6_4:                                ;   Parent Loop BB6_2 Depth=1
                                        ; =>  This Inner Loop Header: Depth=2
	v_mov_b32_e32 v23, v0
	buffer_gl0_inv
	ds_store_2addr_b64 v13, v[9:10], v[11:12] offset0:1 offset1:2
	ds_store_2addr_b64 v16, v[9:10], v[11:12] offset0:2 offset1:3
	s_waitcnt lgkmcnt(0)
	s_barrier
	v_lshrrev_b32_e32 v24, s14, v23
	buffer_gl0_inv
	; wave barrier
	v_lshlrev_b32_e32 v26, 30, v24
	v_bfe_u32 v0, v23, s14, 1
	v_lshlrev_b32_e32 v27, 29, v24
	v_lshlrev_b32_e32 v28, 28, v24
	;; [unrolled: 1-line block ×4, first 2 shown]
	v_add_co_u32 v0, s11, v0, -1
	s_delay_alu instid0(VALU_DEP_1) | instskip(SKIP_3) | instid1(VALU_DEP_4)
	v_cndmask_b32_e64 v25, 0, 1, s11
	v_cmp_gt_i32_e64 s11, 0, v26
	v_lshlrev_b32_e32 v31, 25, v24
	v_lshlrev_b32_e32 v24, 24, v24
	v_cmp_ne_u32_e32 vcc_lo, 0, v25
	v_not_b32_e32 v25, v26
	v_not_b32_e32 v26, v27
	v_xor_b32_e32 v0, vcc_lo, v0
	s_delay_alu instid0(VALU_DEP_3)
	v_ashrrev_i32_e32 v25, 31, v25
	v_cmp_gt_i32_e32 vcc_lo, 0, v27
	v_not_b32_e32 v27, v28
	v_ashrrev_i32_e32 v26, 31, v26
	v_and_b32_e32 v0, exec_lo, v0
	v_xor_b32_e32 v25, s11, v25
	v_cmp_gt_i32_e64 s11, 0, v28
	v_not_b32_e32 v28, v29
	v_ashrrev_i32_e32 v27, 31, v27
	v_xor_b32_e32 v26, vcc_lo, v26
	v_and_b32_e32 v0, v0, v25
	v_cmp_gt_i32_e32 vcc_lo, 0, v29
	v_mov_b32_e32 v29, v2
	v_ashrrev_i32_e32 v28, 31, v28
	v_xor_b32_e32 v27, s11, v27
	v_and_b32_e32 v0, v0, v26
	v_not_b32_e32 v25, v30
	v_cmp_gt_i32_e64 s11, 0, v30
	v_xor_b32_e32 v28, vcc_lo, v28
	v_mov_b32_e32 v30, v1
	v_and_b32_e32 v0, v0, v27
	v_ashrrev_i32_e32 v25, 31, v25
	v_not_b32_e32 v27, v24
	v_bfe_u32 v1, v23, s14, 8
	s_delay_alu instid0(VALU_DEP_4)
	v_and_b32_e32 v0, v0, v28
	v_mov_b32_e32 v28, v3
	v_not_b32_e32 v26, v31
	v_cmp_gt_i32_e32 vcc_lo, 0, v31
	v_xor_b32_e32 v25, s11, v25
	v_cmp_gt_i32_e64 s11, 0, v24
	v_ashrrev_i32_e32 v27, 31, v27
	v_ashrrev_i32_e32 v26, 31, v26
	v_mov_b32_e32 v24, v7
	v_and_b32_e32 v0, v0, v25
	v_lshl_add_u32 v1, v1, 1, v17
	v_xor_b32_e32 v7, s11, v27
	v_xor_b32_e32 v26, vcc_lo, v26
	v_mov_b32_e32 v25, v6
	v_mov_b32_e32 v27, v4
	v_lshl_add_u32 v32, v1, 2, 8
	s_delay_alu instid0(VALU_DEP_4) | instskip(SKIP_1) | instid1(VALU_DEP_2)
	v_and_b32_e32 v0, v0, v26
	v_mov_b32_e32 v26, v5
	v_and_b32_e32 v0, v0, v7
	s_delay_alu instid0(VALU_DEP_1) | instskip(SKIP_1) | instid1(VALU_DEP_2)
	v_mbcnt_lo_u32_b32 v31, v0, 0
	v_cmp_ne_u32_e64 s11, 0, v0
	v_cmp_eq_u32_e32 vcc_lo, 0, v31
	s_delay_alu instid0(VALU_DEP_2) | instskip(NEXT) | instid1(SALU_CYCLE_1)
	s_and_b32 s15, s11, vcc_lo
	s_and_saveexec_b32 s11, s15
	s_cbranch_execz .LBB6_6
; %bb.5:                                ;   in Loop: Header=BB6_4 Depth=2
	v_bcnt_u32_b32 v0, v0, 0
	ds_store_b32 v32, v0
.LBB6_6:                                ;   in Loop: Header=BB6_4 Depth=2
	s_or_b32 exec_lo, exec_lo, s11
	v_bfe_u32 v0, v30, s14, 1
	v_lshrrev_b32_e32 v1, s14, v30
	; wave barrier
	s_delay_alu instid0(VALU_DEP_2) | instskip(NEXT) | instid1(VALU_DEP_1)
	v_add_co_u32 v0, s11, v0, -1
	v_cndmask_b32_e64 v2, 0, 1, s11
	s_delay_alu instid0(VALU_DEP_3)
	v_lshlrev_b32_e32 v3, 30, v1
	v_lshlrev_b32_e32 v4, 29, v1
	;; [unrolled: 1-line block ×4, first 2 shown]
	v_cmp_ne_u32_e32 vcc_lo, 0, v2
	v_not_b32_e32 v2, v3
	v_cmp_gt_i32_e64 s11, 0, v3
	v_not_b32_e32 v3, v4
	v_lshlrev_b32_e32 v7, 26, v1
	v_xor_b32_e32 v0, vcc_lo, v0
	v_ashrrev_i32_e32 v2, 31, v2
	v_cmp_gt_i32_e32 vcc_lo, 0, v4
	v_not_b32_e32 v4, v5
	v_ashrrev_i32_e32 v3, 31, v3
	v_and_b32_e32 v0, exec_lo, v0
	v_xor_b32_e32 v2, s11, v2
	v_cmp_gt_i32_e64 s11, 0, v5
	v_not_b32_e32 v5, v6
	v_ashrrev_i32_e32 v4, 31, v4
	v_xor_b32_e32 v3, vcc_lo, v3
	v_and_b32_e32 v0, v0, v2
	v_cmp_gt_i32_e32 vcc_lo, 0, v6
	v_not_b32_e32 v2, v7
	v_ashrrev_i32_e32 v5, 31, v5
	v_xor_b32_e32 v4, s11, v4
	v_and_b32_e32 v0, v0, v3
	v_lshlrev_b32_e32 v3, 25, v1
	v_cmp_gt_i32_e64 s11, 0, v7
	v_ashrrev_i32_e32 v2, 31, v2
	v_xor_b32_e32 v5, vcc_lo, v5
	v_and_b32_e32 v0, v0, v4
	v_not_b32_e32 v6, v3
	v_lshlrev_b32_e32 v1, 24, v1
	v_bfe_u32 v4, v30, s14, 8
	v_xor_b32_e32 v2, s11, v2
	v_and_b32_e32 v0, v0, v5
	v_cmp_gt_i32_e32 vcc_lo, 0, v3
	v_ashrrev_i32_e32 v3, 31, v6
	v_not_b32_e32 v5, v1
	v_lshlrev_b32_e32 v4, 1, v4
	v_and_b32_e32 v0, v0, v2
	s_delay_alu instid0(VALU_DEP_4) | instskip(SKIP_3) | instid1(VALU_DEP_4)
	v_xor_b32_e32 v2, vcc_lo, v3
	v_cmp_gt_i32_e32 vcc_lo, 0, v1
	v_ashrrev_i32_e32 v1, 31, v5
	v_add_lshl_u32 v3, v4, v17, 2
	v_and_b32_e32 v0, v0, v2
	s_delay_alu instid0(VALU_DEP_3) | instskip(SKIP_3) | instid1(VALU_DEP_1)
	v_xor_b32_e32 v1, vcc_lo, v1
	ds_load_b32 v33, v3 offset:8
	v_add_nc_u32_e32 v35, 8, v3
	; wave barrier
	v_and_b32_e32 v0, v0, v1
	v_mbcnt_lo_u32_b32 v34, v0, 0
	v_cmp_ne_u32_e64 s11, 0, v0
	s_delay_alu instid0(VALU_DEP_2) | instskip(NEXT) | instid1(VALU_DEP_2)
	v_cmp_eq_u32_e32 vcc_lo, 0, v34
	s_and_b32 s15, s11, vcc_lo
	s_delay_alu instid0(SALU_CYCLE_1)
	s_and_saveexec_b32 s11, s15
	s_cbranch_execz .LBB6_8
; %bb.7:                                ;   in Loop: Header=BB6_4 Depth=2
	s_waitcnt lgkmcnt(0)
	v_bcnt_u32_b32 v0, v0, v33
	ds_store_b32 v35, v0
.LBB6_8:                                ;   in Loop: Header=BB6_4 Depth=2
	s_or_b32 exec_lo, exec_lo, s11
	v_bfe_u32 v0, v29, s14, 1
	v_lshrrev_b32_e32 v1, s14, v29
	; wave barrier
	s_delay_alu instid0(VALU_DEP_2) | instskip(NEXT) | instid1(VALU_DEP_1)
	v_add_co_u32 v0, s11, v0, -1
	v_cndmask_b32_e64 v2, 0, 1, s11
	s_delay_alu instid0(VALU_DEP_3)
	v_lshlrev_b32_e32 v3, 30, v1
	v_lshlrev_b32_e32 v4, 29, v1
	;; [unrolled: 1-line block ×4, first 2 shown]
	v_cmp_ne_u32_e32 vcc_lo, 0, v2
	v_not_b32_e32 v2, v3
	v_cmp_gt_i32_e64 s11, 0, v3
	v_not_b32_e32 v3, v4
	v_lshlrev_b32_e32 v7, 26, v1
	v_xor_b32_e32 v0, vcc_lo, v0
	v_ashrrev_i32_e32 v2, 31, v2
	v_cmp_gt_i32_e32 vcc_lo, 0, v4
	v_not_b32_e32 v4, v5
	v_ashrrev_i32_e32 v3, 31, v3
	v_and_b32_e32 v0, exec_lo, v0
	v_xor_b32_e32 v2, s11, v2
	v_cmp_gt_i32_e64 s11, 0, v5
	v_not_b32_e32 v5, v6
	v_ashrrev_i32_e32 v4, 31, v4
	v_xor_b32_e32 v3, vcc_lo, v3
	v_and_b32_e32 v0, v0, v2
	v_cmp_gt_i32_e32 vcc_lo, 0, v6
	v_not_b32_e32 v2, v7
	v_ashrrev_i32_e32 v5, 31, v5
	v_xor_b32_e32 v4, s11, v4
	v_and_b32_e32 v0, v0, v3
	v_lshlrev_b32_e32 v3, 25, v1
	v_cmp_gt_i32_e64 s11, 0, v7
	v_ashrrev_i32_e32 v2, 31, v2
	v_xor_b32_e32 v5, vcc_lo, v5
	v_and_b32_e32 v0, v0, v4
	v_not_b32_e32 v6, v3
	v_lshlrev_b32_e32 v1, 24, v1
	v_bfe_u32 v4, v29, s14, 8
	v_xor_b32_e32 v2, s11, v2
	v_and_b32_e32 v0, v0, v5
	v_cmp_gt_i32_e32 vcc_lo, 0, v3
	v_ashrrev_i32_e32 v3, 31, v6
	v_not_b32_e32 v5, v1
	v_lshlrev_b32_e32 v4, 1, v4
	v_and_b32_e32 v0, v0, v2
	s_delay_alu instid0(VALU_DEP_4) | instskip(SKIP_3) | instid1(VALU_DEP_4)
	v_xor_b32_e32 v2, vcc_lo, v3
	v_cmp_gt_i32_e32 vcc_lo, 0, v1
	v_ashrrev_i32_e32 v1, 31, v5
	v_add_lshl_u32 v3, v4, v17, 2
	v_and_b32_e32 v0, v0, v2
	s_delay_alu instid0(VALU_DEP_3) | instskip(SKIP_3) | instid1(VALU_DEP_1)
	v_xor_b32_e32 v1, vcc_lo, v1
	ds_load_b32 v36, v3 offset:8
	v_add_nc_u32_e32 v38, 8, v3
	; wave barrier
	v_and_b32_e32 v0, v0, v1
	v_mbcnt_lo_u32_b32 v37, v0, 0
	v_cmp_ne_u32_e64 s11, 0, v0
	s_delay_alu instid0(VALU_DEP_2) | instskip(NEXT) | instid1(VALU_DEP_2)
	v_cmp_eq_u32_e32 vcc_lo, 0, v37
	s_and_b32 s15, s11, vcc_lo
	s_delay_alu instid0(SALU_CYCLE_1)
	s_and_saveexec_b32 s11, s15
	s_cbranch_execz .LBB6_10
; %bb.9:                                ;   in Loop: Header=BB6_4 Depth=2
	s_waitcnt lgkmcnt(0)
	v_bcnt_u32_b32 v0, v0, v36
	ds_store_b32 v38, v0
.LBB6_10:                               ;   in Loop: Header=BB6_4 Depth=2
	s_or_b32 exec_lo, exec_lo, s11
	v_bfe_u32 v0, v28, s14, 1
	v_lshrrev_b32_e32 v1, s14, v28
	; wave barrier
	s_delay_alu instid0(VALU_DEP_2) | instskip(NEXT) | instid1(VALU_DEP_1)
	v_add_co_u32 v0, s11, v0, -1
	v_cndmask_b32_e64 v2, 0, 1, s11
	s_delay_alu instid0(VALU_DEP_3)
	v_lshlrev_b32_e32 v3, 30, v1
	v_lshlrev_b32_e32 v4, 29, v1
	v_lshlrev_b32_e32 v5, 28, v1
	v_lshlrev_b32_e32 v6, 27, v1
	v_cmp_ne_u32_e32 vcc_lo, 0, v2
	v_not_b32_e32 v2, v3
	v_cmp_gt_i32_e64 s11, 0, v3
	v_not_b32_e32 v3, v4
	v_lshlrev_b32_e32 v7, 26, v1
	v_xor_b32_e32 v0, vcc_lo, v0
	v_ashrrev_i32_e32 v2, 31, v2
	v_cmp_gt_i32_e32 vcc_lo, 0, v4
	v_not_b32_e32 v4, v5
	v_ashrrev_i32_e32 v3, 31, v3
	v_and_b32_e32 v0, exec_lo, v0
	v_xor_b32_e32 v2, s11, v2
	v_cmp_gt_i32_e64 s11, 0, v5
	v_not_b32_e32 v5, v6
	v_ashrrev_i32_e32 v4, 31, v4
	v_xor_b32_e32 v3, vcc_lo, v3
	v_and_b32_e32 v0, v0, v2
	v_cmp_gt_i32_e32 vcc_lo, 0, v6
	v_not_b32_e32 v2, v7
	v_ashrrev_i32_e32 v5, 31, v5
	v_xor_b32_e32 v4, s11, v4
	v_and_b32_e32 v0, v0, v3
	v_lshlrev_b32_e32 v3, 25, v1
	v_cmp_gt_i32_e64 s11, 0, v7
	v_ashrrev_i32_e32 v2, 31, v2
	v_xor_b32_e32 v5, vcc_lo, v5
	v_and_b32_e32 v0, v0, v4
	v_not_b32_e32 v6, v3
	v_lshlrev_b32_e32 v1, 24, v1
	v_bfe_u32 v4, v28, s14, 8
	v_xor_b32_e32 v2, s11, v2
	v_and_b32_e32 v0, v0, v5
	v_cmp_gt_i32_e32 vcc_lo, 0, v3
	v_ashrrev_i32_e32 v3, 31, v6
	v_not_b32_e32 v5, v1
	v_lshlrev_b32_e32 v4, 1, v4
	v_and_b32_e32 v0, v0, v2
	s_delay_alu instid0(VALU_DEP_4) | instskip(SKIP_3) | instid1(VALU_DEP_4)
	v_xor_b32_e32 v2, vcc_lo, v3
	v_cmp_gt_i32_e32 vcc_lo, 0, v1
	v_ashrrev_i32_e32 v1, 31, v5
	v_add_lshl_u32 v3, v4, v17, 2
	v_and_b32_e32 v0, v0, v2
	s_delay_alu instid0(VALU_DEP_3) | instskip(SKIP_3) | instid1(VALU_DEP_1)
	v_xor_b32_e32 v1, vcc_lo, v1
	ds_load_b32 v39, v3 offset:8
	v_add_nc_u32_e32 v41, 8, v3
	; wave barrier
	v_and_b32_e32 v0, v0, v1
	v_mbcnt_lo_u32_b32 v40, v0, 0
	v_cmp_ne_u32_e64 s11, 0, v0
	s_delay_alu instid0(VALU_DEP_2) | instskip(NEXT) | instid1(VALU_DEP_2)
	v_cmp_eq_u32_e32 vcc_lo, 0, v40
	s_and_b32 s15, s11, vcc_lo
	s_delay_alu instid0(SALU_CYCLE_1)
	s_and_saveexec_b32 s11, s15
	s_cbranch_execz .LBB6_12
; %bb.11:                               ;   in Loop: Header=BB6_4 Depth=2
	s_waitcnt lgkmcnt(0)
	v_bcnt_u32_b32 v0, v0, v39
	ds_store_b32 v41, v0
.LBB6_12:                               ;   in Loop: Header=BB6_4 Depth=2
	s_or_b32 exec_lo, exec_lo, s11
	v_bfe_u32 v0, v27, s14, 1
	v_lshrrev_b32_e32 v1, s14, v27
	; wave barrier
	s_delay_alu instid0(VALU_DEP_2) | instskip(NEXT) | instid1(VALU_DEP_1)
	v_add_co_u32 v0, s11, v0, -1
	v_cndmask_b32_e64 v2, 0, 1, s11
	s_delay_alu instid0(VALU_DEP_3)
	v_lshlrev_b32_e32 v3, 30, v1
	v_lshlrev_b32_e32 v4, 29, v1
	;; [unrolled: 1-line block ×4, first 2 shown]
	v_cmp_ne_u32_e32 vcc_lo, 0, v2
	v_not_b32_e32 v2, v3
	v_cmp_gt_i32_e64 s11, 0, v3
	v_not_b32_e32 v3, v4
	v_lshlrev_b32_e32 v7, 26, v1
	v_xor_b32_e32 v0, vcc_lo, v0
	v_ashrrev_i32_e32 v2, 31, v2
	v_cmp_gt_i32_e32 vcc_lo, 0, v4
	v_not_b32_e32 v4, v5
	v_ashrrev_i32_e32 v3, 31, v3
	v_and_b32_e32 v0, exec_lo, v0
	v_xor_b32_e32 v2, s11, v2
	v_cmp_gt_i32_e64 s11, 0, v5
	v_not_b32_e32 v5, v6
	v_ashrrev_i32_e32 v4, 31, v4
	v_xor_b32_e32 v3, vcc_lo, v3
	v_and_b32_e32 v0, v0, v2
	v_cmp_gt_i32_e32 vcc_lo, 0, v6
	v_not_b32_e32 v2, v7
	v_ashrrev_i32_e32 v5, 31, v5
	v_xor_b32_e32 v4, s11, v4
	v_and_b32_e32 v0, v0, v3
	v_lshlrev_b32_e32 v3, 25, v1
	v_cmp_gt_i32_e64 s11, 0, v7
	v_ashrrev_i32_e32 v2, 31, v2
	v_xor_b32_e32 v5, vcc_lo, v5
	v_and_b32_e32 v0, v0, v4
	v_not_b32_e32 v6, v3
	v_lshlrev_b32_e32 v1, 24, v1
	v_bfe_u32 v4, v27, s14, 8
	v_xor_b32_e32 v2, s11, v2
	v_and_b32_e32 v0, v0, v5
	v_cmp_gt_i32_e32 vcc_lo, 0, v3
	v_ashrrev_i32_e32 v3, 31, v6
	v_not_b32_e32 v5, v1
	v_lshlrev_b32_e32 v4, 1, v4
	v_and_b32_e32 v0, v0, v2
	s_delay_alu instid0(VALU_DEP_4) | instskip(SKIP_3) | instid1(VALU_DEP_4)
	v_xor_b32_e32 v2, vcc_lo, v3
	v_cmp_gt_i32_e32 vcc_lo, 0, v1
	v_ashrrev_i32_e32 v1, 31, v5
	v_add_lshl_u32 v3, v4, v17, 2
	v_and_b32_e32 v0, v0, v2
	s_delay_alu instid0(VALU_DEP_3) | instskip(SKIP_3) | instid1(VALU_DEP_1)
	v_xor_b32_e32 v1, vcc_lo, v1
	ds_load_b32 v42, v3 offset:8
	v_add_nc_u32_e32 v44, 8, v3
	; wave barrier
	v_and_b32_e32 v0, v0, v1
	v_mbcnt_lo_u32_b32 v43, v0, 0
	v_cmp_ne_u32_e64 s11, 0, v0
	s_delay_alu instid0(VALU_DEP_2) | instskip(NEXT) | instid1(VALU_DEP_2)
	v_cmp_eq_u32_e32 vcc_lo, 0, v43
	s_and_b32 s15, s11, vcc_lo
	s_delay_alu instid0(SALU_CYCLE_1)
	s_and_saveexec_b32 s11, s15
	s_cbranch_execz .LBB6_14
; %bb.13:                               ;   in Loop: Header=BB6_4 Depth=2
	s_waitcnt lgkmcnt(0)
	v_bcnt_u32_b32 v0, v0, v42
	ds_store_b32 v44, v0
.LBB6_14:                               ;   in Loop: Header=BB6_4 Depth=2
	s_or_b32 exec_lo, exec_lo, s11
	v_bfe_u32 v0, v26, s14, 1
	v_lshrrev_b32_e32 v1, s14, v26
	; wave barrier
	s_delay_alu instid0(VALU_DEP_2) | instskip(NEXT) | instid1(VALU_DEP_1)
	v_add_co_u32 v0, s11, v0, -1
	v_cndmask_b32_e64 v2, 0, 1, s11
	s_delay_alu instid0(VALU_DEP_3)
	v_lshlrev_b32_e32 v3, 30, v1
	v_lshlrev_b32_e32 v4, 29, v1
	v_lshlrev_b32_e32 v5, 28, v1
	v_lshlrev_b32_e32 v6, 27, v1
	v_cmp_ne_u32_e32 vcc_lo, 0, v2
	v_not_b32_e32 v2, v3
	v_cmp_gt_i32_e64 s11, 0, v3
	v_not_b32_e32 v3, v4
	v_lshlrev_b32_e32 v7, 26, v1
	v_xor_b32_e32 v0, vcc_lo, v0
	v_ashrrev_i32_e32 v2, 31, v2
	v_cmp_gt_i32_e32 vcc_lo, 0, v4
	v_not_b32_e32 v4, v5
	v_ashrrev_i32_e32 v3, 31, v3
	v_and_b32_e32 v0, exec_lo, v0
	v_xor_b32_e32 v2, s11, v2
	v_cmp_gt_i32_e64 s11, 0, v5
	v_not_b32_e32 v5, v6
	v_ashrrev_i32_e32 v4, 31, v4
	v_xor_b32_e32 v3, vcc_lo, v3
	v_and_b32_e32 v0, v0, v2
	v_cmp_gt_i32_e32 vcc_lo, 0, v6
	v_not_b32_e32 v2, v7
	v_ashrrev_i32_e32 v5, 31, v5
	v_xor_b32_e32 v4, s11, v4
	v_and_b32_e32 v0, v0, v3
	v_lshlrev_b32_e32 v3, 25, v1
	v_cmp_gt_i32_e64 s11, 0, v7
	v_ashrrev_i32_e32 v2, 31, v2
	v_xor_b32_e32 v5, vcc_lo, v5
	v_and_b32_e32 v0, v0, v4
	v_not_b32_e32 v6, v3
	v_lshlrev_b32_e32 v1, 24, v1
	v_bfe_u32 v4, v26, s14, 8
	v_xor_b32_e32 v2, s11, v2
	v_and_b32_e32 v0, v0, v5
	v_cmp_gt_i32_e32 vcc_lo, 0, v3
	v_ashrrev_i32_e32 v3, 31, v6
	v_not_b32_e32 v5, v1
	v_lshlrev_b32_e32 v4, 1, v4
	v_and_b32_e32 v0, v0, v2
	s_delay_alu instid0(VALU_DEP_4) | instskip(SKIP_3) | instid1(VALU_DEP_4)
	v_xor_b32_e32 v2, vcc_lo, v3
	v_cmp_gt_i32_e32 vcc_lo, 0, v1
	v_ashrrev_i32_e32 v1, 31, v5
	v_add_lshl_u32 v3, v4, v17, 2
	v_and_b32_e32 v0, v0, v2
	s_delay_alu instid0(VALU_DEP_3) | instskip(SKIP_3) | instid1(VALU_DEP_1)
	v_xor_b32_e32 v1, vcc_lo, v1
	ds_load_b32 v45, v3 offset:8
	v_add_nc_u32_e32 v47, 8, v3
	; wave barrier
	v_and_b32_e32 v0, v0, v1
	v_mbcnt_lo_u32_b32 v46, v0, 0
	v_cmp_ne_u32_e64 s11, 0, v0
	s_delay_alu instid0(VALU_DEP_2) | instskip(NEXT) | instid1(VALU_DEP_2)
	v_cmp_eq_u32_e32 vcc_lo, 0, v46
	s_and_b32 s15, s11, vcc_lo
	s_delay_alu instid0(SALU_CYCLE_1)
	s_and_saveexec_b32 s11, s15
	s_cbranch_execz .LBB6_16
; %bb.15:                               ;   in Loop: Header=BB6_4 Depth=2
	s_waitcnt lgkmcnt(0)
	v_bcnt_u32_b32 v0, v0, v45
	ds_store_b32 v47, v0
.LBB6_16:                               ;   in Loop: Header=BB6_4 Depth=2
	s_or_b32 exec_lo, exec_lo, s11
	v_bfe_u32 v0, v25, s14, 1
	v_lshrrev_b32_e32 v1, s14, v25
	; wave barrier
	s_delay_alu instid0(VALU_DEP_2) | instskip(NEXT) | instid1(VALU_DEP_1)
	v_add_co_u32 v0, s11, v0, -1
	v_cndmask_b32_e64 v2, 0, 1, s11
	s_delay_alu instid0(VALU_DEP_3)
	v_lshlrev_b32_e32 v3, 30, v1
	v_lshlrev_b32_e32 v4, 29, v1
	;; [unrolled: 1-line block ×4, first 2 shown]
	v_cmp_ne_u32_e32 vcc_lo, 0, v2
	v_not_b32_e32 v2, v3
	v_cmp_gt_i32_e64 s11, 0, v3
	v_not_b32_e32 v3, v4
	v_lshlrev_b32_e32 v7, 26, v1
	v_xor_b32_e32 v0, vcc_lo, v0
	v_ashrrev_i32_e32 v2, 31, v2
	v_cmp_gt_i32_e32 vcc_lo, 0, v4
	v_not_b32_e32 v4, v5
	v_ashrrev_i32_e32 v3, 31, v3
	v_and_b32_e32 v0, exec_lo, v0
	v_xor_b32_e32 v2, s11, v2
	v_cmp_gt_i32_e64 s11, 0, v5
	v_not_b32_e32 v5, v6
	v_ashrrev_i32_e32 v4, 31, v4
	v_xor_b32_e32 v3, vcc_lo, v3
	v_and_b32_e32 v0, v0, v2
	v_cmp_gt_i32_e32 vcc_lo, 0, v6
	v_not_b32_e32 v2, v7
	v_ashrrev_i32_e32 v5, 31, v5
	v_xor_b32_e32 v4, s11, v4
	v_and_b32_e32 v0, v0, v3
	v_lshlrev_b32_e32 v3, 25, v1
	v_cmp_gt_i32_e64 s11, 0, v7
	v_ashrrev_i32_e32 v2, 31, v2
	v_xor_b32_e32 v5, vcc_lo, v5
	v_and_b32_e32 v0, v0, v4
	v_not_b32_e32 v6, v3
	v_lshlrev_b32_e32 v1, 24, v1
	v_bfe_u32 v4, v25, s14, 8
	v_xor_b32_e32 v2, s11, v2
	v_and_b32_e32 v0, v0, v5
	v_cmp_gt_i32_e32 vcc_lo, 0, v3
	v_ashrrev_i32_e32 v3, 31, v6
	v_not_b32_e32 v5, v1
	v_lshlrev_b32_e32 v4, 1, v4
	v_and_b32_e32 v0, v0, v2
	s_delay_alu instid0(VALU_DEP_4) | instskip(SKIP_3) | instid1(VALU_DEP_4)
	v_xor_b32_e32 v2, vcc_lo, v3
	v_cmp_gt_i32_e32 vcc_lo, 0, v1
	v_ashrrev_i32_e32 v1, 31, v5
	v_add_lshl_u32 v3, v4, v17, 2
	v_and_b32_e32 v0, v0, v2
	s_delay_alu instid0(VALU_DEP_3) | instskip(SKIP_3) | instid1(VALU_DEP_1)
	v_xor_b32_e32 v1, vcc_lo, v1
	ds_load_b32 v48, v3 offset:8
	v_add_nc_u32_e32 v50, 8, v3
	; wave barrier
	v_and_b32_e32 v0, v0, v1
	v_mbcnt_lo_u32_b32 v49, v0, 0
	v_cmp_ne_u32_e64 s11, 0, v0
	s_delay_alu instid0(VALU_DEP_2) | instskip(NEXT) | instid1(VALU_DEP_2)
	v_cmp_eq_u32_e32 vcc_lo, 0, v49
	s_and_b32 s15, s11, vcc_lo
	s_delay_alu instid0(SALU_CYCLE_1)
	s_and_saveexec_b32 s11, s15
	s_cbranch_execz .LBB6_18
; %bb.17:                               ;   in Loop: Header=BB6_4 Depth=2
	s_waitcnt lgkmcnt(0)
	v_bcnt_u32_b32 v0, v0, v48
	ds_store_b32 v50, v0
.LBB6_18:                               ;   in Loop: Header=BB6_4 Depth=2
	s_or_b32 exec_lo, exec_lo, s11
	v_bfe_u32 v0, v24, s14, 1
	v_lshrrev_b32_e32 v1, s14, v24
	; wave barrier
	s_delay_alu instid0(VALU_DEP_2) | instskip(NEXT) | instid1(VALU_DEP_1)
	v_add_co_u32 v0, s11, v0, -1
	v_cndmask_b32_e64 v2, 0, 1, s11
	s_delay_alu instid0(VALU_DEP_3)
	v_lshlrev_b32_e32 v3, 30, v1
	v_lshlrev_b32_e32 v4, 29, v1
	v_lshlrev_b32_e32 v5, 28, v1
	v_lshlrev_b32_e32 v6, 27, v1
	v_cmp_ne_u32_e32 vcc_lo, 0, v2
	v_not_b32_e32 v2, v3
	v_cmp_gt_i32_e64 s11, 0, v3
	v_not_b32_e32 v3, v4
	v_lshlrev_b32_e32 v7, 26, v1
	v_xor_b32_e32 v0, vcc_lo, v0
	v_ashrrev_i32_e32 v2, 31, v2
	v_cmp_gt_i32_e32 vcc_lo, 0, v4
	v_not_b32_e32 v4, v5
	v_ashrrev_i32_e32 v3, 31, v3
	v_and_b32_e32 v0, exec_lo, v0
	v_xor_b32_e32 v2, s11, v2
	v_cmp_gt_i32_e64 s11, 0, v5
	v_not_b32_e32 v5, v6
	v_ashrrev_i32_e32 v4, 31, v4
	v_xor_b32_e32 v3, vcc_lo, v3
	v_and_b32_e32 v0, v0, v2
	v_cmp_gt_i32_e32 vcc_lo, 0, v6
	v_not_b32_e32 v2, v7
	v_ashrrev_i32_e32 v5, 31, v5
	v_xor_b32_e32 v4, s11, v4
	v_and_b32_e32 v0, v0, v3
	v_lshlrev_b32_e32 v3, 25, v1
	v_cmp_gt_i32_e64 s11, 0, v7
	v_ashrrev_i32_e32 v2, 31, v2
	v_xor_b32_e32 v5, vcc_lo, v5
	v_and_b32_e32 v0, v0, v4
	v_not_b32_e32 v6, v3
	v_lshlrev_b32_e32 v1, 24, v1
	v_bfe_u32 v4, v24, s14, 8
	v_xor_b32_e32 v2, s11, v2
	v_and_b32_e32 v0, v0, v5
	v_cmp_gt_i32_e32 vcc_lo, 0, v3
	v_ashrrev_i32_e32 v3, 31, v6
	v_not_b32_e32 v5, v1
	v_lshlrev_b32_e32 v4, 1, v4
	v_and_b32_e32 v0, v0, v2
	s_delay_alu instid0(VALU_DEP_4) | instskip(SKIP_3) | instid1(VALU_DEP_4)
	v_xor_b32_e32 v2, vcc_lo, v3
	v_cmp_gt_i32_e32 vcc_lo, 0, v1
	v_ashrrev_i32_e32 v1, 31, v5
	v_add_lshl_u32 v3, v4, v17, 2
	v_and_b32_e32 v0, v0, v2
	s_delay_alu instid0(VALU_DEP_3) | instskip(SKIP_3) | instid1(VALU_DEP_1)
	v_xor_b32_e32 v1, vcc_lo, v1
	ds_load_b32 v51, v3 offset:8
	v_add_nc_u32_e32 v53, 8, v3
	; wave barrier
	v_and_b32_e32 v0, v0, v1
	v_mbcnt_lo_u32_b32 v52, v0, 0
	v_cmp_ne_u32_e64 s11, 0, v0
	s_delay_alu instid0(VALU_DEP_2) | instskip(NEXT) | instid1(VALU_DEP_2)
	v_cmp_eq_u32_e32 vcc_lo, 0, v52
	s_and_b32 s15, s11, vcc_lo
	s_delay_alu instid0(SALU_CYCLE_1)
	s_and_saveexec_b32 s11, s15
	s_cbranch_execz .LBB6_20
; %bb.19:                               ;   in Loop: Header=BB6_4 Depth=2
	s_waitcnt lgkmcnt(0)
	v_bcnt_u32_b32 v0, v0, v51
	ds_store_b32 v53, v0
.LBB6_20:                               ;   in Loop: Header=BB6_4 Depth=2
	s_or_b32 exec_lo, exec_lo, s11
	; wave barrier
	s_waitcnt lgkmcnt(0)
	s_barrier
	buffer_gl0_inv
	ds_load_2addr_b64 v[4:7], v13 offset0:1 offset1:2
	ds_load_2addr_b64 v[0:3], v16 offset0:2 offset1:3
	s_waitcnt lgkmcnt(1)
	v_add_nc_u32_e32 v54, v5, v4
	s_delay_alu instid0(VALU_DEP_1) | instskip(SKIP_1) | instid1(VALU_DEP_1)
	v_add3_u32 v54, v54, v6, v7
	s_waitcnt lgkmcnt(0)
	v_add3_u32 v54, v54, v0, v1
	s_delay_alu instid0(VALU_DEP_1) | instskip(NEXT) | instid1(VALU_DEP_1)
	v_add3_u32 v3, v54, v2, v3
	v_mov_b32_dpp v54, v3 row_shr:1 row_mask:0xf bank_mask:0xf
	s_delay_alu instid0(VALU_DEP_1) | instskip(NEXT) | instid1(VALU_DEP_1)
	v_cndmask_b32_e64 v54, v54, 0, s0
	v_add_nc_u32_e32 v3, v54, v3
	s_delay_alu instid0(VALU_DEP_1) | instskip(NEXT) | instid1(VALU_DEP_1)
	v_mov_b32_dpp v54, v3 row_shr:2 row_mask:0xf bank_mask:0xf
	v_cndmask_b32_e64 v54, 0, v54, s1
	s_delay_alu instid0(VALU_DEP_1) | instskip(NEXT) | instid1(VALU_DEP_1)
	v_add_nc_u32_e32 v3, v3, v54
	v_mov_b32_dpp v54, v3 row_shr:4 row_mask:0xf bank_mask:0xf
	s_delay_alu instid0(VALU_DEP_1) | instskip(NEXT) | instid1(VALU_DEP_1)
	v_cndmask_b32_e64 v54, 0, v54, s2
	v_add_nc_u32_e32 v3, v3, v54
	s_delay_alu instid0(VALU_DEP_1) | instskip(NEXT) | instid1(VALU_DEP_1)
	v_mov_b32_dpp v54, v3 row_shr:8 row_mask:0xf bank_mask:0xf
	v_cndmask_b32_e64 v54, 0, v54, s3
	s_delay_alu instid0(VALU_DEP_1) | instskip(SKIP_3) | instid1(VALU_DEP_1)
	v_add_nc_u32_e32 v3, v3, v54
	ds_swizzle_b32 v54, v3 offset:swizzle(BROADCAST,32,15)
	s_waitcnt lgkmcnt(0)
	v_cndmask_b32_e64 v54, v54, 0, s4
	v_add_nc_u32_e32 v3, v3, v54
	s_and_saveexec_b32 s11, s5
	s_cbranch_execz .LBB6_22
; %bb.21:                               ;   in Loop: Header=BB6_4 Depth=2
	ds_store_b32 v19, v3
.LBB6_22:                               ;   in Loop: Header=BB6_4 Depth=2
	s_or_b32 exec_lo, exec_lo, s11
	s_waitcnt lgkmcnt(0)
	s_barrier
	buffer_gl0_inv
	s_and_saveexec_b32 s11, s6
	s_cbranch_execz .LBB6_24
; %bb.23:                               ;   in Loop: Header=BB6_4 Depth=2
	ds_load_b32 v54, v20
	s_waitcnt lgkmcnt(0)
	v_mov_b32_dpp v55, v54 row_shr:1 row_mask:0xf bank_mask:0xf
	s_delay_alu instid0(VALU_DEP_1) | instskip(NEXT) | instid1(VALU_DEP_1)
	v_cndmask_b32_e64 v55, v55, 0, s10
	v_add_nc_u32_e32 v54, v55, v54
	ds_store_b32 v20, v54
.LBB6_24:                               ;   in Loop: Header=BB6_4 Depth=2
	s_or_b32 exec_lo, exec_lo, s11
	v_mov_b32_e32 v54, 0
	s_waitcnt lgkmcnt(0)
	s_barrier
	buffer_gl0_inv
	s_and_saveexec_b32 s11, s7
	s_cbranch_execz .LBB6_26
; %bb.25:                               ;   in Loop: Header=BB6_4 Depth=2
	ds_load_b32 v54, v21
.LBB6_26:                               ;   in Loop: Header=BB6_4 Depth=2
	s_or_b32 exec_lo, exec_lo, s11
	s_waitcnt lgkmcnt(0)
	v_add_nc_u32_e32 v3, v54, v3
	s_cmp_gt_u32 s14, 23
	ds_bpermute_b32 v3, v18, v3
	s_waitcnt lgkmcnt(0)
	v_cndmask_b32_e64 v3, v3, v54, s8
	s_delay_alu instid0(VALU_DEP_1) | instskip(NEXT) | instid1(VALU_DEP_1)
	v_cndmask_b32_e64 v3, v3, 0, s9
	v_add_nc_u32_e32 v4, v3, v4
	s_delay_alu instid0(VALU_DEP_1) | instskip(NEXT) | instid1(VALU_DEP_1)
	v_add_nc_u32_e32 v5, v4, v5
	v_add_nc_u32_e32 v6, v5, v6
	s_delay_alu instid0(VALU_DEP_1) | instskip(NEXT) | instid1(VALU_DEP_1)
	v_add_nc_u32_e32 v54, v6, v7
	;; [unrolled: 3-line block ×3, first 2 shown]
	v_add_nc_u32_e32 v1, v0, v2
	ds_store_2addr_b64 v13, v[3:4], v[5:6] offset0:1 offset1:2
	ds_store_2addr_b64 v16, v[54:55], v[0:1] offset0:2 offset1:3
	s_waitcnt lgkmcnt(0)
	s_barrier
	buffer_gl0_inv
	ds_load_b32 v0, v32
	ds_load_b32 v1, v35
	;; [unrolled: 1-line block ×8, first 2 shown]
	s_waitcnt lgkmcnt(7)
	v_add_nc_u32_e32 v41, v0, v31
	s_waitcnt lgkmcnt(6)
	v_add3_u32 v38, v34, v33, v1
	s_waitcnt lgkmcnt(5)
	v_add3_u32 v36, v37, v36, v2
	;; [unrolled: 2-line block ×7, first 2 shown]
	s_cbranch_scc0 .LBB6_3
; %bb.27:                               ;   in Loop: Header=BB6_2 Depth=1
                                        ; implicit-def: $vgpr7
                                        ; implicit-def: $vgpr5
                                        ; implicit-def: $vgpr3
                                        ; implicit-def: $vgpr1
                                        ; implicit-def: $sgpr14
	s_branch .LBB6_1
.LBB6_28:
	v_lshlrev_b32_e32 v0, 2, v8
	s_add_u32 s0, s18, s12
	s_addc_u32 s1, s19, s13
	s_clause 0x7
	global_store_b32 v0, v2, s[0:1]
	global_store_b32 v0, v3, s[0:1] offset:256
	global_store_b32 v0, v4, s[0:1] offset:512
	;; [unrolled: 1-line block ×7, first 2 shown]
	s_nop 0
	s_sendmsg sendmsg(MSG_DEALLOC_VGPRS)
	s_endpgm
	.section	.rodata,"a",@progbits
	.p2align	6, 0x0
	.amdhsa_kernel _Z16sort_keys_kernelI22helper_blocked_blockediLj64ELj8ELj10EEvPKT0_PS1_
		.amdhsa_group_segment_fixed_size 2064
		.amdhsa_private_segment_fixed_size 0
		.amdhsa_kernarg_size 272
		.amdhsa_user_sgpr_count 15
		.amdhsa_user_sgpr_dispatch_ptr 0
		.amdhsa_user_sgpr_queue_ptr 0
		.amdhsa_user_sgpr_kernarg_segment_ptr 1
		.amdhsa_user_sgpr_dispatch_id 0
		.amdhsa_user_sgpr_private_segment_size 0
		.amdhsa_wavefront_size32 1
		.amdhsa_uses_dynamic_stack 0
		.amdhsa_enable_private_segment 0
		.amdhsa_system_sgpr_workgroup_id_x 1
		.amdhsa_system_sgpr_workgroup_id_y 0
		.amdhsa_system_sgpr_workgroup_id_z 0
		.amdhsa_system_sgpr_workgroup_info 0
		.amdhsa_system_vgpr_workitem_id 2
		.amdhsa_next_free_vgpr 56
		.amdhsa_next_free_sgpr 22
		.amdhsa_reserve_vcc 1
		.amdhsa_float_round_mode_32 0
		.amdhsa_float_round_mode_16_64 0
		.amdhsa_float_denorm_mode_32 3
		.amdhsa_float_denorm_mode_16_64 3
		.amdhsa_dx10_clamp 1
		.amdhsa_ieee_mode 1
		.amdhsa_fp16_overflow 0
		.amdhsa_workgroup_processor_mode 1
		.amdhsa_memory_ordered 1
		.amdhsa_forward_progress 0
		.amdhsa_shared_vgpr_count 0
		.amdhsa_exception_fp_ieee_invalid_op 0
		.amdhsa_exception_fp_denorm_src 0
		.amdhsa_exception_fp_ieee_div_zero 0
		.amdhsa_exception_fp_ieee_overflow 0
		.amdhsa_exception_fp_ieee_underflow 0
		.amdhsa_exception_fp_ieee_inexact 0
		.amdhsa_exception_int_div_zero 0
	.end_amdhsa_kernel
	.section	.text._Z16sort_keys_kernelI22helper_blocked_blockediLj64ELj8ELj10EEvPKT0_PS1_,"axG",@progbits,_Z16sort_keys_kernelI22helper_blocked_blockediLj64ELj8ELj10EEvPKT0_PS1_,comdat
.Lfunc_end6:
	.size	_Z16sort_keys_kernelI22helper_blocked_blockediLj64ELj8ELj10EEvPKT0_PS1_, .Lfunc_end6-_Z16sort_keys_kernelI22helper_blocked_blockediLj64ELj8ELj10EEvPKT0_PS1_
                                        ; -- End function
	.section	.AMDGPU.csdata,"",@progbits
; Kernel info:
; codeLenInByte = 4424
; NumSgprs: 24
; NumVgprs: 56
; ScratchSize: 0
; MemoryBound: 0
; FloatMode: 240
; IeeeMode: 1
; LDSByteSize: 2064 bytes/workgroup (compile time only)
; SGPRBlocks: 2
; VGPRBlocks: 6
; NumSGPRsForWavesPerEU: 24
; NumVGPRsForWavesPerEU: 56
; Occupancy: 16
; WaveLimiterHint : 1
; COMPUTE_PGM_RSRC2:SCRATCH_EN: 0
; COMPUTE_PGM_RSRC2:USER_SGPR: 15
; COMPUTE_PGM_RSRC2:TRAP_HANDLER: 0
; COMPUTE_PGM_RSRC2:TGID_X_EN: 1
; COMPUTE_PGM_RSRC2:TGID_Y_EN: 0
; COMPUTE_PGM_RSRC2:TGID_Z_EN: 0
; COMPUTE_PGM_RSRC2:TIDIG_COMP_CNT: 2
	.section	.text._Z17sort_pairs_kernelI22helper_blocked_blockediLj64ELj8ELj10EEvPKT0_PS1_,"axG",@progbits,_Z17sort_pairs_kernelI22helper_blocked_blockediLj64ELj8ELj10EEvPKT0_PS1_,comdat
	.protected	_Z17sort_pairs_kernelI22helper_blocked_blockediLj64ELj8ELj10EEvPKT0_PS1_ ; -- Begin function _Z17sort_pairs_kernelI22helper_blocked_blockediLj64ELj8ELj10EEvPKT0_PS1_
	.globl	_Z17sort_pairs_kernelI22helper_blocked_blockediLj64ELj8ELj10EEvPKT0_PS1_
	.p2align	8
	.type	_Z17sort_pairs_kernelI22helper_blocked_blockediLj64ELj8ELj10EEvPKT0_PS1_,@function
_Z17sort_pairs_kernelI22helper_blocked_blockediLj64ELj8ELj10EEvPKT0_PS1_: ; @_Z17sort_pairs_kernelI22helper_blocked_blockediLj64ELj8ELj10EEvPKT0_PS1_
; %bb.0:
	s_clause 0x1
	s_load_b128 s[16:19], s[0:1], 0x0
	s_load_b32 s10, s[0:1], 0x1c
	v_and_b32_e32 v8, 0x3ff, v0
	s_mov_b32 s21, 0
	s_lshl_b32 s20, s15, 9
	v_bfe_u32 v2, v0, 10, 10
	s_lshl_b64 s[12:13], s[20:21], 2
	v_lshlrev_b32_e32 v1, 2, v8
	v_bfe_u32 v0, v0, 20, 10
	s_mov_b32 s20, s21
	s_delay_alu instid0(SALU_CYCLE_1)
	v_dual_mov_b32 v11, s20 :: v_dual_mov_b32 v12, s21
	s_waitcnt lgkmcnt(0)
	s_add_u32 s0, s16, s12
	s_addc_u32 s1, s17, s13
	s_clause 0x7
	global_load_b32 v15, v1, s[0:1]
	global_load_b32 v16, v1, s[0:1] offset:256
	global_load_b32 v17, v1, s[0:1] offset:512
	;; [unrolled: 1-line block ×7, first 2 shown]
	v_mbcnt_lo_u32_b32 v1, -1, 0
	s_mov_b32 s1, s21
	s_mov_b32 s0, s21
	v_mov_b32_e32 v10, s1
	s_lshr_b32 s11, s10, 16
	v_add_nc_u32_e32 v5, -1, v1
	v_dual_mov_b32 v9, s0 :: v_dual_and_b32 v4, 16, v1
	v_and_b32_e32 v3, 15, v1
	v_and_b32_e32 v6, 1, v1
	v_lshlrev_b32_e32 v7, 3, v8
	v_and_b32_e32 v23, 32, v8
	v_cmp_gt_i32_e32 vcc_lo, 0, v5
	v_mad_u32_u24 v2, v0, s11, v2
	v_lshlrev_b32_e32 v21, 5, v8
	v_cmp_eq_u32_e64 s5, 0, v4
	v_lshrrev_b32_e32 v4, 3, v8
	s_and_b32 s10, s10, 0xffff
	v_cmp_eq_u32_e64 s0, 0, v1
	v_cmp_eq_u32_e64 s1, 0, v3
	v_cmp_lt_u32_e64 s2, 1, v3
	v_cmp_lt_u32_e64 s3, 3, v3
	;; [unrolled: 1-line block ×3, first 2 shown]
	v_dual_cndmask_b32 v3, v5, v1 :: v_dual_and_b32 v24, 4, v4
	v_cmp_eq_u32_e64 s9, 0, v6
	v_or_b32_e32 v5, v1, v23
	v_and_or_b32 v6, 0x100, v7, v1
	v_mad_u64_u32 v[0:1], null, v2, s10, v[8:9]
	v_mul_u32_u24_e32 v30, 28, v8
	v_or_b32_e32 v7, 31, v23
	v_mad_i32_i24 v25, 0xffffffe4, v8, v21
	v_cmp_gt_u32_e64 s6, 2, v8
	v_cmp_lt_u32_e64 s7, 31, v8
	v_cmp_eq_u32_e64 s8, 0, v8
	v_or_b32_e32 v22, 8, v21
	v_lshlrev_b32_e32 v23, 2, v3
	v_lshlrev_b32_e32 v26, 5, v5
	;; [unrolled: 1-line block ×3, first 2 shown]
	v_cmp_eq_u32_e64 s10, v7, v8
	v_add_nc_u32_e32 v28, -4, v24
	v_lshrrev_b32_e32 v29, 5, v0
	v_add_nc_u32_e32 v30, v25, v30
	s_waitcnt vmcnt(7)
	v_add_nc_u32_e32 v4, 1, v15
	s_waitcnt vmcnt(6)
	;; [unrolled: 2-line block ×8, first 2 shown]
	v_add_nc_u32_e32 v3, 1, v13
	s_branch .LBB7_2
.LBB7_1:                                ;   in Loop: Header=BB7_2 Depth=1
	v_lshlrev_b32_e32 v0, 2, v59
	v_lshlrev_b32_e32 v3, 2, v52
	;; [unrolled: 1-line block ×8, first 2 shown]
	s_barrier
	buffer_gl0_inv
	ds_store_b32 v0, v33
	ds_store_b32 v1, v46
	;; [unrolled: 1-line block ×8, first 2 shown]
	s_waitcnt lgkmcnt(0)
	s_barrier
	buffer_gl0_inv
	ds_load_2addr_b64 v[15:18], v30 offset1:1
	ds_load_2addr_b64 v[31:34], v30 offset0:2 offset1:3
	s_waitcnt lgkmcnt(0)
	s_barrier
	buffer_gl0_inv
	ds_store_b32 v0, v44
	ds_store_b32 v1, v43
	;; [unrolled: 1-line block ×8, first 2 shown]
	s_waitcnt lgkmcnt(0)
	s_barrier
	buffer_gl0_inv
	ds_load_2addr_b64 v[4:7], v30 offset1:1
	ds_load_2addr_b64 v[0:3], v30 offset0:2 offset1:3
	s_add_i32 s21, s21, 1
	s_delay_alu instid0(SALU_CYCLE_1)
	s_cmp_eq_u32 s21, 10
	v_xor_b32_e32 v15, 0x80000000, v15
	v_xor_b32_e32 v16, 0x80000000, v16
	;; [unrolled: 1-line block ×8, first 2 shown]
	s_cbranch_scc1 .LBB7_28
.LBB7_2:                                ; =>This Loop Header: Depth=1
                                        ;     Child Loop BB7_4 Depth 2
	v_xor_b32_e32 v15, 0x80000000, v15
	v_xor_b32_e32 v16, 0x80000000, v16
	;; [unrolled: 1-line block ×8, first 2 shown]
	ds_store_2addr_b64 v26, v[15:16], v[17:18] offset1:1
	ds_store_2addr_b64 v26, v[19:20], v[31:32] offset0:2 offset1:3
	; wave barrier
	ds_load_2addr_b32 v[13:14], v27 offset1:32
	ds_load_2addr_b32 v[15:16], v27 offset0:64 offset1:96
	ds_load_2addr_b32 v[17:18], v27 offset0:128 offset1:160
	;; [unrolled: 1-line block ×3, first 2 shown]
	; wave barrier
	s_waitcnt lgkmcnt(7)
	ds_store_2addr_b64 v26, v[4:5], v[6:7] offset1:1
	s_waitcnt lgkmcnt(7)
	ds_store_2addr_b64 v26, v[0:1], v[2:3] offset0:2 offset1:3
	; wave barrier
	ds_load_2addr_b32 v[0:1], v27 offset1:32
	ds_load_2addr_b32 v[2:3], v27 offset0:64 offset1:96
	ds_load_2addr_b32 v[4:5], v27 offset0:128 offset1:160
	;; [unrolled: 1-line block ×3, first 2 shown]
	s_mov_b32 s14, 0
	s_waitcnt lgkmcnt(0)
	s_barrier
	s_branch .LBB7_4
.LBB7_3:                                ;   in Loop: Header=BB7_4 Depth=2
	v_lshlrev_b32_e32 v0, 2, v59
	v_lshlrev_b32_e32 v3, 2, v52
	;; [unrolled: 1-line block ×8, first 2 shown]
	s_barrier
	buffer_gl0_inv
	ds_store_b32 v0, v33
	ds_store_b32 v1, v46
	;; [unrolled: 1-line block ×8, first 2 shown]
	s_waitcnt lgkmcnt(0)
	s_barrier
	buffer_gl0_inv
	ds_load_2addr_b32 v[13:14], v27 offset1:32
	ds_load_2addr_b32 v[15:16], v27 offset0:64 offset1:96
	ds_load_2addr_b32 v[17:18], v27 offset0:128 offset1:160
	;; [unrolled: 1-line block ×3, first 2 shown]
	s_waitcnt lgkmcnt(0)
	s_barrier
	buffer_gl0_inv
	ds_store_b32 v0, v44
	ds_store_b32 v1, v43
	;; [unrolled: 1-line block ×8, first 2 shown]
	s_waitcnt lgkmcnt(0)
	s_barrier
	buffer_gl0_inv
	ds_load_2addr_b32 v[0:1], v27 offset1:32
	ds_load_2addr_b32 v[2:3], v27 offset0:64 offset1:96
	ds_load_2addr_b32 v[4:5], v27 offset0:128 offset1:160
	ds_load_2addr_b32 v[6:7], v27 offset0:192 offset1:224
	s_add_i32 s14, s14, 8
	s_waitcnt lgkmcnt(0)
	s_barrier
	s_cbranch_execz .LBB7_1
.LBB7_4:                                ;   Parent Loop BB7_2 Depth=1
                                        ; =>  This Inner Loop Header: Depth=2
	v_dual_mov_b32 v33, v13 :: v_dual_mov_b32 v32, v19
	v_dual_mov_b32 v31, v20 :: v_dual_mov_b32 v34, v18
	buffer_gl0_inv
	v_bfe_u32 v13, v33, s14, 1
	v_lshrrev_b32_e32 v18, s14, v33
	v_mov_b32_e32 v35, v17
	ds_store_2addr_b64 v21, v[11:12], v[9:10] offset0:1 offset1:2
	ds_store_2addr_b64 v22, v[11:12], v[9:10] offset0:2 offset1:3
	s_waitcnt lgkmcnt(0)
	v_add_co_u32 v13, s11, v13, -1
	v_lshlrev_b32_e32 v20, 29, v18
	v_cndmask_b32_e64 v17, 0, 1, s11
	v_dual_mov_b32 v46, v14 :: v_dual_lshlrev_b32 v19, 30, v18
	v_dual_mov_b32 v41, v16 :: v_dual_lshlrev_b32 v36, 28, v18
	s_delay_alu instid0(VALU_DEP_3) | instskip(NEXT) | instid1(VALU_DEP_3)
	v_cmp_ne_u32_e32 vcc_lo, 0, v17
	v_not_b32_e32 v17, v19
	v_cmp_gt_i32_e64 s11, 0, v19
	v_not_b32_e32 v19, v20
	v_lshlrev_b32_e32 v37, 27, v18
	v_xor_b32_e32 v13, vcc_lo, v13
	v_ashrrev_i32_e32 v17, 31, v17
	v_cmp_gt_i32_e32 vcc_lo, 0, v20
	v_not_b32_e32 v20, v36
	v_ashrrev_i32_e32 v19, 31, v19
	v_and_b32_e32 v13, exec_lo, v13
	v_xor_b32_e32 v17, s11, v17
	v_dual_mov_b32 v45, v15 :: v_dual_lshlrev_b32 v38, 26, v18
	v_cmp_gt_i32_e64 s11, 0, v36
	v_not_b32_e32 v36, v37
	v_ashrrev_i32_e32 v20, 31, v20
	v_xor_b32_e32 v19, vcc_lo, v19
	v_dual_mov_b32 v40, v3 :: v_dual_and_b32 v13, v13, v17
	v_cmp_gt_i32_e32 vcc_lo, 0, v37
	v_not_b32_e32 v17, v38
	v_ashrrev_i32_e32 v36, 31, v36
	v_xor_b32_e32 v20, s11, v20
	v_dual_mov_b32 v42, v2 :: v_dual_and_b32 v13, v13, v19
	v_dual_mov_b32 v44, v0 :: v_dual_lshlrev_b32 v19, 25, v18
	v_cmp_gt_i32_e64 s11, 0, v38
	v_ashrrev_i32_e32 v17, 31, v17
	v_xor_b32_e32 v36, vcc_lo, v36
	v_and_b32_e32 v13, v13, v20
	v_not_b32_e32 v20, v19
	v_dual_mov_b32 v37, v6 :: v_dual_lshlrev_b32 v18, 24, v18
	v_cmp_gt_i32_e32 vcc_lo, 0, v19
	v_xor_b32_e32 v17, s11, v17
	v_and_b32_e32 v13, v13, v36
	v_ashrrev_i32_e32 v19, 31, v20
	v_not_b32_e32 v16, v18
	v_dual_mov_b32 v36, v7 :: v_dual_mov_b32 v39, v4
	s_delay_alu instid0(VALU_DEP_4) | instskip(NEXT) | instid1(VALU_DEP_4)
	v_and_b32_e32 v13, v13, v17
	v_xor_b32_e32 v15, vcc_lo, v19
	v_cmp_gt_i32_e32 vcc_lo, 0, v18
	v_ashrrev_i32_e32 v16, 31, v16
	v_bfe_u32 v0, v33, s14, 8
	v_mov_b32_e32 v43, v1
	v_and_b32_e32 v6, v13, v15
	v_mov_b32_e32 v38, v5
	v_xor_b32_e32 v7, vcc_lo, v16
	v_lshl_add_u32 v0, v0, 1, v29
	s_barrier
	buffer_gl0_inv
	v_and_b32_e32 v2, v6, v7
	v_lshl_add_u32 v14, v0, 2, 8
	; wave barrier
	s_delay_alu instid0(VALU_DEP_2) | instskip(SKIP_1) | instid1(VALU_DEP_2)
	v_mbcnt_lo_u32_b32 v13, v2, 0
	v_cmp_ne_u32_e64 s11, 0, v2
	v_cmp_eq_u32_e32 vcc_lo, 0, v13
	s_delay_alu instid0(VALU_DEP_2) | instskip(NEXT) | instid1(SALU_CYCLE_1)
	s_and_b32 s15, s11, vcc_lo
	s_and_saveexec_b32 s11, s15
	s_cbranch_execz .LBB7_6
; %bb.5:                                ;   in Loop: Header=BB7_4 Depth=2
	v_bcnt_u32_b32 v0, v2, 0
	ds_store_b32 v14, v0
.LBB7_6:                                ;   in Loop: Header=BB7_4 Depth=2
	s_or_b32 exec_lo, exec_lo, s11
	v_bfe_u32 v0, v46, s14, 1
	v_lshrrev_b32_e32 v1, s14, v46
	; wave barrier
	s_delay_alu instid0(VALU_DEP_2) | instskip(NEXT) | instid1(VALU_DEP_1)
	v_add_co_u32 v0, s11, v0, -1
	v_cndmask_b32_e64 v2, 0, 1, s11
	s_delay_alu instid0(VALU_DEP_3)
	v_lshlrev_b32_e32 v3, 30, v1
	v_lshlrev_b32_e32 v4, 29, v1
	;; [unrolled: 1-line block ×4, first 2 shown]
	v_cmp_ne_u32_e32 vcc_lo, 0, v2
	v_not_b32_e32 v2, v3
	v_cmp_gt_i32_e64 s11, 0, v3
	v_not_b32_e32 v3, v4
	v_lshlrev_b32_e32 v7, 26, v1
	v_xor_b32_e32 v0, vcc_lo, v0
	v_ashrrev_i32_e32 v2, 31, v2
	v_cmp_gt_i32_e32 vcc_lo, 0, v4
	v_not_b32_e32 v4, v5
	v_ashrrev_i32_e32 v3, 31, v3
	v_and_b32_e32 v0, exec_lo, v0
	v_xor_b32_e32 v2, s11, v2
	v_cmp_gt_i32_e64 s11, 0, v5
	v_not_b32_e32 v5, v6
	v_ashrrev_i32_e32 v4, 31, v4
	v_xor_b32_e32 v3, vcc_lo, v3
	v_and_b32_e32 v0, v0, v2
	v_cmp_gt_i32_e32 vcc_lo, 0, v6
	v_not_b32_e32 v2, v7
	v_ashrrev_i32_e32 v5, 31, v5
	v_xor_b32_e32 v4, s11, v4
	v_and_b32_e32 v0, v0, v3
	v_lshlrev_b32_e32 v3, 25, v1
	v_cmp_gt_i32_e64 s11, 0, v7
	v_ashrrev_i32_e32 v2, 31, v2
	v_xor_b32_e32 v5, vcc_lo, v5
	v_and_b32_e32 v0, v0, v4
	v_not_b32_e32 v6, v3
	v_lshlrev_b32_e32 v1, 24, v1
	v_bfe_u32 v4, v46, s14, 8
	v_xor_b32_e32 v2, s11, v2
	v_and_b32_e32 v0, v0, v5
	v_cmp_gt_i32_e32 vcc_lo, 0, v3
	v_ashrrev_i32_e32 v3, 31, v6
	v_not_b32_e32 v5, v1
	v_lshlrev_b32_e32 v4, 1, v4
	v_and_b32_e32 v0, v0, v2
	s_delay_alu instid0(VALU_DEP_4) | instskip(SKIP_3) | instid1(VALU_DEP_4)
	v_xor_b32_e32 v2, vcc_lo, v3
	v_cmp_gt_i32_e32 vcc_lo, 0, v1
	v_ashrrev_i32_e32 v1, 31, v5
	v_add_lshl_u32 v3, v4, v29, 2
	v_and_b32_e32 v0, v0, v2
	s_delay_alu instid0(VALU_DEP_3) | instskip(SKIP_3) | instid1(VALU_DEP_1)
	v_xor_b32_e32 v1, vcc_lo, v1
	ds_load_b32 v15, v3 offset:8
	v_add_nc_u32_e32 v17, 8, v3
	; wave barrier
	v_and_b32_e32 v0, v0, v1
	v_mbcnt_lo_u32_b32 v16, v0, 0
	v_cmp_ne_u32_e64 s11, 0, v0
	s_delay_alu instid0(VALU_DEP_2) | instskip(NEXT) | instid1(VALU_DEP_2)
	v_cmp_eq_u32_e32 vcc_lo, 0, v16
	s_and_b32 s15, s11, vcc_lo
	s_delay_alu instid0(SALU_CYCLE_1)
	s_and_saveexec_b32 s11, s15
	s_cbranch_execz .LBB7_8
; %bb.7:                                ;   in Loop: Header=BB7_4 Depth=2
	s_waitcnt lgkmcnt(0)
	v_bcnt_u32_b32 v0, v0, v15
	ds_store_b32 v17, v0
.LBB7_8:                                ;   in Loop: Header=BB7_4 Depth=2
	s_or_b32 exec_lo, exec_lo, s11
	v_bfe_u32 v0, v45, s14, 1
	v_lshrrev_b32_e32 v1, s14, v45
	; wave barrier
	s_delay_alu instid0(VALU_DEP_2) | instskip(NEXT) | instid1(VALU_DEP_1)
	v_add_co_u32 v0, s11, v0, -1
	v_cndmask_b32_e64 v2, 0, 1, s11
	s_delay_alu instid0(VALU_DEP_3)
	v_lshlrev_b32_e32 v3, 30, v1
	v_lshlrev_b32_e32 v4, 29, v1
	;; [unrolled: 1-line block ×4, first 2 shown]
	v_cmp_ne_u32_e32 vcc_lo, 0, v2
	v_not_b32_e32 v2, v3
	v_cmp_gt_i32_e64 s11, 0, v3
	v_not_b32_e32 v3, v4
	v_lshlrev_b32_e32 v7, 26, v1
	v_xor_b32_e32 v0, vcc_lo, v0
	v_ashrrev_i32_e32 v2, 31, v2
	v_cmp_gt_i32_e32 vcc_lo, 0, v4
	v_not_b32_e32 v4, v5
	v_ashrrev_i32_e32 v3, 31, v3
	v_and_b32_e32 v0, exec_lo, v0
	v_xor_b32_e32 v2, s11, v2
	v_cmp_gt_i32_e64 s11, 0, v5
	v_not_b32_e32 v5, v6
	v_ashrrev_i32_e32 v4, 31, v4
	v_xor_b32_e32 v3, vcc_lo, v3
	v_and_b32_e32 v0, v0, v2
	v_cmp_gt_i32_e32 vcc_lo, 0, v6
	v_not_b32_e32 v2, v7
	v_ashrrev_i32_e32 v5, 31, v5
	v_xor_b32_e32 v4, s11, v4
	v_and_b32_e32 v0, v0, v3
	v_lshlrev_b32_e32 v3, 25, v1
	v_cmp_gt_i32_e64 s11, 0, v7
	v_ashrrev_i32_e32 v2, 31, v2
	v_xor_b32_e32 v5, vcc_lo, v5
	v_and_b32_e32 v0, v0, v4
	v_not_b32_e32 v6, v3
	v_lshlrev_b32_e32 v1, 24, v1
	v_bfe_u32 v4, v45, s14, 8
	v_xor_b32_e32 v2, s11, v2
	v_and_b32_e32 v0, v0, v5
	v_cmp_gt_i32_e32 vcc_lo, 0, v3
	v_ashrrev_i32_e32 v3, 31, v6
	v_not_b32_e32 v5, v1
	v_lshlrev_b32_e32 v4, 1, v4
	v_and_b32_e32 v0, v0, v2
	s_delay_alu instid0(VALU_DEP_4) | instskip(SKIP_3) | instid1(VALU_DEP_4)
	v_xor_b32_e32 v2, vcc_lo, v3
	v_cmp_gt_i32_e32 vcc_lo, 0, v1
	v_ashrrev_i32_e32 v1, 31, v5
	v_add_lshl_u32 v3, v4, v29, 2
	v_and_b32_e32 v0, v0, v2
	s_delay_alu instid0(VALU_DEP_3) | instskip(SKIP_3) | instid1(VALU_DEP_1)
	v_xor_b32_e32 v1, vcc_lo, v1
	ds_load_b32 v18, v3 offset:8
	v_add_nc_u32_e32 v20, 8, v3
	; wave barrier
	v_and_b32_e32 v0, v0, v1
	v_mbcnt_lo_u32_b32 v19, v0, 0
	v_cmp_ne_u32_e64 s11, 0, v0
	s_delay_alu instid0(VALU_DEP_2) | instskip(NEXT) | instid1(VALU_DEP_2)
	v_cmp_eq_u32_e32 vcc_lo, 0, v19
	s_and_b32 s15, s11, vcc_lo
	s_delay_alu instid0(SALU_CYCLE_1)
	s_and_saveexec_b32 s11, s15
	s_cbranch_execz .LBB7_10
; %bb.9:                                ;   in Loop: Header=BB7_4 Depth=2
	s_waitcnt lgkmcnt(0)
	v_bcnt_u32_b32 v0, v0, v18
	ds_store_b32 v20, v0
.LBB7_10:                               ;   in Loop: Header=BB7_4 Depth=2
	s_or_b32 exec_lo, exec_lo, s11
	v_bfe_u32 v0, v41, s14, 1
	v_lshrrev_b32_e32 v1, s14, v41
	; wave barrier
	s_delay_alu instid0(VALU_DEP_2) | instskip(NEXT) | instid1(VALU_DEP_1)
	v_add_co_u32 v0, s11, v0, -1
	v_cndmask_b32_e64 v2, 0, 1, s11
	s_delay_alu instid0(VALU_DEP_3)
	v_lshlrev_b32_e32 v3, 30, v1
	v_lshlrev_b32_e32 v4, 29, v1
	;; [unrolled: 1-line block ×4, first 2 shown]
	v_cmp_ne_u32_e32 vcc_lo, 0, v2
	v_not_b32_e32 v2, v3
	v_cmp_gt_i32_e64 s11, 0, v3
	v_not_b32_e32 v3, v4
	v_lshlrev_b32_e32 v7, 26, v1
	v_xor_b32_e32 v0, vcc_lo, v0
	v_ashrrev_i32_e32 v2, 31, v2
	v_cmp_gt_i32_e32 vcc_lo, 0, v4
	v_not_b32_e32 v4, v5
	v_ashrrev_i32_e32 v3, 31, v3
	v_and_b32_e32 v0, exec_lo, v0
	v_xor_b32_e32 v2, s11, v2
	v_cmp_gt_i32_e64 s11, 0, v5
	v_not_b32_e32 v5, v6
	v_ashrrev_i32_e32 v4, 31, v4
	v_xor_b32_e32 v3, vcc_lo, v3
	v_and_b32_e32 v0, v0, v2
	v_cmp_gt_i32_e32 vcc_lo, 0, v6
	v_not_b32_e32 v2, v7
	v_ashrrev_i32_e32 v5, 31, v5
	v_xor_b32_e32 v4, s11, v4
	v_and_b32_e32 v0, v0, v3
	v_lshlrev_b32_e32 v3, 25, v1
	v_cmp_gt_i32_e64 s11, 0, v7
	v_ashrrev_i32_e32 v2, 31, v2
	v_xor_b32_e32 v5, vcc_lo, v5
	v_and_b32_e32 v0, v0, v4
	v_not_b32_e32 v6, v3
	v_lshlrev_b32_e32 v1, 24, v1
	v_bfe_u32 v4, v41, s14, 8
	v_xor_b32_e32 v2, s11, v2
	v_and_b32_e32 v0, v0, v5
	v_cmp_gt_i32_e32 vcc_lo, 0, v3
	v_ashrrev_i32_e32 v3, 31, v6
	v_not_b32_e32 v5, v1
	v_lshlrev_b32_e32 v4, 1, v4
	v_and_b32_e32 v0, v0, v2
	s_delay_alu instid0(VALU_DEP_4) | instskip(SKIP_3) | instid1(VALU_DEP_4)
	v_xor_b32_e32 v2, vcc_lo, v3
	v_cmp_gt_i32_e32 vcc_lo, 0, v1
	v_ashrrev_i32_e32 v1, 31, v5
	v_add_lshl_u32 v3, v4, v29, 2
	v_and_b32_e32 v0, v0, v2
	s_delay_alu instid0(VALU_DEP_3) | instskip(SKIP_3) | instid1(VALU_DEP_1)
	v_xor_b32_e32 v1, vcc_lo, v1
	ds_load_b32 v47, v3 offset:8
	v_add_nc_u32_e32 v49, 8, v3
	; wave barrier
	v_and_b32_e32 v0, v0, v1
	v_mbcnt_lo_u32_b32 v48, v0, 0
	v_cmp_ne_u32_e64 s11, 0, v0
	s_delay_alu instid0(VALU_DEP_2) | instskip(NEXT) | instid1(VALU_DEP_2)
	v_cmp_eq_u32_e32 vcc_lo, 0, v48
	s_and_b32 s15, s11, vcc_lo
	s_delay_alu instid0(SALU_CYCLE_1)
	s_and_saveexec_b32 s11, s15
	s_cbranch_execz .LBB7_12
; %bb.11:                               ;   in Loop: Header=BB7_4 Depth=2
	s_waitcnt lgkmcnt(0)
	v_bcnt_u32_b32 v0, v0, v47
	ds_store_b32 v49, v0
.LBB7_12:                               ;   in Loop: Header=BB7_4 Depth=2
	s_or_b32 exec_lo, exec_lo, s11
	v_bfe_u32 v0, v35, s14, 1
	v_lshrrev_b32_e32 v1, s14, v35
	; wave barrier
	s_delay_alu instid0(VALU_DEP_2) | instskip(NEXT) | instid1(VALU_DEP_1)
	v_add_co_u32 v0, s11, v0, -1
	v_cndmask_b32_e64 v2, 0, 1, s11
	s_delay_alu instid0(VALU_DEP_3)
	v_lshlrev_b32_e32 v3, 30, v1
	v_lshlrev_b32_e32 v4, 29, v1
	;; [unrolled: 1-line block ×4, first 2 shown]
	v_cmp_ne_u32_e32 vcc_lo, 0, v2
	v_not_b32_e32 v2, v3
	v_cmp_gt_i32_e64 s11, 0, v3
	v_not_b32_e32 v3, v4
	v_lshlrev_b32_e32 v7, 26, v1
	v_xor_b32_e32 v0, vcc_lo, v0
	v_ashrrev_i32_e32 v2, 31, v2
	v_cmp_gt_i32_e32 vcc_lo, 0, v4
	v_not_b32_e32 v4, v5
	v_ashrrev_i32_e32 v3, 31, v3
	v_and_b32_e32 v0, exec_lo, v0
	v_xor_b32_e32 v2, s11, v2
	v_cmp_gt_i32_e64 s11, 0, v5
	v_not_b32_e32 v5, v6
	v_ashrrev_i32_e32 v4, 31, v4
	v_xor_b32_e32 v3, vcc_lo, v3
	v_and_b32_e32 v0, v0, v2
	v_cmp_gt_i32_e32 vcc_lo, 0, v6
	v_not_b32_e32 v2, v7
	v_ashrrev_i32_e32 v5, 31, v5
	v_xor_b32_e32 v4, s11, v4
	v_and_b32_e32 v0, v0, v3
	v_lshlrev_b32_e32 v3, 25, v1
	v_cmp_gt_i32_e64 s11, 0, v7
	v_ashrrev_i32_e32 v2, 31, v2
	v_xor_b32_e32 v5, vcc_lo, v5
	v_and_b32_e32 v0, v0, v4
	v_not_b32_e32 v6, v3
	v_lshlrev_b32_e32 v1, 24, v1
	v_bfe_u32 v4, v35, s14, 8
	v_xor_b32_e32 v2, s11, v2
	v_and_b32_e32 v0, v0, v5
	v_cmp_gt_i32_e32 vcc_lo, 0, v3
	v_ashrrev_i32_e32 v3, 31, v6
	v_not_b32_e32 v5, v1
	v_lshlrev_b32_e32 v4, 1, v4
	v_and_b32_e32 v0, v0, v2
	s_delay_alu instid0(VALU_DEP_4) | instskip(SKIP_3) | instid1(VALU_DEP_4)
	v_xor_b32_e32 v2, vcc_lo, v3
	v_cmp_gt_i32_e32 vcc_lo, 0, v1
	v_ashrrev_i32_e32 v1, 31, v5
	v_add_lshl_u32 v3, v4, v29, 2
	v_and_b32_e32 v0, v0, v2
	s_delay_alu instid0(VALU_DEP_3) | instskip(SKIP_3) | instid1(VALU_DEP_1)
	v_xor_b32_e32 v1, vcc_lo, v1
	ds_load_b32 v50, v3 offset:8
	v_add_nc_u32_e32 v52, 8, v3
	; wave barrier
	v_and_b32_e32 v0, v0, v1
	v_mbcnt_lo_u32_b32 v51, v0, 0
	v_cmp_ne_u32_e64 s11, 0, v0
	s_delay_alu instid0(VALU_DEP_2) | instskip(NEXT) | instid1(VALU_DEP_2)
	v_cmp_eq_u32_e32 vcc_lo, 0, v51
	s_and_b32 s15, s11, vcc_lo
	s_delay_alu instid0(SALU_CYCLE_1)
	s_and_saveexec_b32 s11, s15
	s_cbranch_execz .LBB7_14
; %bb.13:                               ;   in Loop: Header=BB7_4 Depth=2
	s_waitcnt lgkmcnt(0)
	v_bcnt_u32_b32 v0, v0, v50
	ds_store_b32 v52, v0
.LBB7_14:                               ;   in Loop: Header=BB7_4 Depth=2
	s_or_b32 exec_lo, exec_lo, s11
	v_bfe_u32 v0, v34, s14, 1
	v_lshrrev_b32_e32 v1, s14, v34
	; wave barrier
	s_delay_alu instid0(VALU_DEP_2) | instskip(NEXT) | instid1(VALU_DEP_1)
	v_add_co_u32 v0, s11, v0, -1
	v_cndmask_b32_e64 v2, 0, 1, s11
	s_delay_alu instid0(VALU_DEP_3)
	v_lshlrev_b32_e32 v3, 30, v1
	v_lshlrev_b32_e32 v4, 29, v1
	;; [unrolled: 1-line block ×4, first 2 shown]
	v_cmp_ne_u32_e32 vcc_lo, 0, v2
	v_not_b32_e32 v2, v3
	v_cmp_gt_i32_e64 s11, 0, v3
	v_not_b32_e32 v3, v4
	v_lshlrev_b32_e32 v7, 26, v1
	v_xor_b32_e32 v0, vcc_lo, v0
	v_ashrrev_i32_e32 v2, 31, v2
	v_cmp_gt_i32_e32 vcc_lo, 0, v4
	v_not_b32_e32 v4, v5
	v_ashrrev_i32_e32 v3, 31, v3
	v_and_b32_e32 v0, exec_lo, v0
	v_xor_b32_e32 v2, s11, v2
	v_cmp_gt_i32_e64 s11, 0, v5
	v_not_b32_e32 v5, v6
	v_ashrrev_i32_e32 v4, 31, v4
	v_xor_b32_e32 v3, vcc_lo, v3
	v_and_b32_e32 v0, v0, v2
	v_cmp_gt_i32_e32 vcc_lo, 0, v6
	v_not_b32_e32 v2, v7
	v_ashrrev_i32_e32 v5, 31, v5
	v_xor_b32_e32 v4, s11, v4
	v_and_b32_e32 v0, v0, v3
	v_lshlrev_b32_e32 v3, 25, v1
	v_cmp_gt_i32_e64 s11, 0, v7
	v_ashrrev_i32_e32 v2, 31, v2
	v_xor_b32_e32 v5, vcc_lo, v5
	v_and_b32_e32 v0, v0, v4
	v_not_b32_e32 v6, v3
	v_lshlrev_b32_e32 v1, 24, v1
	v_bfe_u32 v4, v34, s14, 8
	v_xor_b32_e32 v2, s11, v2
	v_and_b32_e32 v0, v0, v5
	v_cmp_gt_i32_e32 vcc_lo, 0, v3
	v_ashrrev_i32_e32 v3, 31, v6
	v_not_b32_e32 v5, v1
	v_lshlrev_b32_e32 v4, 1, v4
	v_and_b32_e32 v0, v0, v2
	s_delay_alu instid0(VALU_DEP_4) | instskip(SKIP_3) | instid1(VALU_DEP_4)
	v_xor_b32_e32 v2, vcc_lo, v3
	v_cmp_gt_i32_e32 vcc_lo, 0, v1
	v_ashrrev_i32_e32 v1, 31, v5
	v_add_lshl_u32 v3, v4, v29, 2
	v_and_b32_e32 v0, v0, v2
	s_delay_alu instid0(VALU_DEP_3) | instskip(SKIP_3) | instid1(VALU_DEP_1)
	v_xor_b32_e32 v1, vcc_lo, v1
	ds_load_b32 v53, v3 offset:8
	v_add_nc_u32_e32 v55, 8, v3
	; wave barrier
	v_and_b32_e32 v0, v0, v1
	v_mbcnt_lo_u32_b32 v54, v0, 0
	v_cmp_ne_u32_e64 s11, 0, v0
	s_delay_alu instid0(VALU_DEP_2) | instskip(NEXT) | instid1(VALU_DEP_2)
	v_cmp_eq_u32_e32 vcc_lo, 0, v54
	s_and_b32 s15, s11, vcc_lo
	s_delay_alu instid0(SALU_CYCLE_1)
	s_and_saveexec_b32 s11, s15
	s_cbranch_execz .LBB7_16
; %bb.15:                               ;   in Loop: Header=BB7_4 Depth=2
	s_waitcnt lgkmcnt(0)
	v_bcnt_u32_b32 v0, v0, v53
	ds_store_b32 v55, v0
.LBB7_16:                               ;   in Loop: Header=BB7_4 Depth=2
	s_or_b32 exec_lo, exec_lo, s11
	v_bfe_u32 v0, v32, s14, 1
	v_lshrrev_b32_e32 v1, s14, v32
	; wave barrier
	s_delay_alu instid0(VALU_DEP_2) | instskip(NEXT) | instid1(VALU_DEP_1)
	v_add_co_u32 v0, s11, v0, -1
	v_cndmask_b32_e64 v2, 0, 1, s11
	s_delay_alu instid0(VALU_DEP_3)
	v_lshlrev_b32_e32 v3, 30, v1
	v_lshlrev_b32_e32 v4, 29, v1
	;; [unrolled: 1-line block ×4, first 2 shown]
	v_cmp_ne_u32_e32 vcc_lo, 0, v2
	v_not_b32_e32 v2, v3
	v_cmp_gt_i32_e64 s11, 0, v3
	v_not_b32_e32 v3, v4
	v_lshlrev_b32_e32 v7, 26, v1
	v_xor_b32_e32 v0, vcc_lo, v0
	v_ashrrev_i32_e32 v2, 31, v2
	v_cmp_gt_i32_e32 vcc_lo, 0, v4
	v_not_b32_e32 v4, v5
	v_ashrrev_i32_e32 v3, 31, v3
	v_and_b32_e32 v0, exec_lo, v0
	v_xor_b32_e32 v2, s11, v2
	v_cmp_gt_i32_e64 s11, 0, v5
	v_not_b32_e32 v5, v6
	v_ashrrev_i32_e32 v4, 31, v4
	v_xor_b32_e32 v3, vcc_lo, v3
	v_and_b32_e32 v0, v0, v2
	v_cmp_gt_i32_e32 vcc_lo, 0, v6
	v_not_b32_e32 v2, v7
	v_ashrrev_i32_e32 v5, 31, v5
	v_xor_b32_e32 v4, s11, v4
	v_and_b32_e32 v0, v0, v3
	v_lshlrev_b32_e32 v3, 25, v1
	v_cmp_gt_i32_e64 s11, 0, v7
	v_ashrrev_i32_e32 v2, 31, v2
	v_xor_b32_e32 v5, vcc_lo, v5
	v_and_b32_e32 v0, v0, v4
	v_not_b32_e32 v6, v3
	v_lshlrev_b32_e32 v1, 24, v1
	v_bfe_u32 v4, v32, s14, 8
	v_xor_b32_e32 v2, s11, v2
	v_and_b32_e32 v0, v0, v5
	v_cmp_gt_i32_e32 vcc_lo, 0, v3
	v_ashrrev_i32_e32 v3, 31, v6
	v_not_b32_e32 v5, v1
	v_lshlrev_b32_e32 v4, 1, v4
	v_and_b32_e32 v0, v0, v2
	s_delay_alu instid0(VALU_DEP_4) | instskip(SKIP_3) | instid1(VALU_DEP_4)
	v_xor_b32_e32 v2, vcc_lo, v3
	v_cmp_gt_i32_e32 vcc_lo, 0, v1
	v_ashrrev_i32_e32 v1, 31, v5
	v_add_lshl_u32 v3, v4, v29, 2
	v_and_b32_e32 v0, v0, v2
	s_delay_alu instid0(VALU_DEP_3) | instskip(SKIP_3) | instid1(VALU_DEP_1)
	v_xor_b32_e32 v1, vcc_lo, v1
	ds_load_b32 v56, v3 offset:8
	v_add_nc_u32_e32 v58, 8, v3
	; wave barrier
	v_and_b32_e32 v0, v0, v1
	v_mbcnt_lo_u32_b32 v57, v0, 0
	v_cmp_ne_u32_e64 s11, 0, v0
	s_delay_alu instid0(VALU_DEP_2) | instskip(NEXT) | instid1(VALU_DEP_2)
	v_cmp_eq_u32_e32 vcc_lo, 0, v57
	s_and_b32 s15, s11, vcc_lo
	s_delay_alu instid0(SALU_CYCLE_1)
	s_and_saveexec_b32 s11, s15
	s_cbranch_execz .LBB7_18
; %bb.17:                               ;   in Loop: Header=BB7_4 Depth=2
	s_waitcnt lgkmcnt(0)
	v_bcnt_u32_b32 v0, v0, v56
	ds_store_b32 v58, v0
.LBB7_18:                               ;   in Loop: Header=BB7_4 Depth=2
	s_or_b32 exec_lo, exec_lo, s11
	v_bfe_u32 v0, v31, s14, 1
	v_lshrrev_b32_e32 v1, s14, v31
	; wave barrier
	s_delay_alu instid0(VALU_DEP_2) | instskip(NEXT) | instid1(VALU_DEP_1)
	v_add_co_u32 v0, s11, v0, -1
	v_cndmask_b32_e64 v2, 0, 1, s11
	s_delay_alu instid0(VALU_DEP_3)
	v_lshlrev_b32_e32 v3, 30, v1
	v_lshlrev_b32_e32 v4, 29, v1
	;; [unrolled: 1-line block ×4, first 2 shown]
	v_cmp_ne_u32_e32 vcc_lo, 0, v2
	v_not_b32_e32 v2, v3
	v_cmp_gt_i32_e64 s11, 0, v3
	v_not_b32_e32 v3, v4
	v_lshlrev_b32_e32 v7, 26, v1
	v_xor_b32_e32 v0, vcc_lo, v0
	v_ashrrev_i32_e32 v2, 31, v2
	v_cmp_gt_i32_e32 vcc_lo, 0, v4
	v_not_b32_e32 v4, v5
	v_ashrrev_i32_e32 v3, 31, v3
	v_and_b32_e32 v0, exec_lo, v0
	v_xor_b32_e32 v2, s11, v2
	v_cmp_gt_i32_e64 s11, 0, v5
	v_not_b32_e32 v5, v6
	v_ashrrev_i32_e32 v4, 31, v4
	v_xor_b32_e32 v3, vcc_lo, v3
	v_and_b32_e32 v0, v0, v2
	v_cmp_gt_i32_e32 vcc_lo, 0, v6
	v_not_b32_e32 v2, v7
	v_ashrrev_i32_e32 v5, 31, v5
	v_xor_b32_e32 v4, s11, v4
	v_and_b32_e32 v0, v0, v3
	v_lshlrev_b32_e32 v3, 25, v1
	v_cmp_gt_i32_e64 s11, 0, v7
	v_ashrrev_i32_e32 v2, 31, v2
	v_xor_b32_e32 v5, vcc_lo, v5
	v_and_b32_e32 v0, v0, v4
	v_not_b32_e32 v6, v3
	v_lshlrev_b32_e32 v1, 24, v1
	v_bfe_u32 v4, v31, s14, 8
	v_xor_b32_e32 v2, s11, v2
	v_and_b32_e32 v0, v0, v5
	v_cmp_gt_i32_e32 vcc_lo, 0, v3
	v_ashrrev_i32_e32 v3, 31, v6
	v_not_b32_e32 v5, v1
	v_lshlrev_b32_e32 v4, 1, v4
	v_and_b32_e32 v0, v0, v2
	s_delay_alu instid0(VALU_DEP_4) | instskip(SKIP_3) | instid1(VALU_DEP_4)
	v_xor_b32_e32 v2, vcc_lo, v3
	v_cmp_gt_i32_e32 vcc_lo, 0, v1
	v_ashrrev_i32_e32 v1, 31, v5
	v_add_lshl_u32 v3, v4, v29, 2
	v_and_b32_e32 v0, v0, v2
	s_delay_alu instid0(VALU_DEP_3) | instskip(SKIP_3) | instid1(VALU_DEP_1)
	v_xor_b32_e32 v1, vcc_lo, v1
	ds_load_b32 v60, v3 offset:8
	v_add_nc_u32_e32 v59, 8, v3
	; wave barrier
	v_and_b32_e32 v0, v0, v1
	v_mbcnt_lo_u32_b32 v61, v0, 0
	v_cmp_ne_u32_e64 s11, 0, v0
	s_delay_alu instid0(VALU_DEP_2) | instskip(NEXT) | instid1(VALU_DEP_2)
	v_cmp_eq_u32_e32 vcc_lo, 0, v61
	s_and_b32 s15, s11, vcc_lo
	s_delay_alu instid0(SALU_CYCLE_1)
	s_and_saveexec_b32 s11, s15
	s_cbranch_execz .LBB7_20
; %bb.19:                               ;   in Loop: Header=BB7_4 Depth=2
	s_waitcnt lgkmcnt(0)
	v_bcnt_u32_b32 v0, v0, v60
	ds_store_b32 v59, v0
.LBB7_20:                               ;   in Loop: Header=BB7_4 Depth=2
	s_or_b32 exec_lo, exec_lo, s11
	; wave barrier
	s_waitcnt lgkmcnt(0)
	s_barrier
	buffer_gl0_inv
	ds_load_2addr_b64 v[4:7], v21 offset0:1 offset1:2
	ds_load_2addr_b64 v[0:3], v22 offset0:2 offset1:3
	s_waitcnt lgkmcnt(1)
	v_add_nc_u32_e32 v62, v5, v4
	s_delay_alu instid0(VALU_DEP_1) | instskip(SKIP_1) | instid1(VALU_DEP_1)
	v_add3_u32 v62, v62, v6, v7
	s_waitcnt lgkmcnt(0)
	v_add3_u32 v62, v62, v0, v1
	s_delay_alu instid0(VALU_DEP_1) | instskip(NEXT) | instid1(VALU_DEP_1)
	v_add3_u32 v3, v62, v2, v3
	v_mov_b32_dpp v62, v3 row_shr:1 row_mask:0xf bank_mask:0xf
	s_delay_alu instid0(VALU_DEP_1) | instskip(NEXT) | instid1(VALU_DEP_1)
	v_cndmask_b32_e64 v62, v62, 0, s1
	v_add_nc_u32_e32 v3, v62, v3
	s_delay_alu instid0(VALU_DEP_1) | instskip(NEXT) | instid1(VALU_DEP_1)
	v_mov_b32_dpp v62, v3 row_shr:2 row_mask:0xf bank_mask:0xf
	v_cndmask_b32_e64 v62, 0, v62, s2
	s_delay_alu instid0(VALU_DEP_1) | instskip(NEXT) | instid1(VALU_DEP_1)
	v_add_nc_u32_e32 v3, v3, v62
	v_mov_b32_dpp v62, v3 row_shr:4 row_mask:0xf bank_mask:0xf
	s_delay_alu instid0(VALU_DEP_1) | instskip(NEXT) | instid1(VALU_DEP_1)
	v_cndmask_b32_e64 v62, 0, v62, s3
	v_add_nc_u32_e32 v3, v3, v62
	s_delay_alu instid0(VALU_DEP_1) | instskip(NEXT) | instid1(VALU_DEP_1)
	v_mov_b32_dpp v62, v3 row_shr:8 row_mask:0xf bank_mask:0xf
	v_cndmask_b32_e64 v62, 0, v62, s4
	s_delay_alu instid0(VALU_DEP_1) | instskip(SKIP_3) | instid1(VALU_DEP_1)
	v_add_nc_u32_e32 v3, v3, v62
	ds_swizzle_b32 v62, v3 offset:swizzle(BROADCAST,32,15)
	s_waitcnt lgkmcnt(0)
	v_cndmask_b32_e64 v62, v62, 0, s5
	v_add_nc_u32_e32 v3, v3, v62
	s_and_saveexec_b32 s11, s10
	s_cbranch_execz .LBB7_22
; %bb.21:                               ;   in Loop: Header=BB7_4 Depth=2
	ds_store_b32 v24, v3
.LBB7_22:                               ;   in Loop: Header=BB7_4 Depth=2
	s_or_b32 exec_lo, exec_lo, s11
	s_waitcnt lgkmcnt(0)
	s_barrier
	buffer_gl0_inv
	s_and_saveexec_b32 s11, s6
	s_cbranch_execz .LBB7_24
; %bb.23:                               ;   in Loop: Header=BB7_4 Depth=2
	ds_load_b32 v62, v25
	s_waitcnt lgkmcnt(0)
	v_mov_b32_dpp v63, v62 row_shr:1 row_mask:0xf bank_mask:0xf
	s_delay_alu instid0(VALU_DEP_1) | instskip(NEXT) | instid1(VALU_DEP_1)
	v_cndmask_b32_e64 v63, v63, 0, s9
	v_add_nc_u32_e32 v62, v63, v62
	ds_store_b32 v25, v62
.LBB7_24:                               ;   in Loop: Header=BB7_4 Depth=2
	s_or_b32 exec_lo, exec_lo, s11
	v_mov_b32_e32 v62, 0
	s_waitcnt lgkmcnt(0)
	s_barrier
	buffer_gl0_inv
	s_and_saveexec_b32 s11, s7
	s_cbranch_execz .LBB7_26
; %bb.25:                               ;   in Loop: Header=BB7_4 Depth=2
	ds_load_b32 v62, v28
.LBB7_26:                               ;   in Loop: Header=BB7_4 Depth=2
	s_or_b32 exec_lo, exec_lo, s11
	s_waitcnt lgkmcnt(0)
	v_add_nc_u32_e32 v3, v62, v3
	s_cmp_gt_u32 s14, 23
	ds_bpermute_b32 v3, v23, v3
	s_waitcnt lgkmcnt(0)
	v_cndmask_b32_e64 v3, v3, v62, s0
	s_delay_alu instid0(VALU_DEP_1) | instskip(NEXT) | instid1(VALU_DEP_1)
	v_cndmask_b32_e64 v3, v3, 0, s8
	v_add_nc_u32_e32 v4, v3, v4
	s_delay_alu instid0(VALU_DEP_1) | instskip(NEXT) | instid1(VALU_DEP_1)
	v_add_nc_u32_e32 v5, v4, v5
	v_add_nc_u32_e32 v6, v5, v6
	s_delay_alu instid0(VALU_DEP_1) | instskip(NEXT) | instid1(VALU_DEP_1)
	v_add_nc_u32_e32 v62, v6, v7
	;; [unrolled: 3-line block ×3, first 2 shown]
	v_add_nc_u32_e32 v1, v0, v2
	ds_store_2addr_b64 v21, v[3:4], v[5:6] offset0:1 offset1:2
	ds_store_2addr_b64 v22, v[62:63], v[0:1] offset0:2 offset1:3
	s_waitcnt lgkmcnt(0)
	s_barrier
	buffer_gl0_inv
	ds_load_b32 v0, v14
	ds_load_b32 v1, v17
	ds_load_b32 v2, v20
	ds_load_b32 v3, v49
	ds_load_b32 v4, v52
	ds_load_b32 v5, v55
	ds_load_b32 v6, v58
	ds_load_b32 v7, v59
	s_waitcnt lgkmcnt(7)
	v_add_nc_u32_e32 v59, v0, v13
	s_waitcnt lgkmcnt(6)
	v_add3_u32 v58, v16, v15, v1
	s_waitcnt lgkmcnt(5)
	v_add3_u32 v55, v19, v18, v2
	s_waitcnt lgkmcnt(4)
	v_add3_u32 v52, v48, v47, v3
	s_waitcnt lgkmcnt(3)
	v_add3_u32 v50, v51, v50, v4
	s_waitcnt lgkmcnt(2)
	v_add3_u32 v49, v54, v53, v5
	s_waitcnt lgkmcnt(1)
	v_add3_u32 v48, v57, v56, v6
	s_waitcnt lgkmcnt(0)
	v_add3_u32 v47, v61, v60, v7
	s_cbranch_scc0 .LBB7_3
; %bb.27:                               ;   in Loop: Header=BB7_2 Depth=1
                                        ; implicit-def: $vgpr20
                                        ; implicit-def: $vgpr18
                                        ; implicit-def: $vgpr16
                                        ; implicit-def: $vgpr14
                                        ; implicit-def: $vgpr7
                                        ; implicit-def: $vgpr5
                                        ; implicit-def: $vgpr3
                                        ; implicit-def: $vgpr1
                                        ; implicit-def: $sgpr14
	s_branch .LBB7_1
.LBB7_28:
	s_waitcnt lgkmcnt(1)
	v_add_nc_u32_e32 v4, v15, v4
	v_lshlrev_b32_e32 v8, 2, v8
	v_add_nc_u32_e32 v5, v16, v5
	v_add_nc_u32_e32 v6, v17, v6
	s_add_u32 s0, s18, s12
	v_add_nc_u32_e32 v7, v18, v7
	s_addc_u32 s1, s19, s13
	s_waitcnt lgkmcnt(0)
	v_add_nc_u32_e32 v0, v19, v0
	v_add_nc_u32_e32 v1, v20, v1
	;; [unrolled: 1-line block ×4, first 2 shown]
	s_clause 0x7
	global_store_b32 v8, v4, s[0:1]
	global_store_b32 v8, v5, s[0:1] offset:256
	global_store_b32 v8, v6, s[0:1] offset:512
	;; [unrolled: 1-line block ×7, first 2 shown]
	s_nop 0
	s_sendmsg sendmsg(MSG_DEALLOC_VGPRS)
	s_endpgm
	.section	.rodata,"a",@progbits
	.p2align	6, 0x0
	.amdhsa_kernel _Z17sort_pairs_kernelI22helper_blocked_blockediLj64ELj8ELj10EEvPKT0_PS1_
		.amdhsa_group_segment_fixed_size 2064
		.amdhsa_private_segment_fixed_size 0
		.amdhsa_kernarg_size 272
		.amdhsa_user_sgpr_count 15
		.amdhsa_user_sgpr_dispatch_ptr 0
		.amdhsa_user_sgpr_queue_ptr 0
		.amdhsa_user_sgpr_kernarg_segment_ptr 1
		.amdhsa_user_sgpr_dispatch_id 0
		.amdhsa_user_sgpr_private_segment_size 0
		.amdhsa_wavefront_size32 1
		.amdhsa_uses_dynamic_stack 0
		.amdhsa_enable_private_segment 0
		.amdhsa_system_sgpr_workgroup_id_x 1
		.amdhsa_system_sgpr_workgroup_id_y 0
		.amdhsa_system_sgpr_workgroup_id_z 0
		.amdhsa_system_sgpr_workgroup_info 0
		.amdhsa_system_vgpr_workitem_id 2
		.amdhsa_next_free_vgpr 64
		.amdhsa_next_free_sgpr 22
		.amdhsa_reserve_vcc 1
		.amdhsa_float_round_mode_32 0
		.amdhsa_float_round_mode_16_64 0
		.amdhsa_float_denorm_mode_32 3
		.amdhsa_float_denorm_mode_16_64 3
		.amdhsa_dx10_clamp 1
		.amdhsa_ieee_mode 1
		.amdhsa_fp16_overflow 0
		.amdhsa_workgroup_processor_mode 1
		.amdhsa_memory_ordered 1
		.amdhsa_forward_progress 0
		.amdhsa_shared_vgpr_count 0
		.amdhsa_exception_fp_ieee_invalid_op 0
		.amdhsa_exception_fp_denorm_src 0
		.amdhsa_exception_fp_ieee_div_zero 0
		.amdhsa_exception_fp_ieee_overflow 0
		.amdhsa_exception_fp_ieee_underflow 0
		.amdhsa_exception_fp_ieee_inexact 0
		.amdhsa_exception_int_div_zero 0
	.end_amdhsa_kernel
	.section	.text._Z17sort_pairs_kernelI22helper_blocked_blockediLj64ELj8ELj10EEvPKT0_PS1_,"axG",@progbits,_Z17sort_pairs_kernelI22helper_blocked_blockediLj64ELj8ELj10EEvPKT0_PS1_,comdat
.Lfunc_end7:
	.size	_Z17sort_pairs_kernelI22helper_blocked_blockediLj64ELj8ELj10EEvPKT0_PS1_, .Lfunc_end7-_Z17sort_pairs_kernelI22helper_blocked_blockediLj64ELj8ELj10EEvPKT0_PS1_
                                        ; -- End function
	.section	.AMDGPU.csdata,"",@progbits
; Kernel info:
; codeLenInByte = 4776
; NumSgprs: 24
; NumVgprs: 64
; ScratchSize: 0
; MemoryBound: 0
; FloatMode: 240
; IeeeMode: 1
; LDSByteSize: 2064 bytes/workgroup (compile time only)
; SGPRBlocks: 2
; VGPRBlocks: 7
; NumSGPRsForWavesPerEU: 24
; NumVGPRsForWavesPerEU: 64
; Occupancy: 16
; WaveLimiterHint : 1
; COMPUTE_PGM_RSRC2:SCRATCH_EN: 0
; COMPUTE_PGM_RSRC2:USER_SGPR: 15
; COMPUTE_PGM_RSRC2:TRAP_HANDLER: 0
; COMPUTE_PGM_RSRC2:TGID_X_EN: 1
; COMPUTE_PGM_RSRC2:TGID_Y_EN: 0
; COMPUTE_PGM_RSRC2:TGID_Z_EN: 0
; COMPUTE_PGM_RSRC2:TIDIG_COMP_CNT: 2
	.section	.text._Z16sort_keys_kernelI22helper_blocked_blockediLj128ELj1ELj10EEvPKT0_PS1_,"axG",@progbits,_Z16sort_keys_kernelI22helper_blocked_blockediLj128ELj1ELj10EEvPKT0_PS1_,comdat
	.protected	_Z16sort_keys_kernelI22helper_blocked_blockediLj128ELj1ELj10EEvPKT0_PS1_ ; -- Begin function _Z16sort_keys_kernelI22helper_blocked_blockediLj128ELj1ELj10EEvPKT0_PS1_
	.globl	_Z16sort_keys_kernelI22helper_blocked_blockediLj128ELj1ELj10EEvPKT0_PS1_
	.p2align	8
	.type	_Z16sort_keys_kernelI22helper_blocked_blockediLj128ELj1ELj10EEvPKT0_PS1_,@function
_Z16sort_keys_kernelI22helper_blocked_blockediLj128ELj1ELj10EEvPKT0_PS1_: ; @_Z16sort_keys_kernelI22helper_blocked_blockediLj128ELj1ELj10EEvPKT0_PS1_
; %bb.0:
	s_clause 0x1
	s_load_b128 s[16:19], s[0:1], 0x0
	s_load_b32 s10, s[0:1], 0x1c
	s_mov_b32 s21, 0
	s_lshl_b32 s20, s15, 7
	v_mbcnt_lo_u32_b32 v3, -1, 0
	s_lshl_b64 s[14:15], s[20:21], 2
	s_mov_b32 s20, s21
	s_mov_b32 s22, 10
	s_delay_alu instid0(VALU_DEP_1) | instskip(SKIP_3) | instid1(VALU_DEP_4)
	v_dual_mov_b32 v11, s20 :: v_dual_add_nc_u32 v6, -1, v3
	v_and_b32_e32 v4, 15, v3
	v_dual_mov_b32 v12, s21 :: v_dual_and_b32 v5, 16, v3
	v_and_b32_e32 v7, 3, v3
	v_cmp_gt_i32_e64 s7, 0, v6
	s_delay_alu instid0(VALU_DEP_4)
	v_cmp_lt_u32_e64 s2, 3, v4
	v_cmp_lt_u32_e64 s3, 7, v4
	v_cmp_eq_u32_e64 s4, 0, v5
	v_cmp_eq_u32_e64 s8, 0, v7
	v_cndmask_b32_e64 v5, v6, v3, s7
	s_waitcnt lgkmcnt(0)
	s_add_u32 s0, s16, s14
	s_addc_u32 s1, s17, s15
	s_mov_b32 s16, s21
	s_mov_b32 s17, s21
	v_dual_mov_b32 v9, s16 :: v_dual_and_b32 v8, 0x3ff, v0
	v_mov_b32_e32 v10, s17
	s_lshr_b32 s9, s10, 16
	s_and_b32 s10, s10, 0xffff
	s_delay_alu instid0(VALU_DEP_2)
	v_lshlrev_b32_e32 v1, 2, v8
	v_lshrrev_b32_e32 v6, 3, v8
	v_lshlrev_b32_e32 v13, 5, v8
	v_mul_i32_i24_e32 v20, 0xffffffe4, v8
	v_cmp_eq_u32_e32 vcc_lo, 0, v3
	global_load_b32 v2, v1, s[0:1]
	v_bfe_u32 v1, v0, 10, 10
	v_bfe_u32 v0, v0, 20, 10
	v_cmp_eq_u32_e64 s0, 0, v4
	v_cmp_lt_u32_e64 s1, 1, v4
	v_and_b32_e32 v4, 0x60, v8
	v_cmp_gt_u32_e64 s5, 4, v8
	v_mad_u32_u24 v14, v0, s9, v1
	v_cmp_lt_u32_e64 s9, 1, v7
	v_cmp_lt_u32_e64 s6, 31, v8
	v_or_b32_e32 v7, 31, v4
	v_cmp_eq_u32_e64 s7, 0, v8
	v_mad_u64_u32 v[0:1], null, v14, s10, v[8:9]
	v_and_b32_e32 v14, 12, v6
	v_or_b32_e32 v1, v3, v4
	v_or_b32_e32 v15, 16, v13
	v_lshlrev_b32_e32 v16, 2, v5
	v_cmp_eq_u32_e64 s10, v7, v8
	v_add_nc_u32_e32 v17, -4, v14
	v_lshlrev_b32_e32 v18, 2, v1
	v_lshrrev_b32_e32 v19, 5, v0
	v_add_nc_u32_e32 v20, v13, v20
	s_waitcnt vmcnt(0)
	v_xor_b32_e32 v21, 0x80000000, v2
	s_branch .LBB8_2
.LBB8_1:                                ;   in Loop: Header=BB8_2 Depth=1
	s_or_b32 exec_lo, exec_lo, s11
	s_waitcnt lgkmcnt(0)
	v_add_nc_u32_e32 v3, v24, v3
	s_add_i32 s22, s22, -1
	s_delay_alu instid0(SALU_CYCLE_1) | instskip(SKIP_3) | instid1(VALU_DEP_1)
	s_cmp_eq_u32 s22, 0
	ds_bpermute_b32 v3, v16, v3
	s_waitcnt lgkmcnt(0)
	v_cndmask_b32_e32 v3, v3, v24, vcc_lo
	v_cndmask_b32_e64 v3, v3, 0, s7
	s_delay_alu instid0(VALU_DEP_1) | instskip(NEXT) | instid1(VALU_DEP_1)
	v_add_nc_u32_e32 v4, v3, v4
	v_add_nc_u32_e32 v5, v4, v5
	s_delay_alu instid0(VALU_DEP_1) | instskip(NEXT) | instid1(VALU_DEP_1)
	v_add_nc_u32_e32 v6, v5, v6
	v_add_nc_u32_e32 v24, v6, v7
	;; [unrolled: 3-line block ×3, first 2 shown]
	s_delay_alu instid0(VALU_DEP_1)
	v_add_nc_u32_e32 v1, v0, v2
	ds_store_2addr_b64 v13, v[3:4], v[5:6] offset0:2 offset1:3
	ds_store_2addr_b64 v15, v[24:25], v[0:1] offset0:2 offset1:3
	s_waitcnt lgkmcnt(0)
	s_barrier
	buffer_gl0_inv
	ds_load_b32 v0, v23
	v_lshlrev_b32_e32 v1, 2, v22
	s_waitcnt lgkmcnt(0)
	s_barrier
	buffer_gl0_inv
	v_lshl_add_u32 v0, v0, 2, v1
	ds_store_b32 v0, v21
	s_waitcnt lgkmcnt(0)
	s_barrier
	buffer_gl0_inv
	ds_load_b32 v21, v20
	s_cbranch_scc1 .LBB8_34
.LBB8_2:                                ; =>This Inner Loop Header: Depth=1
	s_waitcnt lgkmcnt(0)
	s_delay_alu instid0(VALU_DEP_1)
	v_and_b32_e32 v0, 1, v21
	v_lshlrev_b32_e32 v1, 30, v21
	v_lshlrev_b32_e32 v2, 29, v21
	;; [unrolled: 1-line block ×4, first 2 shown]
	v_add_co_u32 v0, s11, v0, -1
	s_delay_alu instid0(VALU_DEP_1)
	v_cndmask_b32_e64 v3, 0, 1, s11
	v_not_b32_e32 v7, v1
	v_cmp_gt_i32_e64 s12, 0, v1
	v_not_b32_e32 v1, v2
	v_lshlrev_b32_e32 v6, 26, v21
	v_cmp_ne_u32_e64 s11, 0, v3
	v_ashrrev_i32_e32 v7, 31, v7
	v_lshlrev_b32_e32 v3, 25, v21
	v_ashrrev_i32_e32 v1, 31, v1
	v_cmp_gt_i32_e64 s13, 0, v5
	v_xor_b32_e32 v0, s11, v0
	v_cmp_gt_i32_e64 s11, 0, v2
	v_not_b32_e32 v2, v4
	v_xor_b32_e32 v7, s12, v7
	v_cmp_gt_i32_e64 s12, 0, v4
	v_and_b32_e32 v0, exec_lo, v0
	v_xor_b32_e32 v1, s11, v1
	v_ashrrev_i32_e32 v2, 31, v2
	v_not_b32_e32 v4, v5
	v_not_b32_e32 v5, v6
	v_and_b32_e32 v0, v0, v7
	v_cmp_gt_i32_e64 s11, 0, v6
	v_xor_b32_e32 v2, s12, v2
	v_not_b32_e32 v6, v3
	ds_store_2addr_b64 v13, v[11:12], v[9:10] offset0:2 offset1:3
	ds_store_2addr_b64 v15, v[11:12], v[9:10] offset0:2 offset1:3
	v_and_b32_e32 v0, v0, v1
	v_ashrrev_i32_e32 v1, 31, v4
	v_ashrrev_i32_e32 v4, 31, v5
	v_lshlrev_b32_e32 v5, 24, v21
	s_waitcnt lgkmcnt(0)
	v_and_b32_e32 v0, v0, v2
	v_xor_b32_e32 v1, s13, v1
	v_xor_b32_e32 v2, s11, v4
	v_cmp_gt_i32_e64 s11, 0, v3
	v_not_b32_e32 v3, v5
	v_ashrrev_i32_e32 v4, 31, v6
	v_and_b32_e32 v0, v0, v1
	v_cmp_gt_i32_e64 s12, 0, v5
	s_barrier
	v_ashrrev_i32_e32 v1, 31, v3
	v_xor_b32_e32 v3, s11, v4
	v_and_b32_e32 v0, v0, v2
	buffer_gl0_inv
	v_xor_b32_e32 v1, s12, v1
	; wave barrier
	v_and_b32_e32 v0, v0, v3
	s_delay_alu instid0(VALU_DEP_1) | instskip(SKIP_1) | instid1(VALU_DEP_2)
	v_and_b32_e32 v0, v0, v1
	v_and_b32_e32 v1, 0xff, v21
	v_mbcnt_lo_u32_b32 v22, v0, 0
	s_delay_alu instid0(VALU_DEP_2) | instskip(SKIP_1) | instid1(VALU_DEP_3)
	v_lshl_add_u32 v1, v1, 2, v19
	v_cmp_ne_u32_e64 s12, 0, v0
	v_cmp_eq_u32_e64 s11, 0, v22
	s_delay_alu instid0(VALU_DEP_3) | instskip(NEXT) | instid1(VALU_DEP_2)
	v_lshl_add_u32 v23, v1, 2, 16
	s_and_b32 s12, s12, s11
	s_delay_alu instid0(SALU_CYCLE_1)
	s_and_saveexec_b32 s11, s12
	s_cbranch_execz .LBB8_4
; %bb.3:                                ;   in Loop: Header=BB8_2 Depth=1
	v_bcnt_u32_b32 v0, v0, 0
	ds_store_b32 v23, v0
.LBB8_4:                                ;   in Loop: Header=BB8_2 Depth=1
	s_or_b32 exec_lo, exec_lo, s11
	; wave barrier
	s_waitcnt lgkmcnt(0)
	s_barrier
	buffer_gl0_inv
	ds_load_2addr_b64 v[4:7], v13 offset0:2 offset1:3
	ds_load_2addr_b64 v[0:3], v15 offset0:2 offset1:3
	s_waitcnt lgkmcnt(1)
	v_add_nc_u32_e32 v24, v5, v4
	s_delay_alu instid0(VALU_DEP_1) | instskip(SKIP_1) | instid1(VALU_DEP_1)
	v_add3_u32 v24, v24, v6, v7
	s_waitcnt lgkmcnt(0)
	v_add3_u32 v24, v24, v0, v1
	s_delay_alu instid0(VALU_DEP_1) | instskip(NEXT) | instid1(VALU_DEP_1)
	v_add3_u32 v3, v24, v2, v3
	v_mov_b32_dpp v24, v3 row_shr:1 row_mask:0xf bank_mask:0xf
	s_delay_alu instid0(VALU_DEP_1) | instskip(NEXT) | instid1(VALU_DEP_1)
	v_cndmask_b32_e64 v24, v24, 0, s0
	v_add_nc_u32_e32 v3, v24, v3
	s_delay_alu instid0(VALU_DEP_1) | instskip(NEXT) | instid1(VALU_DEP_1)
	v_mov_b32_dpp v24, v3 row_shr:2 row_mask:0xf bank_mask:0xf
	v_cndmask_b32_e64 v24, 0, v24, s1
	s_delay_alu instid0(VALU_DEP_1) | instskip(NEXT) | instid1(VALU_DEP_1)
	v_add_nc_u32_e32 v3, v3, v24
	v_mov_b32_dpp v24, v3 row_shr:4 row_mask:0xf bank_mask:0xf
	s_delay_alu instid0(VALU_DEP_1) | instskip(NEXT) | instid1(VALU_DEP_1)
	v_cndmask_b32_e64 v24, 0, v24, s2
	v_add_nc_u32_e32 v3, v3, v24
	s_delay_alu instid0(VALU_DEP_1) | instskip(NEXT) | instid1(VALU_DEP_1)
	v_mov_b32_dpp v24, v3 row_shr:8 row_mask:0xf bank_mask:0xf
	v_cndmask_b32_e64 v24, 0, v24, s3
	s_delay_alu instid0(VALU_DEP_1) | instskip(SKIP_3) | instid1(VALU_DEP_1)
	v_add_nc_u32_e32 v3, v3, v24
	ds_swizzle_b32 v24, v3 offset:swizzle(BROADCAST,32,15)
	s_waitcnt lgkmcnt(0)
	v_cndmask_b32_e64 v24, v24, 0, s4
	v_add_nc_u32_e32 v3, v3, v24
	s_and_saveexec_b32 s11, s10
	s_cbranch_execz .LBB8_6
; %bb.5:                                ;   in Loop: Header=BB8_2 Depth=1
	ds_store_b32 v14, v3
.LBB8_6:                                ;   in Loop: Header=BB8_2 Depth=1
	s_or_b32 exec_lo, exec_lo, s11
	s_waitcnt lgkmcnt(0)
	s_barrier
	buffer_gl0_inv
	s_and_saveexec_b32 s11, s5
	s_cbranch_execz .LBB8_8
; %bb.7:                                ;   in Loop: Header=BB8_2 Depth=1
	ds_load_b32 v24, v20
	s_waitcnt lgkmcnt(0)
	v_mov_b32_dpp v25, v24 row_shr:1 row_mask:0xf bank_mask:0xf
	s_delay_alu instid0(VALU_DEP_1) | instskip(NEXT) | instid1(VALU_DEP_1)
	v_cndmask_b32_e64 v25, v25, 0, s8
	v_add_nc_u32_e32 v24, v25, v24
	s_delay_alu instid0(VALU_DEP_1) | instskip(NEXT) | instid1(VALU_DEP_1)
	v_mov_b32_dpp v25, v24 row_shr:2 row_mask:0xf bank_mask:0xf
	v_cndmask_b32_e64 v25, 0, v25, s9
	s_delay_alu instid0(VALU_DEP_1)
	v_add_nc_u32_e32 v24, v24, v25
	ds_store_b32 v20, v24
.LBB8_8:                                ;   in Loop: Header=BB8_2 Depth=1
	s_or_b32 exec_lo, exec_lo, s11
	v_mov_b32_e32 v24, 0
	s_waitcnt lgkmcnt(0)
	s_barrier
	buffer_gl0_inv
	s_and_saveexec_b32 s11, s6
	s_cbranch_execz .LBB8_10
; %bb.9:                                ;   in Loop: Header=BB8_2 Depth=1
	ds_load_b32 v24, v17
.LBB8_10:                               ;   in Loop: Header=BB8_2 Depth=1
	s_or_b32 exec_lo, exec_lo, s11
	s_waitcnt lgkmcnt(0)
	v_add_nc_u32_e32 v3, v24, v3
	ds_bpermute_b32 v3, v16, v3
	s_waitcnt lgkmcnt(0)
	v_cndmask_b32_e32 v3, v3, v24, vcc_lo
	s_delay_alu instid0(VALU_DEP_1) | instskip(NEXT) | instid1(VALU_DEP_1)
	v_cndmask_b32_e64 v3, v3, 0, s7
	v_add_nc_u32_e32 v4, v3, v4
	s_delay_alu instid0(VALU_DEP_1) | instskip(NEXT) | instid1(VALU_DEP_1)
	v_add_nc_u32_e32 v5, v4, v5
	v_add_nc_u32_e32 v6, v5, v6
	s_delay_alu instid0(VALU_DEP_1) | instskip(NEXT) | instid1(VALU_DEP_1)
	v_add_nc_u32_e32 v24, v6, v7
	;; [unrolled: 3-line block ×3, first 2 shown]
	v_add_nc_u32_e32 v1, v0, v2
	ds_store_2addr_b64 v13, v[3:4], v[5:6] offset0:2 offset1:3
	ds_store_2addr_b64 v15, v[24:25], v[0:1] offset0:2 offset1:3
	s_waitcnt lgkmcnt(0)
	s_barrier
	buffer_gl0_inv
	ds_load_b32 v0, v23
	v_lshlrev_b32_e32 v1, 2, v22
	s_waitcnt lgkmcnt(0)
	s_barrier
	buffer_gl0_inv
	v_lshl_add_u32 v0, v0, 2, v1
	ds_store_b32 v0, v21
	s_waitcnt lgkmcnt(0)
	s_barrier
	buffer_gl0_inv
	ds_load_b32 v21, v18
	s_waitcnt lgkmcnt(0)
	s_barrier
	buffer_gl0_inv
	ds_store_2addr_b64 v13, v[11:12], v[9:10] offset0:2 offset1:3
	ds_store_2addr_b64 v15, v[11:12], v[9:10] offset0:2 offset1:3
	s_waitcnt lgkmcnt(0)
	s_barrier
	buffer_gl0_inv
	; wave barrier
	v_bfe_u32 v0, v21, 8, 1
	v_lshrrev_b32_e32 v1, 8, v21
	s_delay_alu instid0(VALU_DEP_2) | instskip(NEXT) | instid1(VALU_DEP_1)
	v_add_co_u32 v0, s11, v0, -1
	v_cndmask_b32_e64 v2, 0, 1, s11
	s_delay_alu instid0(VALU_DEP_3)
	v_lshlrev_b32_e32 v3, 30, v1
	v_lshlrev_b32_e32 v4, 29, v1
	;; [unrolled: 1-line block ×4, first 2 shown]
	v_cmp_ne_u32_e64 s11, 0, v2
	v_not_b32_e32 v2, v3
	v_cmp_gt_i32_e64 s12, 0, v3
	v_not_b32_e32 v3, v4
	v_lshlrev_b32_e32 v7, 26, v1
	v_xor_b32_e32 v0, s11, v0
	v_ashrrev_i32_e32 v2, 31, v2
	v_cmp_gt_i32_e64 s11, 0, v4
	v_not_b32_e32 v4, v5
	v_ashrrev_i32_e32 v3, 31, v3
	v_and_b32_e32 v0, exec_lo, v0
	v_xor_b32_e32 v2, s12, v2
	v_cmp_gt_i32_e64 s12, 0, v5
	v_not_b32_e32 v5, v6
	v_ashrrev_i32_e32 v4, 31, v4
	v_xor_b32_e32 v3, s11, v3
	v_and_b32_e32 v0, v0, v2
	v_lshlrev_b32_e32 v22, 25, v1
	v_cmp_gt_i32_e64 s11, 0, v6
	v_not_b32_e32 v2, v7
	v_ashrrev_i32_e32 v5, 31, v5
	v_xor_b32_e32 v4, s12, v4
	v_and_b32_e32 v0, v0, v3
	v_lshlrev_b32_e32 v1, 24, v1
	v_cmp_gt_i32_e64 s12, 0, v7
	v_not_b32_e32 v3, v22
	v_ashrrev_i32_e32 v2, 31, v2
	v_xor_b32_e32 v5, s11, v5
	v_and_b32_e32 v0, v0, v4
	v_cmp_gt_i32_e64 s11, 0, v22
	v_not_b32_e32 v4, v1
	v_ashrrev_i32_e32 v3, 31, v3
	v_xor_b32_e32 v2, s12, v2
	v_and_b32_e32 v0, v0, v5
	v_cmp_gt_i32_e64 s12, 0, v1
	v_ashrrev_i32_e32 v1, 31, v4
	v_xor_b32_e32 v3, s11, v3
	s_delay_alu instid0(VALU_DEP_4) | instskip(SKIP_1) | instid1(VALU_DEP_4)
	v_and_b32_e32 v0, v0, v2
	v_lshrrev_b32_e32 v2, 6, v21
	v_xor_b32_e32 v1, s12, v1
	s_delay_alu instid0(VALU_DEP_3) | instskip(NEXT) | instid1(VALU_DEP_1)
	v_and_b32_e32 v0, v0, v3
	v_and_b32_e32 v0, v0, v1
	s_delay_alu instid0(VALU_DEP_4) | instskip(NEXT) | instid1(VALU_DEP_2)
	v_and_b32_e32 v1, 0x3fc, v2
	v_mbcnt_lo_u32_b32 v22, v0, 0
	s_delay_alu instid0(VALU_DEP_2) | instskip(SKIP_1) | instid1(VALU_DEP_3)
	v_add_nc_u32_e32 v1, v1, v19
	v_cmp_ne_u32_e64 s12, 0, v0
	v_cmp_eq_u32_e64 s11, 0, v22
	s_delay_alu instid0(VALU_DEP_3) | instskip(NEXT) | instid1(VALU_DEP_2)
	v_lshl_add_u32 v23, v1, 2, 16
	s_and_b32 s12, s12, s11
	s_delay_alu instid0(SALU_CYCLE_1)
	s_and_saveexec_b32 s11, s12
	s_cbranch_execz .LBB8_12
; %bb.11:                               ;   in Loop: Header=BB8_2 Depth=1
	v_bcnt_u32_b32 v0, v0, 0
	ds_store_b32 v23, v0
.LBB8_12:                               ;   in Loop: Header=BB8_2 Depth=1
	s_or_b32 exec_lo, exec_lo, s11
	; wave barrier
	s_waitcnt lgkmcnt(0)
	s_barrier
	buffer_gl0_inv
	ds_load_2addr_b64 v[4:7], v13 offset0:2 offset1:3
	ds_load_2addr_b64 v[0:3], v15 offset0:2 offset1:3
	s_waitcnt lgkmcnt(1)
	v_add_nc_u32_e32 v24, v5, v4
	s_delay_alu instid0(VALU_DEP_1) | instskip(SKIP_1) | instid1(VALU_DEP_1)
	v_add3_u32 v24, v24, v6, v7
	s_waitcnt lgkmcnt(0)
	v_add3_u32 v24, v24, v0, v1
	s_delay_alu instid0(VALU_DEP_1) | instskip(NEXT) | instid1(VALU_DEP_1)
	v_add3_u32 v3, v24, v2, v3
	v_mov_b32_dpp v24, v3 row_shr:1 row_mask:0xf bank_mask:0xf
	s_delay_alu instid0(VALU_DEP_1) | instskip(NEXT) | instid1(VALU_DEP_1)
	v_cndmask_b32_e64 v24, v24, 0, s0
	v_add_nc_u32_e32 v3, v24, v3
	s_delay_alu instid0(VALU_DEP_1) | instskip(NEXT) | instid1(VALU_DEP_1)
	v_mov_b32_dpp v24, v3 row_shr:2 row_mask:0xf bank_mask:0xf
	v_cndmask_b32_e64 v24, 0, v24, s1
	s_delay_alu instid0(VALU_DEP_1) | instskip(NEXT) | instid1(VALU_DEP_1)
	v_add_nc_u32_e32 v3, v3, v24
	v_mov_b32_dpp v24, v3 row_shr:4 row_mask:0xf bank_mask:0xf
	s_delay_alu instid0(VALU_DEP_1) | instskip(NEXT) | instid1(VALU_DEP_1)
	v_cndmask_b32_e64 v24, 0, v24, s2
	v_add_nc_u32_e32 v3, v3, v24
	s_delay_alu instid0(VALU_DEP_1) | instskip(NEXT) | instid1(VALU_DEP_1)
	v_mov_b32_dpp v24, v3 row_shr:8 row_mask:0xf bank_mask:0xf
	v_cndmask_b32_e64 v24, 0, v24, s3
	s_delay_alu instid0(VALU_DEP_1) | instskip(SKIP_3) | instid1(VALU_DEP_1)
	v_add_nc_u32_e32 v3, v3, v24
	ds_swizzle_b32 v24, v3 offset:swizzle(BROADCAST,32,15)
	s_waitcnt lgkmcnt(0)
	v_cndmask_b32_e64 v24, v24, 0, s4
	v_add_nc_u32_e32 v3, v3, v24
	s_and_saveexec_b32 s11, s10
	s_cbranch_execz .LBB8_14
; %bb.13:                               ;   in Loop: Header=BB8_2 Depth=1
	ds_store_b32 v14, v3
.LBB8_14:                               ;   in Loop: Header=BB8_2 Depth=1
	s_or_b32 exec_lo, exec_lo, s11
	s_waitcnt lgkmcnt(0)
	s_barrier
	buffer_gl0_inv
	s_and_saveexec_b32 s11, s5
	s_cbranch_execz .LBB8_16
; %bb.15:                               ;   in Loop: Header=BB8_2 Depth=1
	ds_load_b32 v24, v20
	s_waitcnt lgkmcnt(0)
	v_mov_b32_dpp v25, v24 row_shr:1 row_mask:0xf bank_mask:0xf
	s_delay_alu instid0(VALU_DEP_1) | instskip(NEXT) | instid1(VALU_DEP_1)
	v_cndmask_b32_e64 v25, v25, 0, s8
	v_add_nc_u32_e32 v24, v25, v24
	s_delay_alu instid0(VALU_DEP_1) | instskip(NEXT) | instid1(VALU_DEP_1)
	v_mov_b32_dpp v25, v24 row_shr:2 row_mask:0xf bank_mask:0xf
	v_cndmask_b32_e64 v25, 0, v25, s9
	s_delay_alu instid0(VALU_DEP_1)
	v_add_nc_u32_e32 v24, v24, v25
	ds_store_b32 v20, v24
.LBB8_16:                               ;   in Loop: Header=BB8_2 Depth=1
	s_or_b32 exec_lo, exec_lo, s11
	v_mov_b32_e32 v24, 0
	s_waitcnt lgkmcnt(0)
	s_barrier
	buffer_gl0_inv
	s_and_saveexec_b32 s11, s6
	s_cbranch_execz .LBB8_18
; %bb.17:                               ;   in Loop: Header=BB8_2 Depth=1
	ds_load_b32 v24, v17
.LBB8_18:                               ;   in Loop: Header=BB8_2 Depth=1
	s_or_b32 exec_lo, exec_lo, s11
	s_waitcnt lgkmcnt(0)
	v_add_nc_u32_e32 v3, v24, v3
	ds_bpermute_b32 v3, v16, v3
	s_waitcnt lgkmcnt(0)
	v_cndmask_b32_e32 v3, v3, v24, vcc_lo
	s_delay_alu instid0(VALU_DEP_1) | instskip(NEXT) | instid1(VALU_DEP_1)
	v_cndmask_b32_e64 v3, v3, 0, s7
	v_add_nc_u32_e32 v4, v3, v4
	s_delay_alu instid0(VALU_DEP_1) | instskip(NEXT) | instid1(VALU_DEP_1)
	v_add_nc_u32_e32 v5, v4, v5
	v_add_nc_u32_e32 v6, v5, v6
	s_delay_alu instid0(VALU_DEP_1) | instskip(NEXT) | instid1(VALU_DEP_1)
	v_add_nc_u32_e32 v24, v6, v7
	;; [unrolled: 3-line block ×3, first 2 shown]
	v_add_nc_u32_e32 v1, v0, v2
	ds_store_2addr_b64 v13, v[3:4], v[5:6] offset0:2 offset1:3
	ds_store_2addr_b64 v15, v[24:25], v[0:1] offset0:2 offset1:3
	s_waitcnt lgkmcnt(0)
	s_barrier
	buffer_gl0_inv
	ds_load_b32 v0, v23
	v_lshlrev_b32_e32 v1, 2, v22
	s_waitcnt lgkmcnt(0)
	s_barrier
	buffer_gl0_inv
	v_lshl_add_u32 v0, v0, 2, v1
	ds_store_b32 v0, v21
	s_waitcnt lgkmcnt(0)
	s_barrier
	buffer_gl0_inv
	ds_load_b32 v21, v18
	s_waitcnt lgkmcnt(0)
	s_barrier
	buffer_gl0_inv
	v_bfe_u32 v0, v21, 16, 1
	v_lshrrev_b32_e32 v1, 16, v21
	s_delay_alu instid0(VALU_DEP_2) | instskip(NEXT) | instid1(VALU_DEP_1)
	v_add_co_u32 v0, s11, v0, -1
	v_cndmask_b32_e64 v2, 0, 1, s11
	s_delay_alu instid0(VALU_DEP_3)
	v_lshlrev_b32_e32 v3, 30, v1
	v_lshlrev_b32_e32 v4, 29, v1
	;; [unrolled: 1-line block ×4, first 2 shown]
	v_cmp_ne_u32_e64 s11, 0, v2
	v_not_b32_e32 v2, v3
	v_cmp_gt_i32_e64 s12, 0, v3
	v_not_b32_e32 v3, v4
	v_lshlrev_b32_e32 v7, 26, v1
	v_xor_b32_e32 v0, s11, v0
	v_ashrrev_i32_e32 v2, 31, v2
	v_cmp_gt_i32_e64 s11, 0, v4
	v_not_b32_e32 v4, v5
	v_ashrrev_i32_e32 v3, 31, v3
	v_and_b32_e32 v0, exec_lo, v0
	v_xor_b32_e32 v2, s12, v2
	v_cmp_gt_i32_e64 s12, 0, v5
	v_not_b32_e32 v5, v6
	v_ashrrev_i32_e32 v4, 31, v4
	v_xor_b32_e32 v3, s11, v3
	v_and_b32_e32 v0, v0, v2
	v_lshlrev_b32_e32 v22, 25, v1
	v_cmp_gt_i32_e64 s11, 0, v6
	v_not_b32_e32 v2, v7
	v_ashrrev_i32_e32 v5, 31, v5
	v_xor_b32_e32 v4, s12, v4
	v_and_b32_e32 v0, v0, v3
	v_lshlrev_b32_e32 v1, 24, v1
	v_cmp_gt_i32_e64 s12, 0, v7
	v_not_b32_e32 v3, v22
	v_ashrrev_i32_e32 v2, 31, v2
	v_xor_b32_e32 v5, s11, v5
	v_and_b32_e32 v0, v0, v4
	v_cmp_gt_i32_e64 s11, 0, v22
	v_not_b32_e32 v4, v1
	v_ashrrev_i32_e32 v3, 31, v3
	v_xor_b32_e32 v2, s12, v2
	v_and_b32_e32 v0, v0, v5
	v_cmp_gt_i32_e64 s12, 0, v1
	v_ashrrev_i32_e32 v1, 31, v4
	v_xor_b32_e32 v3, s11, v3
	v_lshrrev_b32_e32 v6, 14, v21
	v_and_b32_e32 v0, v0, v2
	s_delay_alu instid0(VALU_DEP_4) | instskip(SKIP_1) | instid1(VALU_DEP_3)
	v_xor_b32_e32 v5, s12, v1
	v_dual_mov_b32 v1, s20 :: v_dual_mov_b32 v2, s21
	v_dual_mov_b32 v3, s16 :: v_dual_and_b32 v0, v0, v3
	v_mov_b32_e32 v4, s17
	ds_store_2addr_b64 v13, v[1:2], v[3:4] offset0:2 offset1:3
	ds_store_2addr_b64 v15, v[1:2], v[3:4] offset0:2 offset1:3
	v_and_b32_e32 v0, v0, v5
	v_and_b32_e32 v5, 0x3fc, v6
	s_waitcnt lgkmcnt(0)
	s_barrier
	buffer_gl0_inv
	v_mbcnt_lo_u32_b32 v22, v0, 0
	v_add_nc_u32_e32 v1, v5, v19
	v_cmp_ne_u32_e64 s12, 0, v0
	; wave barrier
	s_delay_alu instid0(VALU_DEP_3) | instskip(NEXT) | instid1(VALU_DEP_3)
	v_cmp_eq_u32_e64 s11, 0, v22
	v_lshl_add_u32 v23, v1, 2, 16
	s_delay_alu instid0(VALU_DEP_2) | instskip(NEXT) | instid1(SALU_CYCLE_1)
	s_and_b32 s12, s12, s11
	s_and_saveexec_b32 s11, s12
	s_cbranch_execz .LBB8_20
; %bb.19:                               ;   in Loop: Header=BB8_2 Depth=1
	v_bcnt_u32_b32 v0, v0, 0
	ds_store_b32 v23, v0
.LBB8_20:                               ;   in Loop: Header=BB8_2 Depth=1
	s_or_b32 exec_lo, exec_lo, s11
	; wave barrier
	s_waitcnt lgkmcnt(0)
	s_barrier
	buffer_gl0_inv
	ds_load_2addr_b64 v[4:7], v13 offset0:2 offset1:3
	ds_load_2addr_b64 v[0:3], v15 offset0:2 offset1:3
	s_waitcnt lgkmcnt(1)
	v_add_nc_u32_e32 v24, v5, v4
	s_delay_alu instid0(VALU_DEP_1) | instskip(SKIP_1) | instid1(VALU_DEP_1)
	v_add3_u32 v24, v24, v6, v7
	s_waitcnt lgkmcnt(0)
	v_add3_u32 v24, v24, v0, v1
	s_delay_alu instid0(VALU_DEP_1) | instskip(NEXT) | instid1(VALU_DEP_1)
	v_add3_u32 v3, v24, v2, v3
	v_mov_b32_dpp v24, v3 row_shr:1 row_mask:0xf bank_mask:0xf
	s_delay_alu instid0(VALU_DEP_1) | instskip(NEXT) | instid1(VALU_DEP_1)
	v_cndmask_b32_e64 v24, v24, 0, s0
	v_add_nc_u32_e32 v3, v24, v3
	s_delay_alu instid0(VALU_DEP_1) | instskip(NEXT) | instid1(VALU_DEP_1)
	v_mov_b32_dpp v24, v3 row_shr:2 row_mask:0xf bank_mask:0xf
	v_cndmask_b32_e64 v24, 0, v24, s1
	s_delay_alu instid0(VALU_DEP_1) | instskip(NEXT) | instid1(VALU_DEP_1)
	v_add_nc_u32_e32 v3, v3, v24
	v_mov_b32_dpp v24, v3 row_shr:4 row_mask:0xf bank_mask:0xf
	s_delay_alu instid0(VALU_DEP_1) | instskip(NEXT) | instid1(VALU_DEP_1)
	v_cndmask_b32_e64 v24, 0, v24, s2
	v_add_nc_u32_e32 v3, v3, v24
	s_delay_alu instid0(VALU_DEP_1) | instskip(NEXT) | instid1(VALU_DEP_1)
	v_mov_b32_dpp v24, v3 row_shr:8 row_mask:0xf bank_mask:0xf
	v_cndmask_b32_e64 v24, 0, v24, s3
	s_delay_alu instid0(VALU_DEP_1) | instskip(SKIP_3) | instid1(VALU_DEP_1)
	v_add_nc_u32_e32 v3, v3, v24
	ds_swizzle_b32 v24, v3 offset:swizzle(BROADCAST,32,15)
	s_waitcnt lgkmcnt(0)
	v_cndmask_b32_e64 v24, v24, 0, s4
	v_add_nc_u32_e32 v3, v3, v24
	s_and_saveexec_b32 s11, s10
	s_cbranch_execz .LBB8_22
; %bb.21:                               ;   in Loop: Header=BB8_2 Depth=1
	ds_store_b32 v14, v3
.LBB8_22:                               ;   in Loop: Header=BB8_2 Depth=1
	s_or_b32 exec_lo, exec_lo, s11
	s_waitcnt lgkmcnt(0)
	s_barrier
	buffer_gl0_inv
	s_and_saveexec_b32 s11, s5
	s_cbranch_execz .LBB8_24
; %bb.23:                               ;   in Loop: Header=BB8_2 Depth=1
	ds_load_b32 v24, v20
	s_waitcnt lgkmcnt(0)
	v_mov_b32_dpp v25, v24 row_shr:1 row_mask:0xf bank_mask:0xf
	s_delay_alu instid0(VALU_DEP_1) | instskip(NEXT) | instid1(VALU_DEP_1)
	v_cndmask_b32_e64 v25, v25, 0, s8
	v_add_nc_u32_e32 v24, v25, v24
	s_delay_alu instid0(VALU_DEP_1) | instskip(NEXT) | instid1(VALU_DEP_1)
	v_mov_b32_dpp v25, v24 row_shr:2 row_mask:0xf bank_mask:0xf
	v_cndmask_b32_e64 v25, 0, v25, s9
	s_delay_alu instid0(VALU_DEP_1)
	v_add_nc_u32_e32 v24, v24, v25
	ds_store_b32 v20, v24
.LBB8_24:                               ;   in Loop: Header=BB8_2 Depth=1
	s_or_b32 exec_lo, exec_lo, s11
	v_mov_b32_e32 v24, 0
	s_waitcnt lgkmcnt(0)
	s_barrier
	buffer_gl0_inv
	s_and_saveexec_b32 s11, s6
	s_cbranch_execz .LBB8_26
; %bb.25:                               ;   in Loop: Header=BB8_2 Depth=1
	ds_load_b32 v24, v17
.LBB8_26:                               ;   in Loop: Header=BB8_2 Depth=1
	s_or_b32 exec_lo, exec_lo, s11
	s_waitcnt lgkmcnt(0)
	v_add_nc_u32_e32 v3, v24, v3
	ds_bpermute_b32 v3, v16, v3
	s_waitcnt lgkmcnt(0)
	v_cndmask_b32_e32 v3, v3, v24, vcc_lo
	s_delay_alu instid0(VALU_DEP_1) | instskip(NEXT) | instid1(VALU_DEP_1)
	v_cndmask_b32_e64 v3, v3, 0, s7
	v_add_nc_u32_e32 v4, v3, v4
	s_delay_alu instid0(VALU_DEP_1) | instskip(NEXT) | instid1(VALU_DEP_1)
	v_add_nc_u32_e32 v5, v4, v5
	v_add_nc_u32_e32 v6, v5, v6
	s_delay_alu instid0(VALU_DEP_1) | instskip(NEXT) | instid1(VALU_DEP_1)
	v_add_nc_u32_e32 v24, v6, v7
	;; [unrolled: 3-line block ×3, first 2 shown]
	v_add_nc_u32_e32 v1, v0, v2
	ds_store_2addr_b64 v13, v[3:4], v[5:6] offset0:2 offset1:3
	ds_store_2addr_b64 v15, v[24:25], v[0:1] offset0:2 offset1:3
	s_waitcnt lgkmcnt(0)
	s_barrier
	buffer_gl0_inv
	ds_load_b32 v0, v23
	v_lshlrev_b32_e32 v1, 2, v22
	s_waitcnt lgkmcnt(0)
	s_barrier
	buffer_gl0_inv
	v_lshl_add_u32 v0, v0, 2, v1
	ds_store_b32 v0, v21
	s_waitcnt lgkmcnt(0)
	s_barrier
	buffer_gl0_inv
	ds_load_b32 v21, v18
	s_waitcnt lgkmcnt(0)
	s_barrier
	buffer_gl0_inv
	v_bfe_u32 v0, v21, 24, 1
	v_lshrrev_b32_e32 v5, 24, v21
	s_delay_alu instid0(VALU_DEP_2) | instskip(NEXT) | instid1(VALU_DEP_1)
	v_add_co_u32 v0, s11, v0, -1
	v_cndmask_b32_e64 v1, 0, 1, s11
	s_delay_alu instid0(VALU_DEP_3)
	v_lshlrev_b32_e32 v2, 30, v5
	v_lshlrev_b32_e32 v3, 29, v5
	;; [unrolled: 1-line block ×4, first 2 shown]
	v_cmp_ne_u32_e64 s11, 0, v1
	v_not_b32_e32 v1, v2
	v_cmp_gt_i32_e64 s12, 0, v2
	v_not_b32_e32 v2, v3
	v_lshlrev_b32_e32 v7, 26, v5
	v_xor_b32_e32 v0, s11, v0
	v_ashrrev_i32_e32 v1, 31, v1
	v_cmp_gt_i32_e64 s11, 0, v3
	v_not_b32_e32 v3, v4
	v_ashrrev_i32_e32 v2, 31, v2
	v_and_b32_e32 v0, exec_lo, v0
	v_xor_b32_e32 v1, s12, v1
	v_cmp_gt_i32_e64 s12, 0, v4
	v_not_b32_e32 v4, v6
	v_ashrrev_i32_e32 v3, 31, v3
	v_xor_b32_e32 v2, s11, v2
	v_and_b32_e32 v0, v0, v1
	v_lshlrev_b32_e32 v22, 25, v5
	v_cmp_gt_i32_e64 s11, 0, v6
	v_not_b32_e32 v1, v7
	v_ashrrev_i32_e32 v4, 31, v4
	v_xor_b32_e32 v3, s12, v3
	v_and_b32_e32 v0, v0, v2
	v_cmp_gt_i32_e64 s12, 0, v7
	v_not_b32_e32 v2, v22
	v_ashrrev_i32_e32 v1, 31, v1
	v_xor_b32_e32 v4, s11, v4
	v_and_b32_e32 v0, v0, v3
	v_not_b32_e32 v3, v21
	v_cmp_gt_i32_e64 s11, 0, v22
	v_ashrrev_i32_e32 v2, 31, v2
	v_xor_b32_e32 v1, s12, v1
	v_and_b32_e32 v0, v0, v4
	v_cmp_gt_i32_e64 s12, 0, v21
	v_ashrrev_i32_e32 v3, 31, v3
	v_xor_b32_e32 v2, s11, v2
	s_delay_alu instid0(VALU_DEP_4) | instskip(NEXT) | instid1(VALU_DEP_3)
	v_and_b32_e32 v0, v0, v1
	v_xor_b32_e32 v3, s12, v3
	s_delay_alu instid0(VALU_DEP_2) | instskip(SKIP_1) | instid1(VALU_DEP_2)
	v_dual_mov_b32 v1, s20 :: v_dual_and_b32 v0, v0, v2
	v_mov_b32_e32 v2, s21
	v_dual_mov_b32 v3, s16 :: v_dual_and_b32 v0, v0, v3
	v_mov_b32_e32 v4, s17
	ds_store_2addr_b64 v13, v[1:2], v[3:4] offset0:2 offset1:3
	ds_store_2addr_b64 v15, v[1:2], v[3:4] offset0:2 offset1:3
	v_mbcnt_lo_u32_b32 v22, v0, 0
	v_lshl_add_u32 v1, v5, 2, v19
	v_cmp_ne_u32_e64 s12, 0, v0
	s_waitcnt lgkmcnt(0)
	s_barrier
	v_cmp_eq_u32_e64 s11, 0, v22
	v_lshl_add_u32 v23, v1, 2, 16
	buffer_gl0_inv
	; wave barrier
	s_and_b32 s12, s12, s11
	s_delay_alu instid0(SALU_CYCLE_1)
	s_and_saveexec_b32 s11, s12
	s_cbranch_execz .LBB8_28
; %bb.27:                               ;   in Loop: Header=BB8_2 Depth=1
	v_bcnt_u32_b32 v0, v0, 0
	ds_store_b32 v23, v0
.LBB8_28:                               ;   in Loop: Header=BB8_2 Depth=1
	s_or_b32 exec_lo, exec_lo, s11
	; wave barrier
	s_waitcnt lgkmcnt(0)
	s_barrier
	buffer_gl0_inv
	ds_load_2addr_b64 v[4:7], v13 offset0:2 offset1:3
	ds_load_2addr_b64 v[0:3], v15 offset0:2 offset1:3
	s_waitcnt lgkmcnt(1)
	v_add_nc_u32_e32 v24, v5, v4
	s_delay_alu instid0(VALU_DEP_1) | instskip(SKIP_1) | instid1(VALU_DEP_1)
	v_add3_u32 v24, v24, v6, v7
	s_waitcnt lgkmcnt(0)
	v_add3_u32 v24, v24, v0, v1
	s_delay_alu instid0(VALU_DEP_1) | instskip(NEXT) | instid1(VALU_DEP_1)
	v_add3_u32 v3, v24, v2, v3
	v_mov_b32_dpp v24, v3 row_shr:1 row_mask:0xf bank_mask:0xf
	s_delay_alu instid0(VALU_DEP_1) | instskip(NEXT) | instid1(VALU_DEP_1)
	v_cndmask_b32_e64 v24, v24, 0, s0
	v_add_nc_u32_e32 v3, v24, v3
	s_delay_alu instid0(VALU_DEP_1) | instskip(NEXT) | instid1(VALU_DEP_1)
	v_mov_b32_dpp v24, v3 row_shr:2 row_mask:0xf bank_mask:0xf
	v_cndmask_b32_e64 v24, 0, v24, s1
	s_delay_alu instid0(VALU_DEP_1) | instskip(NEXT) | instid1(VALU_DEP_1)
	v_add_nc_u32_e32 v3, v3, v24
	v_mov_b32_dpp v24, v3 row_shr:4 row_mask:0xf bank_mask:0xf
	s_delay_alu instid0(VALU_DEP_1) | instskip(NEXT) | instid1(VALU_DEP_1)
	v_cndmask_b32_e64 v24, 0, v24, s2
	v_add_nc_u32_e32 v3, v3, v24
	s_delay_alu instid0(VALU_DEP_1) | instskip(NEXT) | instid1(VALU_DEP_1)
	v_mov_b32_dpp v24, v3 row_shr:8 row_mask:0xf bank_mask:0xf
	v_cndmask_b32_e64 v24, 0, v24, s3
	s_delay_alu instid0(VALU_DEP_1) | instskip(SKIP_3) | instid1(VALU_DEP_1)
	v_add_nc_u32_e32 v3, v3, v24
	ds_swizzle_b32 v24, v3 offset:swizzle(BROADCAST,32,15)
	s_waitcnt lgkmcnt(0)
	v_cndmask_b32_e64 v24, v24, 0, s4
	v_add_nc_u32_e32 v3, v3, v24
	s_and_saveexec_b32 s11, s10
	s_cbranch_execz .LBB8_30
; %bb.29:                               ;   in Loop: Header=BB8_2 Depth=1
	ds_store_b32 v14, v3
.LBB8_30:                               ;   in Loop: Header=BB8_2 Depth=1
	s_or_b32 exec_lo, exec_lo, s11
	s_waitcnt lgkmcnt(0)
	s_barrier
	buffer_gl0_inv
	s_and_saveexec_b32 s11, s5
	s_cbranch_execz .LBB8_32
; %bb.31:                               ;   in Loop: Header=BB8_2 Depth=1
	ds_load_b32 v24, v20
	s_waitcnt lgkmcnt(0)
	v_mov_b32_dpp v25, v24 row_shr:1 row_mask:0xf bank_mask:0xf
	s_delay_alu instid0(VALU_DEP_1) | instskip(NEXT) | instid1(VALU_DEP_1)
	v_cndmask_b32_e64 v25, v25, 0, s8
	v_add_nc_u32_e32 v24, v25, v24
	s_delay_alu instid0(VALU_DEP_1) | instskip(NEXT) | instid1(VALU_DEP_1)
	v_mov_b32_dpp v25, v24 row_shr:2 row_mask:0xf bank_mask:0xf
	v_cndmask_b32_e64 v25, 0, v25, s9
	s_delay_alu instid0(VALU_DEP_1)
	v_add_nc_u32_e32 v24, v24, v25
	ds_store_b32 v20, v24
.LBB8_32:                               ;   in Loop: Header=BB8_2 Depth=1
	s_or_b32 exec_lo, exec_lo, s11
	v_mov_b32_e32 v24, 0
	s_waitcnt lgkmcnt(0)
	s_barrier
	buffer_gl0_inv
	s_and_saveexec_b32 s11, s6
	s_cbranch_execz .LBB8_1
; %bb.33:                               ;   in Loop: Header=BB8_2 Depth=1
	ds_load_b32 v24, v17
	s_branch .LBB8_1
.LBB8_34:
	s_waitcnt lgkmcnt(0)
	v_xor_b32_e32 v0, 0x80000000, v21
	v_lshlrev_b32_e32 v1, 2, v8
	s_add_u32 s0, s18, s14
	s_addc_u32 s1, s19, s15
	global_store_b32 v1, v0, s[0:1]
	s_nop 0
	s_sendmsg sendmsg(MSG_DEALLOC_VGPRS)
	s_endpgm
	.section	.rodata,"a",@progbits
	.p2align	6, 0x0
	.amdhsa_kernel _Z16sort_keys_kernelI22helper_blocked_blockediLj128ELj1ELj10EEvPKT0_PS1_
		.amdhsa_group_segment_fixed_size 4112
		.amdhsa_private_segment_fixed_size 0
		.amdhsa_kernarg_size 272
		.amdhsa_user_sgpr_count 15
		.amdhsa_user_sgpr_dispatch_ptr 0
		.amdhsa_user_sgpr_queue_ptr 0
		.amdhsa_user_sgpr_kernarg_segment_ptr 1
		.amdhsa_user_sgpr_dispatch_id 0
		.amdhsa_user_sgpr_private_segment_size 0
		.amdhsa_wavefront_size32 1
		.amdhsa_uses_dynamic_stack 0
		.amdhsa_enable_private_segment 0
		.amdhsa_system_sgpr_workgroup_id_x 1
		.amdhsa_system_sgpr_workgroup_id_y 0
		.amdhsa_system_sgpr_workgroup_id_z 0
		.amdhsa_system_sgpr_workgroup_info 0
		.amdhsa_system_vgpr_workitem_id 2
		.amdhsa_next_free_vgpr 26
		.amdhsa_next_free_sgpr 23
		.amdhsa_reserve_vcc 1
		.amdhsa_float_round_mode_32 0
		.amdhsa_float_round_mode_16_64 0
		.amdhsa_float_denorm_mode_32 3
		.amdhsa_float_denorm_mode_16_64 3
		.amdhsa_dx10_clamp 1
		.amdhsa_ieee_mode 1
		.amdhsa_fp16_overflow 0
		.amdhsa_workgroup_processor_mode 1
		.amdhsa_memory_ordered 1
		.amdhsa_forward_progress 0
		.amdhsa_shared_vgpr_count 0
		.amdhsa_exception_fp_ieee_invalid_op 0
		.amdhsa_exception_fp_denorm_src 0
		.amdhsa_exception_fp_ieee_div_zero 0
		.amdhsa_exception_fp_ieee_overflow 0
		.amdhsa_exception_fp_ieee_underflow 0
		.amdhsa_exception_fp_ieee_inexact 0
		.amdhsa_exception_int_div_zero 0
	.end_amdhsa_kernel
	.section	.text._Z16sort_keys_kernelI22helper_blocked_blockediLj128ELj1ELj10EEvPKT0_PS1_,"axG",@progbits,_Z16sort_keys_kernelI22helper_blocked_blockediLj128ELj1ELj10EEvPKT0_PS1_,comdat
.Lfunc_end8:
	.size	_Z16sort_keys_kernelI22helper_blocked_blockediLj128ELj1ELj10EEvPKT0_PS1_, .Lfunc_end8-_Z16sort_keys_kernelI22helper_blocked_blockediLj128ELj1ELj10EEvPKT0_PS1_
                                        ; -- End function
	.section	.AMDGPU.csdata,"",@progbits
; Kernel info:
; codeLenInByte = 4152
; NumSgprs: 25
; NumVgprs: 26
; ScratchSize: 0
; MemoryBound: 0
; FloatMode: 240
; IeeeMode: 1
; LDSByteSize: 4112 bytes/workgroup (compile time only)
; SGPRBlocks: 3
; VGPRBlocks: 3
; NumSGPRsForWavesPerEU: 25
; NumVGPRsForWavesPerEU: 26
; Occupancy: 16
; WaveLimiterHint : 0
; COMPUTE_PGM_RSRC2:SCRATCH_EN: 0
; COMPUTE_PGM_RSRC2:USER_SGPR: 15
; COMPUTE_PGM_RSRC2:TRAP_HANDLER: 0
; COMPUTE_PGM_RSRC2:TGID_X_EN: 1
; COMPUTE_PGM_RSRC2:TGID_Y_EN: 0
; COMPUTE_PGM_RSRC2:TGID_Z_EN: 0
; COMPUTE_PGM_RSRC2:TIDIG_COMP_CNT: 2
	.section	.text._Z17sort_pairs_kernelI22helper_blocked_blockediLj128ELj1ELj10EEvPKT0_PS1_,"axG",@progbits,_Z17sort_pairs_kernelI22helper_blocked_blockediLj128ELj1ELj10EEvPKT0_PS1_,comdat
	.protected	_Z17sort_pairs_kernelI22helper_blocked_blockediLj128ELj1ELj10EEvPKT0_PS1_ ; -- Begin function _Z17sort_pairs_kernelI22helper_blocked_blockediLj128ELj1ELj10EEvPKT0_PS1_
	.globl	_Z17sort_pairs_kernelI22helper_blocked_blockediLj128ELj1ELj10EEvPKT0_PS1_
	.p2align	8
	.type	_Z17sort_pairs_kernelI22helper_blocked_blockediLj128ELj1ELj10EEvPKT0_PS1_,@function
_Z17sort_pairs_kernelI22helper_blocked_blockediLj128ELj1ELj10EEvPKT0_PS1_: ; @_Z17sort_pairs_kernelI22helper_blocked_blockediLj128ELj1ELj10EEvPKT0_PS1_
; %bb.0:
	s_clause 0x1
	s_load_b128 s[16:19], s[0:1], 0x0
	s_load_b32 s10, s[0:1], 0x1c
	s_mov_b32 s21, 0
	s_lshl_b32 s20, s15, 7
	v_mbcnt_lo_u32_b32 v3, -1, 0
	s_lshl_b64 s[14:15], s[20:21], 2
	s_mov_b32 s20, s21
	s_mov_b32 s22, 10
	s_delay_alu instid0(VALU_DEP_1) | instskip(SKIP_3) | instid1(VALU_DEP_4)
	v_dual_mov_b32 v11, s20 :: v_dual_add_nc_u32 v6, -1, v3
	v_and_b32_e32 v4, 15, v3
	v_dual_mov_b32 v12, s21 :: v_dual_and_b32 v5, 16, v3
	v_and_b32_e32 v7, 3, v3
	v_cmp_gt_i32_e64 s7, 0, v6
	s_delay_alu instid0(VALU_DEP_4)
	v_cmp_lt_u32_e64 s2, 3, v4
	v_cmp_lt_u32_e64 s3, 7, v4
	v_cmp_eq_u32_e64 s4, 0, v5
	v_cmp_eq_u32_e64 s8, 0, v7
	v_cndmask_b32_e64 v5, v6, v3, s7
	s_waitcnt lgkmcnt(0)
	s_add_u32 s0, s16, s14
	s_addc_u32 s1, s17, s15
	s_mov_b32 s16, s21
	s_mov_b32 s17, s21
	v_dual_mov_b32 v9, s16 :: v_dual_and_b32 v8, 0x3ff, v0
	v_mov_b32_e32 v10, s17
	s_lshr_b32 s9, s10, 16
	s_and_b32 s10, s10, 0xffff
	s_delay_alu instid0(VALU_DEP_2)
	v_lshlrev_b32_e32 v1, 2, v8
	v_lshrrev_b32_e32 v6, 3, v8
	v_lshlrev_b32_e32 v13, 5, v8
	v_mul_i32_i24_e32 v20, 0xffffffe4, v8
	v_cmp_eq_u32_e32 vcc_lo, 0, v3
	global_load_b32 v2, v1, s[0:1]
	v_bfe_u32 v1, v0, 10, 10
	v_bfe_u32 v0, v0, 20, 10
	v_cmp_eq_u32_e64 s0, 0, v4
	v_cmp_lt_u32_e64 s1, 1, v4
	v_and_b32_e32 v4, 0x60, v8
	v_cmp_gt_u32_e64 s5, 4, v8
	v_mad_u32_u24 v14, v0, s9, v1
	v_cmp_lt_u32_e64 s9, 1, v7
	v_cmp_lt_u32_e64 s6, 31, v8
	v_or_b32_e32 v7, 31, v4
	v_cmp_eq_u32_e64 s7, 0, v8
	v_mad_u64_u32 v[0:1], null, v14, s10, v[8:9]
	v_and_b32_e32 v14, 12, v6
	v_or_b32_e32 v1, v3, v4
	v_or_b32_e32 v15, 16, v13
	v_lshlrev_b32_e32 v16, 2, v5
	v_cmp_eq_u32_e64 s10, v7, v8
	v_add_nc_u32_e32 v17, -4, v14
	v_lshlrev_b32_e32 v18, 2, v1
	v_lshrrev_b32_e32 v19, 5, v0
	v_add_nc_u32_e32 v20, v13, v20
	s_waitcnt vmcnt(0)
	v_add_nc_u32_e32 v21, 1, v2
	v_xor_b32_e32 v22, 0x80000000, v2
	s_branch .LBB9_2
.LBB9_1:                                ;   in Loop: Header=BB9_2 Depth=1
	s_or_b32 exec_lo, exec_lo, s11
	s_waitcnt lgkmcnt(0)
	v_add_nc_u32_e32 v3, v25, v3
	s_add_i32 s22, s22, -1
	s_delay_alu instid0(SALU_CYCLE_1) | instskip(SKIP_3) | instid1(VALU_DEP_1)
	s_cmp_lg_u32 s22, 0
	ds_bpermute_b32 v3, v16, v3
	s_waitcnt lgkmcnt(0)
	v_cndmask_b32_e32 v3, v3, v25, vcc_lo
	v_cndmask_b32_e64 v3, v3, 0, s7
	s_delay_alu instid0(VALU_DEP_1) | instskip(NEXT) | instid1(VALU_DEP_1)
	v_add_nc_u32_e32 v4, v3, v4
	v_add_nc_u32_e32 v5, v4, v5
	s_delay_alu instid0(VALU_DEP_1) | instskip(NEXT) | instid1(VALU_DEP_1)
	v_add_nc_u32_e32 v6, v5, v6
	v_add_nc_u32_e32 v25, v6, v7
	;; [unrolled: 3-line block ×3, first 2 shown]
	s_delay_alu instid0(VALU_DEP_1)
	v_add_nc_u32_e32 v1, v0, v2
	ds_store_2addr_b64 v13, v[3:4], v[5:6] offset0:2 offset1:3
	ds_store_2addr_b64 v15, v[25:26], v[0:1] offset0:2 offset1:3
	s_waitcnt lgkmcnt(0)
	s_barrier
	buffer_gl0_inv
	ds_load_b32 v0, v24
	v_lshlrev_b32_e32 v1, 2, v22
	s_waitcnt lgkmcnt(0)
	s_barrier
	buffer_gl0_inv
	v_lshl_add_u32 v0, v0, 2, v1
	ds_store_b32 v0, v21
	s_waitcnt lgkmcnt(0)
	s_barrier
	buffer_gl0_inv
	ds_load_b32 v22, v20
	s_waitcnt lgkmcnt(0)
	s_barrier
	buffer_gl0_inv
	ds_store_b32 v0, v23
	s_waitcnt lgkmcnt(0)
	s_barrier
	buffer_gl0_inv
	ds_load_b32 v21, v20
	s_cbranch_scc0 .LBB9_34
.LBB9_2:                                ; =>This Inner Loop Header: Depth=1
	s_delay_alu instid0(VALU_DEP_1)
	v_and_b32_e32 v0, 1, v22
	v_lshlrev_b32_e32 v1, 30, v22
	v_lshlrev_b32_e32 v2, 29, v22
	;; [unrolled: 1-line block ×4, first 2 shown]
	v_add_co_u32 v0, s11, v0, -1
	s_delay_alu instid0(VALU_DEP_1)
	v_cndmask_b32_e64 v3, 0, 1, s11
	v_not_b32_e32 v7, v1
	v_cmp_gt_i32_e64 s12, 0, v1
	v_not_b32_e32 v1, v2
	v_lshlrev_b32_e32 v6, 26, v22
	v_cmp_ne_u32_e64 s11, 0, v3
	v_ashrrev_i32_e32 v7, 31, v7
	v_lshlrev_b32_e32 v3, 25, v22
	v_ashrrev_i32_e32 v1, 31, v1
	v_cmp_gt_i32_e64 s13, 0, v5
	v_xor_b32_e32 v0, s11, v0
	v_cmp_gt_i32_e64 s11, 0, v2
	v_not_b32_e32 v2, v4
	v_xor_b32_e32 v7, s12, v7
	v_cmp_gt_i32_e64 s12, 0, v4
	v_and_b32_e32 v0, exec_lo, v0
	v_xor_b32_e32 v1, s11, v1
	v_ashrrev_i32_e32 v2, 31, v2
	v_not_b32_e32 v4, v5
	v_not_b32_e32 v5, v6
	v_and_b32_e32 v0, v0, v7
	v_cmp_gt_i32_e64 s11, 0, v6
	v_xor_b32_e32 v2, s12, v2
	v_not_b32_e32 v6, v3
	ds_store_2addr_b64 v13, v[11:12], v[9:10] offset0:2 offset1:3
	ds_store_2addr_b64 v15, v[11:12], v[9:10] offset0:2 offset1:3
	v_and_b32_e32 v0, v0, v1
	v_ashrrev_i32_e32 v1, 31, v4
	v_ashrrev_i32_e32 v4, 31, v5
	v_lshlrev_b32_e32 v5, 24, v22
	s_waitcnt lgkmcnt(0)
	v_and_b32_e32 v0, v0, v2
	v_xor_b32_e32 v1, s13, v1
	v_xor_b32_e32 v2, s11, v4
	v_cmp_gt_i32_e64 s11, 0, v3
	v_not_b32_e32 v3, v5
	v_ashrrev_i32_e32 v4, 31, v6
	v_and_b32_e32 v0, v0, v1
	v_cmp_gt_i32_e64 s12, 0, v5
	s_barrier
	v_ashrrev_i32_e32 v1, 31, v3
	v_xor_b32_e32 v3, s11, v4
	v_and_b32_e32 v0, v0, v2
	buffer_gl0_inv
	v_xor_b32_e32 v1, s12, v1
	; wave barrier
	v_and_b32_e32 v0, v0, v3
	s_delay_alu instid0(VALU_DEP_1) | instskip(SKIP_1) | instid1(VALU_DEP_2)
	v_and_b32_e32 v0, v0, v1
	v_and_b32_e32 v1, 0xff, v22
	v_mbcnt_lo_u32_b32 v23, v0, 0
	s_delay_alu instid0(VALU_DEP_2) | instskip(SKIP_1) | instid1(VALU_DEP_3)
	v_lshl_add_u32 v1, v1, 2, v19
	v_cmp_ne_u32_e64 s12, 0, v0
	v_cmp_eq_u32_e64 s11, 0, v23
	s_delay_alu instid0(VALU_DEP_3) | instskip(NEXT) | instid1(VALU_DEP_2)
	v_lshl_add_u32 v24, v1, 2, 16
	s_and_b32 s12, s12, s11
	s_delay_alu instid0(SALU_CYCLE_1)
	s_and_saveexec_b32 s11, s12
	s_cbranch_execz .LBB9_4
; %bb.3:                                ;   in Loop: Header=BB9_2 Depth=1
	v_bcnt_u32_b32 v0, v0, 0
	ds_store_b32 v24, v0
.LBB9_4:                                ;   in Loop: Header=BB9_2 Depth=1
	s_or_b32 exec_lo, exec_lo, s11
	; wave barrier
	s_waitcnt lgkmcnt(0)
	s_barrier
	buffer_gl0_inv
	ds_load_2addr_b64 v[4:7], v13 offset0:2 offset1:3
	ds_load_2addr_b64 v[0:3], v15 offset0:2 offset1:3
	s_waitcnt lgkmcnt(1)
	v_add_nc_u32_e32 v25, v5, v4
	s_delay_alu instid0(VALU_DEP_1) | instskip(SKIP_1) | instid1(VALU_DEP_1)
	v_add3_u32 v25, v25, v6, v7
	s_waitcnt lgkmcnt(0)
	v_add3_u32 v25, v25, v0, v1
	s_delay_alu instid0(VALU_DEP_1) | instskip(NEXT) | instid1(VALU_DEP_1)
	v_add3_u32 v3, v25, v2, v3
	v_mov_b32_dpp v25, v3 row_shr:1 row_mask:0xf bank_mask:0xf
	s_delay_alu instid0(VALU_DEP_1) | instskip(NEXT) | instid1(VALU_DEP_1)
	v_cndmask_b32_e64 v25, v25, 0, s0
	v_add_nc_u32_e32 v3, v25, v3
	s_delay_alu instid0(VALU_DEP_1) | instskip(NEXT) | instid1(VALU_DEP_1)
	v_mov_b32_dpp v25, v3 row_shr:2 row_mask:0xf bank_mask:0xf
	v_cndmask_b32_e64 v25, 0, v25, s1
	s_delay_alu instid0(VALU_DEP_1) | instskip(NEXT) | instid1(VALU_DEP_1)
	v_add_nc_u32_e32 v3, v3, v25
	v_mov_b32_dpp v25, v3 row_shr:4 row_mask:0xf bank_mask:0xf
	s_delay_alu instid0(VALU_DEP_1) | instskip(NEXT) | instid1(VALU_DEP_1)
	v_cndmask_b32_e64 v25, 0, v25, s2
	v_add_nc_u32_e32 v3, v3, v25
	s_delay_alu instid0(VALU_DEP_1) | instskip(NEXT) | instid1(VALU_DEP_1)
	v_mov_b32_dpp v25, v3 row_shr:8 row_mask:0xf bank_mask:0xf
	v_cndmask_b32_e64 v25, 0, v25, s3
	s_delay_alu instid0(VALU_DEP_1) | instskip(SKIP_3) | instid1(VALU_DEP_1)
	v_add_nc_u32_e32 v3, v3, v25
	ds_swizzle_b32 v25, v3 offset:swizzle(BROADCAST,32,15)
	s_waitcnt lgkmcnt(0)
	v_cndmask_b32_e64 v25, v25, 0, s4
	v_add_nc_u32_e32 v3, v3, v25
	s_and_saveexec_b32 s11, s10
	s_cbranch_execz .LBB9_6
; %bb.5:                                ;   in Loop: Header=BB9_2 Depth=1
	ds_store_b32 v14, v3
.LBB9_6:                                ;   in Loop: Header=BB9_2 Depth=1
	s_or_b32 exec_lo, exec_lo, s11
	s_waitcnt lgkmcnt(0)
	s_barrier
	buffer_gl0_inv
	s_and_saveexec_b32 s11, s5
	s_cbranch_execz .LBB9_8
; %bb.7:                                ;   in Loop: Header=BB9_2 Depth=1
	ds_load_b32 v25, v20
	s_waitcnt lgkmcnt(0)
	v_mov_b32_dpp v26, v25 row_shr:1 row_mask:0xf bank_mask:0xf
	s_delay_alu instid0(VALU_DEP_1) | instskip(NEXT) | instid1(VALU_DEP_1)
	v_cndmask_b32_e64 v26, v26, 0, s8
	v_add_nc_u32_e32 v25, v26, v25
	s_delay_alu instid0(VALU_DEP_1) | instskip(NEXT) | instid1(VALU_DEP_1)
	v_mov_b32_dpp v26, v25 row_shr:2 row_mask:0xf bank_mask:0xf
	v_cndmask_b32_e64 v26, 0, v26, s9
	s_delay_alu instid0(VALU_DEP_1)
	v_add_nc_u32_e32 v25, v25, v26
	ds_store_b32 v20, v25
.LBB9_8:                                ;   in Loop: Header=BB9_2 Depth=1
	s_or_b32 exec_lo, exec_lo, s11
	v_mov_b32_e32 v25, 0
	s_waitcnt lgkmcnt(0)
	s_barrier
	buffer_gl0_inv
	s_and_saveexec_b32 s11, s6
	s_cbranch_execz .LBB9_10
; %bb.9:                                ;   in Loop: Header=BB9_2 Depth=1
	ds_load_b32 v25, v17
.LBB9_10:                               ;   in Loop: Header=BB9_2 Depth=1
	s_or_b32 exec_lo, exec_lo, s11
	s_waitcnt lgkmcnt(0)
	v_add_nc_u32_e32 v3, v25, v3
	ds_bpermute_b32 v3, v16, v3
	s_waitcnt lgkmcnt(0)
	v_cndmask_b32_e32 v3, v3, v25, vcc_lo
	s_delay_alu instid0(VALU_DEP_1) | instskip(NEXT) | instid1(VALU_DEP_1)
	v_cndmask_b32_e64 v3, v3, 0, s7
	v_add_nc_u32_e32 v4, v3, v4
	s_delay_alu instid0(VALU_DEP_1) | instskip(NEXT) | instid1(VALU_DEP_1)
	v_add_nc_u32_e32 v5, v4, v5
	v_add_nc_u32_e32 v6, v5, v6
	s_delay_alu instid0(VALU_DEP_1) | instskip(NEXT) | instid1(VALU_DEP_1)
	v_add_nc_u32_e32 v25, v6, v7
	;; [unrolled: 3-line block ×3, first 2 shown]
	v_add_nc_u32_e32 v1, v0, v2
	ds_store_2addr_b64 v13, v[3:4], v[5:6] offset0:2 offset1:3
	ds_store_2addr_b64 v15, v[25:26], v[0:1] offset0:2 offset1:3
	s_waitcnt lgkmcnt(0)
	s_barrier
	buffer_gl0_inv
	ds_load_b32 v0, v24
	v_lshlrev_b32_e32 v1, 2, v23
	s_waitcnt lgkmcnt(0)
	s_barrier
	buffer_gl0_inv
	v_lshl_add_u32 v0, v0, 2, v1
	ds_store_b32 v0, v22
	s_waitcnt lgkmcnt(0)
	s_barrier
	buffer_gl0_inv
	ds_load_b32 v22, v18
	s_waitcnt lgkmcnt(0)
	s_barrier
	buffer_gl0_inv
	ds_store_b32 v0, v21
	s_waitcnt lgkmcnt(0)
	s_barrier
	buffer_gl0_inv
	v_bfe_u32 v1, v22, 8, 1
	v_lshrrev_b32_e32 v2, 8, v22
	s_delay_alu instid0(VALU_DEP_2) | instskip(NEXT) | instid1(VALU_DEP_1)
	v_add_co_u32 v1, s11, v1, -1
	v_cndmask_b32_e64 v3, 0, 1, s11
	s_delay_alu instid0(VALU_DEP_3)
	v_lshlrev_b32_e32 v4, 30, v2
	v_lshlrev_b32_e32 v5, 29, v2
	v_lshlrev_b32_e32 v6, 28, v2
	v_lshlrev_b32_e32 v7, 27, v2
	v_cmp_ne_u32_e64 s11, 0, v3
	v_not_b32_e32 v3, v4
	v_cmp_gt_i32_e64 s12, 0, v4
	v_not_b32_e32 v4, v5
	v_lshlrev_b32_e32 v23, 26, v2
	v_xor_b32_e32 v1, s11, v1
	v_ashrrev_i32_e32 v3, 31, v3
	v_cmp_gt_i32_e64 s11, 0, v5
	v_not_b32_e32 v5, v6
	v_ashrrev_i32_e32 v4, 31, v4
	v_and_b32_e32 v1, exec_lo, v1
	v_xor_b32_e32 v3, s12, v3
	v_cmp_gt_i32_e64 s12, 0, v6
	v_not_b32_e32 v6, v7
	v_ashrrev_i32_e32 v5, 31, v5
	v_xor_b32_e32 v4, s11, v4
	v_and_b32_e32 v1, v1, v3
	v_lshlrev_b32_e32 v24, 25, v2
	v_cmp_gt_i32_e64 s11, 0, v7
	v_not_b32_e32 v3, v23
	v_ashrrev_i32_e32 v6, 31, v6
	v_xor_b32_e32 v5, s12, v5
	v_and_b32_e32 v1, v1, v4
	v_lshlrev_b32_e32 v2, 24, v2
	v_cmp_gt_i32_e64 s12, 0, v23
	v_not_b32_e32 v4, v24
	v_ashrrev_i32_e32 v3, 31, v3
	v_xor_b32_e32 v6, s11, v6
	v_and_b32_e32 v1, v1, v5
	v_cmp_gt_i32_e64 s11, 0, v24
	v_not_b32_e32 v5, v2
	v_ashrrev_i32_e32 v4, 31, v4
	v_xor_b32_e32 v3, s12, v3
	v_and_b32_e32 v1, v1, v6
	v_cmp_gt_i32_e64 s12, 0, v2
	v_ashrrev_i32_e32 v2, 31, v5
	v_xor_b32_e32 v4, s11, v4
	ds_load_b32 v23, v18
	v_and_b32_e32 v1, v1, v3
	s_waitcnt lgkmcnt(0)
	v_xor_b32_e32 v0, s12, v2
	v_lshrrev_b32_e32 v2, 6, v22
	s_barrier
	v_and_b32_e32 v1, v1, v4
	buffer_gl0_inv
	ds_store_2addr_b64 v13, v[11:12], v[9:10] offset0:2 offset1:3
	ds_store_2addr_b64 v15, v[11:12], v[9:10] offset0:2 offset1:3
	s_waitcnt lgkmcnt(0)
	s_barrier
	v_and_b32_e32 v0, v1, v0
	v_and_b32_e32 v1, 0x3fc, v2
	buffer_gl0_inv
	; wave barrier
	v_mbcnt_lo_u32_b32 v21, v0, 0
	v_add_nc_u32_e32 v1, v1, v19
	v_cmp_ne_u32_e64 s12, 0, v0
	s_delay_alu instid0(VALU_DEP_3) | instskip(NEXT) | instid1(VALU_DEP_3)
	v_cmp_eq_u32_e64 s11, 0, v21
	v_lshl_add_u32 v24, v1, 2, 16
	s_delay_alu instid0(VALU_DEP_2) | instskip(NEXT) | instid1(SALU_CYCLE_1)
	s_and_b32 s12, s12, s11
	s_and_saveexec_b32 s11, s12
	s_cbranch_execz .LBB9_12
; %bb.11:                               ;   in Loop: Header=BB9_2 Depth=1
	v_bcnt_u32_b32 v0, v0, 0
	ds_store_b32 v24, v0
.LBB9_12:                               ;   in Loop: Header=BB9_2 Depth=1
	s_or_b32 exec_lo, exec_lo, s11
	; wave barrier
	s_waitcnt lgkmcnt(0)
	s_barrier
	buffer_gl0_inv
	ds_load_2addr_b64 v[4:7], v13 offset0:2 offset1:3
	ds_load_2addr_b64 v[0:3], v15 offset0:2 offset1:3
	s_waitcnt lgkmcnt(1)
	v_add_nc_u32_e32 v25, v5, v4
	s_delay_alu instid0(VALU_DEP_1) | instskip(SKIP_1) | instid1(VALU_DEP_1)
	v_add3_u32 v25, v25, v6, v7
	s_waitcnt lgkmcnt(0)
	v_add3_u32 v25, v25, v0, v1
	s_delay_alu instid0(VALU_DEP_1) | instskip(NEXT) | instid1(VALU_DEP_1)
	v_add3_u32 v3, v25, v2, v3
	v_mov_b32_dpp v25, v3 row_shr:1 row_mask:0xf bank_mask:0xf
	s_delay_alu instid0(VALU_DEP_1) | instskip(NEXT) | instid1(VALU_DEP_1)
	v_cndmask_b32_e64 v25, v25, 0, s0
	v_add_nc_u32_e32 v3, v25, v3
	s_delay_alu instid0(VALU_DEP_1) | instskip(NEXT) | instid1(VALU_DEP_1)
	v_mov_b32_dpp v25, v3 row_shr:2 row_mask:0xf bank_mask:0xf
	v_cndmask_b32_e64 v25, 0, v25, s1
	s_delay_alu instid0(VALU_DEP_1) | instskip(NEXT) | instid1(VALU_DEP_1)
	v_add_nc_u32_e32 v3, v3, v25
	v_mov_b32_dpp v25, v3 row_shr:4 row_mask:0xf bank_mask:0xf
	s_delay_alu instid0(VALU_DEP_1) | instskip(NEXT) | instid1(VALU_DEP_1)
	v_cndmask_b32_e64 v25, 0, v25, s2
	v_add_nc_u32_e32 v3, v3, v25
	s_delay_alu instid0(VALU_DEP_1) | instskip(NEXT) | instid1(VALU_DEP_1)
	v_mov_b32_dpp v25, v3 row_shr:8 row_mask:0xf bank_mask:0xf
	v_cndmask_b32_e64 v25, 0, v25, s3
	s_delay_alu instid0(VALU_DEP_1) | instskip(SKIP_3) | instid1(VALU_DEP_1)
	v_add_nc_u32_e32 v3, v3, v25
	ds_swizzle_b32 v25, v3 offset:swizzle(BROADCAST,32,15)
	s_waitcnt lgkmcnt(0)
	v_cndmask_b32_e64 v25, v25, 0, s4
	v_add_nc_u32_e32 v3, v3, v25
	s_and_saveexec_b32 s11, s10
	s_cbranch_execz .LBB9_14
; %bb.13:                               ;   in Loop: Header=BB9_2 Depth=1
	ds_store_b32 v14, v3
.LBB9_14:                               ;   in Loop: Header=BB9_2 Depth=1
	s_or_b32 exec_lo, exec_lo, s11
	s_waitcnt lgkmcnt(0)
	s_barrier
	buffer_gl0_inv
	s_and_saveexec_b32 s11, s5
	s_cbranch_execz .LBB9_16
; %bb.15:                               ;   in Loop: Header=BB9_2 Depth=1
	ds_load_b32 v25, v20
	s_waitcnt lgkmcnt(0)
	v_mov_b32_dpp v26, v25 row_shr:1 row_mask:0xf bank_mask:0xf
	s_delay_alu instid0(VALU_DEP_1) | instskip(NEXT) | instid1(VALU_DEP_1)
	v_cndmask_b32_e64 v26, v26, 0, s8
	v_add_nc_u32_e32 v25, v26, v25
	s_delay_alu instid0(VALU_DEP_1) | instskip(NEXT) | instid1(VALU_DEP_1)
	v_mov_b32_dpp v26, v25 row_shr:2 row_mask:0xf bank_mask:0xf
	v_cndmask_b32_e64 v26, 0, v26, s9
	s_delay_alu instid0(VALU_DEP_1)
	v_add_nc_u32_e32 v25, v25, v26
	ds_store_b32 v20, v25
.LBB9_16:                               ;   in Loop: Header=BB9_2 Depth=1
	s_or_b32 exec_lo, exec_lo, s11
	v_mov_b32_e32 v25, 0
	s_waitcnt lgkmcnt(0)
	s_barrier
	buffer_gl0_inv
	s_and_saveexec_b32 s11, s6
	s_cbranch_execz .LBB9_18
; %bb.17:                               ;   in Loop: Header=BB9_2 Depth=1
	ds_load_b32 v25, v17
.LBB9_18:                               ;   in Loop: Header=BB9_2 Depth=1
	s_or_b32 exec_lo, exec_lo, s11
	s_waitcnt lgkmcnt(0)
	v_add_nc_u32_e32 v3, v25, v3
	ds_bpermute_b32 v3, v16, v3
	s_waitcnt lgkmcnt(0)
	v_cndmask_b32_e32 v3, v3, v25, vcc_lo
	s_delay_alu instid0(VALU_DEP_1) | instskip(NEXT) | instid1(VALU_DEP_1)
	v_cndmask_b32_e64 v3, v3, 0, s7
	v_add_nc_u32_e32 v4, v3, v4
	s_delay_alu instid0(VALU_DEP_1) | instskip(NEXT) | instid1(VALU_DEP_1)
	v_add_nc_u32_e32 v5, v4, v5
	v_add_nc_u32_e32 v6, v5, v6
	s_delay_alu instid0(VALU_DEP_1) | instskip(NEXT) | instid1(VALU_DEP_1)
	v_add_nc_u32_e32 v25, v6, v7
	;; [unrolled: 3-line block ×3, first 2 shown]
	v_add_nc_u32_e32 v1, v0, v2
	ds_store_2addr_b64 v13, v[3:4], v[5:6] offset0:2 offset1:3
	ds_store_2addr_b64 v15, v[25:26], v[0:1] offset0:2 offset1:3
	s_waitcnt lgkmcnt(0)
	s_barrier
	buffer_gl0_inv
	ds_load_b32 v0, v24
	v_lshlrev_b32_e32 v1, 2, v21
	s_waitcnt lgkmcnt(0)
	s_barrier
	buffer_gl0_inv
	v_lshl_add_u32 v0, v0, 2, v1
	v_dual_mov_b32 v1, s20 :: v_dual_mov_b32 v2, s21
	ds_store_b32 v0, v22
	s_waitcnt lgkmcnt(0)
	s_barrier
	buffer_gl0_inv
	ds_load_b32 v21, v18
	s_waitcnt lgkmcnt(0)
	s_barrier
	buffer_gl0_inv
	ds_store_b32 v0, v23
	s_waitcnt lgkmcnt(0)
	s_barrier
	buffer_gl0_inv
	v_bfe_u32 v3, v21, 16, 1
	v_lshrrev_b32_e32 v4, 16, v21
	s_delay_alu instid0(VALU_DEP_2) | instskip(NEXT) | instid1(VALU_DEP_1)
	v_add_co_u32 v3, s11, v3, -1
	v_cndmask_b32_e64 v5, 0, 1, s11
	s_delay_alu instid0(VALU_DEP_3)
	v_lshlrev_b32_e32 v6, 30, v4
	v_lshlrev_b32_e32 v7, 29, v4
	;; [unrolled: 1-line block ×4, first 2 shown]
	v_cmp_ne_u32_e64 s11, 0, v5
	v_not_b32_e32 v5, v6
	v_cmp_gt_i32_e64 s12, 0, v6
	v_not_b32_e32 v6, v7
	v_lshlrev_b32_e32 v25, 26, v4
	v_xor_b32_e32 v3, s11, v3
	v_ashrrev_i32_e32 v5, 31, v5
	v_cmp_gt_i32_e64 s11, 0, v7
	v_not_b32_e32 v7, v22
	v_ashrrev_i32_e32 v6, 31, v6
	v_and_b32_e32 v3, exec_lo, v3
	v_xor_b32_e32 v5, s12, v5
	v_cmp_gt_i32_e64 s12, 0, v22
	v_not_b32_e32 v22, v24
	v_ashrrev_i32_e32 v7, 31, v7
	v_xor_b32_e32 v6, s11, v6
	v_and_b32_e32 v3, v3, v5
	v_lshlrev_b32_e32 v26, 25, v4
	v_cmp_gt_i32_e64 s11, 0, v24
	v_not_b32_e32 v5, v25
	v_ashrrev_i32_e32 v22, 31, v22
	v_xor_b32_e32 v7, s12, v7
	v_and_b32_e32 v3, v3, v6
	v_lshlrev_b32_e32 v4, 24, v4
	v_cmp_gt_i32_e64 s12, 0, v25
	v_not_b32_e32 v6, v26
	v_ashrrev_i32_e32 v5, 31, v5
	v_xor_b32_e32 v22, s11, v22
	v_and_b32_e32 v3, v3, v7
	v_cmp_gt_i32_e64 s11, 0, v26
	v_not_b32_e32 v7, v4
	v_ashrrev_i32_e32 v6, 31, v6
	v_xor_b32_e32 v5, s12, v5
	v_and_b32_e32 v3, v3, v22
	v_cmp_gt_i32_e64 s12, 0, v4
	v_ashrrev_i32_e32 v4, 31, v7
	v_xor_b32_e32 v6, s11, v6
	ds_load_b32 v22, v18
	v_and_b32_e32 v3, v3, v5
	s_waitcnt lgkmcnt(0)
	v_xor_b32_e32 v0, s12, v4
	s_barrier
	buffer_gl0_inv
	v_and_b32_e32 v5, v3, v6
	v_mov_b32_e32 v3, s16
	v_lshrrev_b32_e32 v6, 14, v21
	v_mov_b32_e32 v4, s17
	ds_store_2addr_b64 v13, v[1:2], v[3:4] offset0:2 offset1:3
	ds_store_2addr_b64 v15, v[1:2], v[3:4] offset0:2 offset1:3
	v_and_b32_e32 v0, v5, v0
	v_and_b32_e32 v5, 0x3fc, v6
	s_waitcnt lgkmcnt(0)
	s_barrier
	buffer_gl0_inv
	v_mbcnt_lo_u32_b32 v23, v0, 0
	v_add_nc_u32_e32 v1, v5, v19
	v_cmp_ne_u32_e64 s12, 0, v0
	; wave barrier
	s_delay_alu instid0(VALU_DEP_3) | instskip(NEXT) | instid1(VALU_DEP_3)
	v_cmp_eq_u32_e64 s11, 0, v23
	v_lshl_add_u32 v24, v1, 2, 16
	s_delay_alu instid0(VALU_DEP_2) | instskip(NEXT) | instid1(SALU_CYCLE_1)
	s_and_b32 s12, s12, s11
	s_and_saveexec_b32 s11, s12
	s_cbranch_execz .LBB9_20
; %bb.19:                               ;   in Loop: Header=BB9_2 Depth=1
	v_bcnt_u32_b32 v0, v0, 0
	ds_store_b32 v24, v0
.LBB9_20:                               ;   in Loop: Header=BB9_2 Depth=1
	s_or_b32 exec_lo, exec_lo, s11
	; wave barrier
	s_waitcnt lgkmcnt(0)
	s_barrier
	buffer_gl0_inv
	ds_load_2addr_b64 v[4:7], v13 offset0:2 offset1:3
	ds_load_2addr_b64 v[0:3], v15 offset0:2 offset1:3
	s_waitcnt lgkmcnt(1)
	v_add_nc_u32_e32 v25, v5, v4
	s_delay_alu instid0(VALU_DEP_1) | instskip(SKIP_1) | instid1(VALU_DEP_1)
	v_add3_u32 v25, v25, v6, v7
	s_waitcnt lgkmcnt(0)
	v_add3_u32 v25, v25, v0, v1
	s_delay_alu instid0(VALU_DEP_1) | instskip(NEXT) | instid1(VALU_DEP_1)
	v_add3_u32 v3, v25, v2, v3
	v_mov_b32_dpp v25, v3 row_shr:1 row_mask:0xf bank_mask:0xf
	s_delay_alu instid0(VALU_DEP_1) | instskip(NEXT) | instid1(VALU_DEP_1)
	v_cndmask_b32_e64 v25, v25, 0, s0
	v_add_nc_u32_e32 v3, v25, v3
	s_delay_alu instid0(VALU_DEP_1) | instskip(NEXT) | instid1(VALU_DEP_1)
	v_mov_b32_dpp v25, v3 row_shr:2 row_mask:0xf bank_mask:0xf
	v_cndmask_b32_e64 v25, 0, v25, s1
	s_delay_alu instid0(VALU_DEP_1) | instskip(NEXT) | instid1(VALU_DEP_1)
	v_add_nc_u32_e32 v3, v3, v25
	v_mov_b32_dpp v25, v3 row_shr:4 row_mask:0xf bank_mask:0xf
	s_delay_alu instid0(VALU_DEP_1) | instskip(NEXT) | instid1(VALU_DEP_1)
	v_cndmask_b32_e64 v25, 0, v25, s2
	v_add_nc_u32_e32 v3, v3, v25
	s_delay_alu instid0(VALU_DEP_1) | instskip(NEXT) | instid1(VALU_DEP_1)
	v_mov_b32_dpp v25, v3 row_shr:8 row_mask:0xf bank_mask:0xf
	v_cndmask_b32_e64 v25, 0, v25, s3
	s_delay_alu instid0(VALU_DEP_1) | instskip(SKIP_3) | instid1(VALU_DEP_1)
	v_add_nc_u32_e32 v3, v3, v25
	ds_swizzle_b32 v25, v3 offset:swizzle(BROADCAST,32,15)
	s_waitcnt lgkmcnt(0)
	v_cndmask_b32_e64 v25, v25, 0, s4
	v_add_nc_u32_e32 v3, v3, v25
	s_and_saveexec_b32 s11, s10
	s_cbranch_execz .LBB9_22
; %bb.21:                               ;   in Loop: Header=BB9_2 Depth=1
	ds_store_b32 v14, v3
.LBB9_22:                               ;   in Loop: Header=BB9_2 Depth=1
	s_or_b32 exec_lo, exec_lo, s11
	s_waitcnt lgkmcnt(0)
	s_barrier
	buffer_gl0_inv
	s_and_saveexec_b32 s11, s5
	s_cbranch_execz .LBB9_24
; %bb.23:                               ;   in Loop: Header=BB9_2 Depth=1
	ds_load_b32 v25, v20
	s_waitcnt lgkmcnt(0)
	v_mov_b32_dpp v26, v25 row_shr:1 row_mask:0xf bank_mask:0xf
	s_delay_alu instid0(VALU_DEP_1) | instskip(NEXT) | instid1(VALU_DEP_1)
	v_cndmask_b32_e64 v26, v26, 0, s8
	v_add_nc_u32_e32 v25, v26, v25
	s_delay_alu instid0(VALU_DEP_1) | instskip(NEXT) | instid1(VALU_DEP_1)
	v_mov_b32_dpp v26, v25 row_shr:2 row_mask:0xf bank_mask:0xf
	v_cndmask_b32_e64 v26, 0, v26, s9
	s_delay_alu instid0(VALU_DEP_1)
	v_add_nc_u32_e32 v25, v25, v26
	ds_store_b32 v20, v25
.LBB9_24:                               ;   in Loop: Header=BB9_2 Depth=1
	s_or_b32 exec_lo, exec_lo, s11
	v_mov_b32_e32 v25, 0
	s_waitcnt lgkmcnt(0)
	s_barrier
	buffer_gl0_inv
	s_and_saveexec_b32 s11, s6
	s_cbranch_execz .LBB9_26
; %bb.25:                               ;   in Loop: Header=BB9_2 Depth=1
	ds_load_b32 v25, v17
.LBB9_26:                               ;   in Loop: Header=BB9_2 Depth=1
	s_or_b32 exec_lo, exec_lo, s11
	s_waitcnt lgkmcnt(0)
	v_add_nc_u32_e32 v3, v25, v3
	ds_bpermute_b32 v3, v16, v3
	s_waitcnt lgkmcnt(0)
	v_cndmask_b32_e32 v3, v3, v25, vcc_lo
	s_delay_alu instid0(VALU_DEP_1) | instskip(NEXT) | instid1(VALU_DEP_1)
	v_cndmask_b32_e64 v3, v3, 0, s7
	v_add_nc_u32_e32 v4, v3, v4
	s_delay_alu instid0(VALU_DEP_1) | instskip(NEXT) | instid1(VALU_DEP_1)
	v_add_nc_u32_e32 v5, v4, v5
	v_add_nc_u32_e32 v6, v5, v6
	s_delay_alu instid0(VALU_DEP_1) | instskip(NEXT) | instid1(VALU_DEP_1)
	v_add_nc_u32_e32 v25, v6, v7
	;; [unrolled: 3-line block ×3, first 2 shown]
	v_add_nc_u32_e32 v1, v0, v2
	ds_store_2addr_b64 v13, v[3:4], v[5:6] offset0:2 offset1:3
	ds_store_2addr_b64 v15, v[25:26], v[0:1] offset0:2 offset1:3
	s_waitcnt lgkmcnt(0)
	s_barrier
	buffer_gl0_inv
	ds_load_b32 v0, v24
	v_lshlrev_b32_e32 v1, 2, v23
	s_waitcnt lgkmcnt(0)
	s_barrier
	buffer_gl0_inv
	v_lshl_add_u32 v0, v0, 2, v1
	ds_store_b32 v0, v21
	s_waitcnt lgkmcnt(0)
	s_barrier
	buffer_gl0_inv
	ds_load_b32 v21, v18
	s_waitcnt lgkmcnt(0)
	s_barrier
	buffer_gl0_inv
	ds_store_b32 v0, v22
	s_waitcnt lgkmcnt(0)
	s_barrier
	buffer_gl0_inv
	v_bfe_u32 v1, v21, 24, 1
	v_lshrrev_b32_e32 v5, 24, v21
	s_delay_alu instid0(VALU_DEP_2) | instskip(NEXT) | instid1(VALU_DEP_1)
	v_add_co_u32 v1, s11, v1, -1
	v_cndmask_b32_e64 v2, 0, 1, s11
	s_delay_alu instid0(VALU_DEP_3)
	v_lshlrev_b32_e32 v3, 30, v5
	v_lshlrev_b32_e32 v4, 29, v5
	;; [unrolled: 1-line block ×4, first 2 shown]
	v_cmp_ne_u32_e64 s11, 0, v2
	v_not_b32_e32 v2, v3
	v_cmp_gt_i32_e64 s12, 0, v3
	v_not_b32_e32 v3, v4
	v_lshlrev_b32_e32 v23, 26, v5
	v_xor_b32_e32 v1, s11, v1
	v_ashrrev_i32_e32 v2, 31, v2
	v_cmp_gt_i32_e64 s11, 0, v4
	v_not_b32_e32 v4, v6
	v_ashrrev_i32_e32 v3, 31, v3
	v_and_b32_e32 v1, exec_lo, v1
	v_xor_b32_e32 v2, s12, v2
	v_cmp_gt_i32_e64 s12, 0, v6
	v_not_b32_e32 v6, v7
	v_ashrrev_i32_e32 v4, 31, v4
	v_xor_b32_e32 v3, s11, v3
	v_and_b32_e32 v1, v1, v2
	v_lshlrev_b32_e32 v24, 25, v5
	v_cmp_gt_i32_e64 s11, 0, v7
	v_not_b32_e32 v2, v23
	v_ashrrev_i32_e32 v6, 31, v6
	v_xor_b32_e32 v4, s12, v4
	v_and_b32_e32 v1, v1, v3
	v_cmp_gt_i32_e64 s12, 0, v23
	v_not_b32_e32 v3, v24
	v_ashrrev_i32_e32 v2, 31, v2
	v_xor_b32_e32 v6, s11, v6
	v_and_b32_e32 v1, v1, v4
	v_not_b32_e32 v4, v21
	v_cmp_gt_i32_e64 s11, 0, v24
	v_ashrrev_i32_e32 v3, 31, v3
	v_xor_b32_e32 v2, s12, v2
	v_and_b32_e32 v1, v1, v6
	v_cmp_gt_i32_e64 s12, 0, v21
	v_ashrrev_i32_e32 v4, 31, v4
	v_xor_b32_e32 v3, s11, v3
	ds_load_b32 v23, v18
	v_and_b32_e32 v1, v1, v2
	s_waitcnt lgkmcnt(0)
	v_xor_b32_e32 v0, s12, v4
	s_barrier
	buffer_gl0_inv
	v_and_b32_e32 v3, v1, v3
	v_dual_mov_b32 v1, s20 :: v_dual_mov_b32 v2, s21
	s_delay_alu instid0(VALU_DEP_2)
	v_dual_mov_b32 v3, s16 :: v_dual_and_b32 v0, v3, v0
	v_mov_b32_e32 v4, s17
	ds_store_2addr_b64 v13, v[1:2], v[3:4] offset0:2 offset1:3
	ds_store_2addr_b64 v15, v[1:2], v[3:4] offset0:2 offset1:3
	v_mbcnt_lo_u32_b32 v22, v0, 0
	v_lshl_add_u32 v1, v5, 2, v19
	v_cmp_ne_u32_e64 s12, 0, v0
	s_waitcnt lgkmcnt(0)
	s_barrier
	v_cmp_eq_u32_e64 s11, 0, v22
	v_lshl_add_u32 v24, v1, 2, 16
	buffer_gl0_inv
	; wave barrier
	s_and_b32 s12, s12, s11
	s_delay_alu instid0(SALU_CYCLE_1)
	s_and_saveexec_b32 s11, s12
	s_cbranch_execz .LBB9_28
; %bb.27:                               ;   in Loop: Header=BB9_2 Depth=1
	v_bcnt_u32_b32 v0, v0, 0
	ds_store_b32 v24, v0
.LBB9_28:                               ;   in Loop: Header=BB9_2 Depth=1
	s_or_b32 exec_lo, exec_lo, s11
	; wave barrier
	s_waitcnt lgkmcnt(0)
	s_barrier
	buffer_gl0_inv
	ds_load_2addr_b64 v[4:7], v13 offset0:2 offset1:3
	ds_load_2addr_b64 v[0:3], v15 offset0:2 offset1:3
	s_waitcnt lgkmcnt(1)
	v_add_nc_u32_e32 v25, v5, v4
	s_delay_alu instid0(VALU_DEP_1) | instskip(SKIP_1) | instid1(VALU_DEP_1)
	v_add3_u32 v25, v25, v6, v7
	s_waitcnt lgkmcnt(0)
	v_add3_u32 v25, v25, v0, v1
	s_delay_alu instid0(VALU_DEP_1) | instskip(NEXT) | instid1(VALU_DEP_1)
	v_add3_u32 v3, v25, v2, v3
	v_mov_b32_dpp v25, v3 row_shr:1 row_mask:0xf bank_mask:0xf
	s_delay_alu instid0(VALU_DEP_1) | instskip(NEXT) | instid1(VALU_DEP_1)
	v_cndmask_b32_e64 v25, v25, 0, s0
	v_add_nc_u32_e32 v3, v25, v3
	s_delay_alu instid0(VALU_DEP_1) | instskip(NEXT) | instid1(VALU_DEP_1)
	v_mov_b32_dpp v25, v3 row_shr:2 row_mask:0xf bank_mask:0xf
	v_cndmask_b32_e64 v25, 0, v25, s1
	s_delay_alu instid0(VALU_DEP_1) | instskip(NEXT) | instid1(VALU_DEP_1)
	v_add_nc_u32_e32 v3, v3, v25
	v_mov_b32_dpp v25, v3 row_shr:4 row_mask:0xf bank_mask:0xf
	s_delay_alu instid0(VALU_DEP_1) | instskip(NEXT) | instid1(VALU_DEP_1)
	v_cndmask_b32_e64 v25, 0, v25, s2
	v_add_nc_u32_e32 v3, v3, v25
	s_delay_alu instid0(VALU_DEP_1) | instskip(NEXT) | instid1(VALU_DEP_1)
	v_mov_b32_dpp v25, v3 row_shr:8 row_mask:0xf bank_mask:0xf
	v_cndmask_b32_e64 v25, 0, v25, s3
	s_delay_alu instid0(VALU_DEP_1) | instskip(SKIP_3) | instid1(VALU_DEP_1)
	v_add_nc_u32_e32 v3, v3, v25
	ds_swizzle_b32 v25, v3 offset:swizzle(BROADCAST,32,15)
	s_waitcnt lgkmcnt(0)
	v_cndmask_b32_e64 v25, v25, 0, s4
	v_add_nc_u32_e32 v3, v3, v25
	s_and_saveexec_b32 s11, s10
	s_cbranch_execz .LBB9_30
; %bb.29:                               ;   in Loop: Header=BB9_2 Depth=1
	ds_store_b32 v14, v3
.LBB9_30:                               ;   in Loop: Header=BB9_2 Depth=1
	s_or_b32 exec_lo, exec_lo, s11
	s_waitcnt lgkmcnt(0)
	s_barrier
	buffer_gl0_inv
	s_and_saveexec_b32 s11, s5
	s_cbranch_execz .LBB9_32
; %bb.31:                               ;   in Loop: Header=BB9_2 Depth=1
	ds_load_b32 v25, v20
	s_waitcnt lgkmcnt(0)
	v_mov_b32_dpp v26, v25 row_shr:1 row_mask:0xf bank_mask:0xf
	s_delay_alu instid0(VALU_DEP_1) | instskip(NEXT) | instid1(VALU_DEP_1)
	v_cndmask_b32_e64 v26, v26, 0, s8
	v_add_nc_u32_e32 v25, v26, v25
	s_delay_alu instid0(VALU_DEP_1) | instskip(NEXT) | instid1(VALU_DEP_1)
	v_mov_b32_dpp v26, v25 row_shr:2 row_mask:0xf bank_mask:0xf
	v_cndmask_b32_e64 v26, 0, v26, s9
	s_delay_alu instid0(VALU_DEP_1)
	v_add_nc_u32_e32 v25, v25, v26
	ds_store_b32 v20, v25
.LBB9_32:                               ;   in Loop: Header=BB9_2 Depth=1
	s_or_b32 exec_lo, exec_lo, s11
	v_mov_b32_e32 v25, 0
	s_waitcnt lgkmcnt(0)
	s_barrier
	buffer_gl0_inv
	s_and_saveexec_b32 s11, s6
	s_cbranch_execz .LBB9_1
; %bb.33:                               ;   in Loop: Header=BB9_2 Depth=1
	ds_load_b32 v25, v17
	s_branch .LBB9_1
.LBB9_34:
	s_waitcnt lgkmcnt(0)
	v_add3_u32 v0, v21, v22, 0x80000000
	v_lshlrev_b32_e32 v1, 2, v8
	s_add_u32 s0, s18, s14
	s_addc_u32 s1, s19, s15
	global_store_b32 v1, v0, s[0:1]
	s_nop 0
	s_sendmsg sendmsg(MSG_DEALLOC_VGPRS)
	s_endpgm
	.section	.rodata,"a",@progbits
	.p2align	6, 0x0
	.amdhsa_kernel _Z17sort_pairs_kernelI22helper_blocked_blockediLj128ELj1ELj10EEvPKT0_PS1_
		.amdhsa_group_segment_fixed_size 4112
		.amdhsa_private_segment_fixed_size 0
		.amdhsa_kernarg_size 272
		.amdhsa_user_sgpr_count 15
		.amdhsa_user_sgpr_dispatch_ptr 0
		.amdhsa_user_sgpr_queue_ptr 0
		.amdhsa_user_sgpr_kernarg_segment_ptr 1
		.amdhsa_user_sgpr_dispatch_id 0
		.amdhsa_user_sgpr_private_segment_size 0
		.amdhsa_wavefront_size32 1
		.amdhsa_uses_dynamic_stack 0
		.amdhsa_enable_private_segment 0
		.amdhsa_system_sgpr_workgroup_id_x 1
		.amdhsa_system_sgpr_workgroup_id_y 0
		.amdhsa_system_sgpr_workgroup_id_z 0
		.amdhsa_system_sgpr_workgroup_info 0
		.amdhsa_system_vgpr_workitem_id 2
		.amdhsa_next_free_vgpr 27
		.amdhsa_next_free_sgpr 23
		.amdhsa_reserve_vcc 1
		.amdhsa_float_round_mode_32 0
		.amdhsa_float_round_mode_16_64 0
		.amdhsa_float_denorm_mode_32 3
		.amdhsa_float_denorm_mode_16_64 3
		.amdhsa_dx10_clamp 1
		.amdhsa_ieee_mode 1
		.amdhsa_fp16_overflow 0
		.amdhsa_workgroup_processor_mode 1
		.amdhsa_memory_ordered 1
		.amdhsa_forward_progress 0
		.amdhsa_shared_vgpr_count 0
		.amdhsa_exception_fp_ieee_invalid_op 0
		.amdhsa_exception_fp_denorm_src 0
		.amdhsa_exception_fp_ieee_div_zero 0
		.amdhsa_exception_fp_ieee_overflow 0
		.amdhsa_exception_fp_ieee_underflow 0
		.amdhsa_exception_fp_ieee_inexact 0
		.amdhsa_exception_int_div_zero 0
	.end_amdhsa_kernel
	.section	.text._Z17sort_pairs_kernelI22helper_blocked_blockediLj128ELj1ELj10EEvPKT0_PS1_,"axG",@progbits,_Z17sort_pairs_kernelI22helper_blocked_blockediLj128ELj1ELj10EEvPKT0_PS1_,comdat
.Lfunc_end9:
	.size	_Z17sort_pairs_kernelI22helper_blocked_blockediLj128ELj1ELj10EEvPKT0_PS1_, .Lfunc_end9-_Z17sort_pairs_kernelI22helper_blocked_blockediLj128ELj1ELj10EEvPKT0_PS1_
                                        ; -- End function
	.section	.AMDGPU.csdata,"",@progbits
; Kernel info:
; codeLenInByte = 4324
; NumSgprs: 25
; NumVgprs: 27
; ScratchSize: 0
; MemoryBound: 0
; FloatMode: 240
; IeeeMode: 1
; LDSByteSize: 4112 bytes/workgroup (compile time only)
; SGPRBlocks: 3
; VGPRBlocks: 3
; NumSGPRsForWavesPerEU: 25
; NumVGPRsForWavesPerEU: 27
; Occupancy: 16
; WaveLimiterHint : 0
; COMPUTE_PGM_RSRC2:SCRATCH_EN: 0
; COMPUTE_PGM_RSRC2:USER_SGPR: 15
; COMPUTE_PGM_RSRC2:TRAP_HANDLER: 0
; COMPUTE_PGM_RSRC2:TGID_X_EN: 1
; COMPUTE_PGM_RSRC2:TGID_Y_EN: 0
; COMPUTE_PGM_RSRC2:TGID_Z_EN: 0
; COMPUTE_PGM_RSRC2:TIDIG_COMP_CNT: 2
	.section	.text._Z16sort_keys_kernelI22helper_blocked_blockediLj128ELj3ELj10EEvPKT0_PS1_,"axG",@progbits,_Z16sort_keys_kernelI22helper_blocked_blockediLj128ELj3ELj10EEvPKT0_PS1_,comdat
	.protected	_Z16sort_keys_kernelI22helper_blocked_blockediLj128ELj3ELj10EEvPKT0_PS1_ ; -- Begin function _Z16sort_keys_kernelI22helper_blocked_blockediLj128ELj3ELj10EEvPKT0_PS1_
	.globl	_Z16sort_keys_kernelI22helper_blocked_blockediLj128ELj3ELj10EEvPKT0_PS1_
	.p2align	8
	.type	_Z16sort_keys_kernelI22helper_blocked_blockediLj128ELj3ELj10EEvPKT0_PS1_,@function
_Z16sort_keys_kernelI22helper_blocked_blockediLj128ELj3ELj10EEvPKT0_PS1_: ; @_Z16sort_keys_kernelI22helper_blocked_blockediLj128ELj3ELj10EEvPKT0_PS1_
; %bb.0:
	s_clause 0x1
	s_load_b128 s[16:19], s[0:1], 0x0
	s_load_b32 s2, s[0:1], 0x1c
	s_mov_b32 s13, 0
	s_mul_i32 s12, s15, 0x180
	v_mbcnt_lo_u32_b32 v7, -1, 0
	s_lshl_b64 s[14:15], s[12:13], 2
	s_mov_b32 s12, s13
	v_and_b32_e32 v8, 0x3ff, v0
	v_bfe_u32 v4, v0, 10, 10
	v_bfe_u32 v0, v0, 20, 10
	v_cmp_eq_u32_e64 s8, 0, v7
	s_delay_alu instid0(VALU_DEP_4) | instskip(SKIP_1) | instid1(VALU_DEP_1)
	v_lshlrev_b32_e32 v1, 2, v8
	v_lshrrev_b32_e32 v6, 5, v8
	v_mul_u32_u24_e32 v5, 0x60, v6
	v_lshlrev_b32_e32 v19, 2, v6
	s_waitcnt lgkmcnt(0)
	s_add_u32 s0, s16, s14
	s_addc_u32 s1, s17, s15
	s_mov_b32 s16, s13
	s_clause 0x2
	global_load_b32 v2, v1, s[0:1]
	global_load_b32 v3, v1, s[0:1] offset:512
	global_load_b32 v1, v1, s[0:1] offset:1024
	s_lshr_b32 s0, s2, 16
	v_lshlrev_b32_e32 v9, 2, v5
	v_mad_u32_u24 v0, v0, s0, v4
	s_and_b32 s0, s2, 0xffff
	v_or_b32_e32 v10, v7, v5
	s_mov_b32 s17, s13
	v_mad_u32_u24 v14, v7, 12, v9
	v_mad_u64_u32 v[4:5], null, v0, s0, v[8:9]
	v_add_nc_u32_e32 v9, -1, v7
	v_and_b32_e32 v0, 15, v7
	v_lshlrev_b32_e32 v15, 2, v10
	v_and_b32_e32 v10, 16, v7
	v_add_nc_u32_e32 v21, -4, v19
	v_cmp_gt_i32_e32 vcc_lo, 0, v9
	v_lshrrev_b32_e32 v17, 5, v4
	v_cmp_eq_u32_e64 s0, 0, v0
	v_cmp_lt_u32_e64 s1, 1, v0
	v_cmp_lt_u32_e64 s2, 3, v0
	;; [unrolled: 1-line block ×3, first 2 shown]
	v_cndmask_b32_e32 v0, v9, v7, vcc_lo
	v_cmp_eq_u32_e64 s4, 0, v10
	v_dual_mov_b32 v9, s12 :: v_dual_and_b32 v4, 0x60, v8
	v_lshlrev_b32_e32 v13, 5, v8
	s_delay_alu instid0(VALU_DEP_4)
	v_lshlrev_b32_e32 v18, 2, v0
	v_lshlrev_b32_e32 v5, 3, v8
	v_cmp_gt_u32_e64 s6, 4, v8
	v_or_b32_e32 v11, 31, v4
	v_mul_u32_u24_e32 v0, 3, v4
	v_and_b32_e32 v4, 3, v7
	v_cmp_lt_u32_e64 s7, 31, v8
	v_cmp_eq_u32_e64 s9, 0, v8
	v_cmp_eq_u32_e64 s5, v11, v8
	v_dual_mov_b32 v11, s16 :: v_dual_mov_b32 v12, s17
	v_or_b32_e32 v0, v7, v0
	v_mad_i32_i24 v20, 0xffffffe4, v8, v13
	v_or_b32_e32 v16, 16, v13
	v_cmp_eq_u32_e64 s10, 0, v4
	v_cmp_lt_u32_e64 s11, 1, v4
	v_lshlrev_b32_e32 v22, 2, v0
	v_dual_mov_b32 v10, s13 :: v_dual_add_nc_u32 v23, v20, v5
	s_branch .LBB10_2
.LBB10_1:                               ;   in Loop: Header=BB10_2 Depth=1
	v_lshlrev_b32_e32 v0, 2, v5
	v_lshlrev_b32_e32 v1, 2, v4
	;; [unrolled: 1-line block ×3, first 2 shown]
	s_barrier
	buffer_gl0_inv
	ds_store_b32 v0, v24
	ds_store_b32 v1, v26
	;; [unrolled: 1-line block ×3, first 2 shown]
	s_waitcnt lgkmcnt(0)
	s_barrier
	buffer_gl0_inv
	ds_load_2addr_b32 v[0:1], v23 offset1:1
	ds_load_b32 v4, v23 offset:8
	s_add_i32 s13, s13, 1
	s_delay_alu instid0(SALU_CYCLE_1)
	s_cmp_eq_u32 s13, 10
	s_waitcnt lgkmcnt(1)
	v_xor_b32_e32 v2, 0x80000000, v0
	v_xor_b32_e32 v3, 0x80000000, v1
	s_waitcnt lgkmcnt(0)
	v_xor_b32_e32 v1, 0x80000000, v4
	s_cbranch_scc1 .LBB10_18
.LBB10_2:                               ; =>This Loop Header: Depth=1
                                        ;     Child Loop BB10_4 Depth 2
	s_waitcnt vmcnt(2)
	v_xor_b32_e32 v0, 0x80000000, v2
	s_waitcnt vmcnt(1)
	v_xor_b32_e32 v2, 0x80000000, v3
	;; [unrolled: 2-line block ×3, first 2 shown]
	s_mov_b32 s16, 0
	ds_store_2addr_b32 v14, v0, v2 offset1:1
	ds_store_b32 v14, v1 offset:8
	; wave barrier
	ds_load_2addr_b32 v[0:1], v15 offset1:32
	ds_load_b32 v2, v15 offset:256
	s_waitcnt lgkmcnt(0)
	s_barrier
	buffer_gl0_inv
	; wave barrier
	s_barrier
	s_branch .LBB10_4
.LBB10_3:                               ;   in Loop: Header=BB10_4 Depth=2
	v_lshlrev_b32_e32 v0, 2, v5
	v_lshlrev_b32_e32 v1, 2, v4
	s_delay_alu instid0(VALU_DEP_3)
	v_lshlrev_b32_e32 v2, 2, v3
	s_barrier
	buffer_gl0_inv
	ds_store_b32 v0, v24
	ds_store_b32 v1, v26
	;; [unrolled: 1-line block ×3, first 2 shown]
	s_waitcnt lgkmcnt(0)
	s_barrier
	buffer_gl0_inv
	ds_load_2addr_b32 v[0:1], v22 offset1:32
	ds_load_b32 v2, v22 offset:256
	s_add_i32 s16, s16, 8
	s_waitcnt lgkmcnt(0)
	s_barrier
	s_cbranch_execz .LBB10_1
.LBB10_4:                               ;   Parent Loop BB10_2 Depth=1
                                        ; =>  This Inner Loop Header: Depth=2
	v_mov_b32_e32 v24, v0
	buffer_gl0_inv
	ds_store_2addr_b64 v13, v[9:10], v[11:12] offset0:2 offset1:3
	ds_store_2addr_b64 v16, v[9:10], v[11:12] offset0:2 offset1:3
	s_waitcnt lgkmcnt(0)
	s_barrier
	v_lshrrev_b32_e32 v3, s16, v24
	buffer_gl0_inv
	; wave barrier
	v_lshlrev_b32_e32 v5, 30, v3
	v_bfe_u32 v0, v24, s16, 1
	v_lshlrev_b32_e32 v6, 29, v3
	v_lshlrev_b32_e32 v7, 28, v3
	;; [unrolled: 1-line block ×4, first 2 shown]
	v_add_co_u32 v0, s12, v0, -1
	s_delay_alu instid0(VALU_DEP_1) | instskip(SKIP_3) | instid1(VALU_DEP_4)
	v_cndmask_b32_e64 v4, 0, 1, s12
	v_cmp_gt_i32_e64 s12, 0, v5
	v_lshlrev_b32_e32 v27, 25, v3
	v_lshlrev_b32_e32 v3, 24, v3
	v_cmp_ne_u32_e32 vcc_lo, 0, v4
	v_not_b32_e32 v4, v5
	v_not_b32_e32 v5, v6
	v_xor_b32_e32 v0, vcc_lo, v0
	s_delay_alu instid0(VALU_DEP_3)
	v_ashrrev_i32_e32 v4, 31, v4
	v_cmp_gt_i32_e32 vcc_lo, 0, v6
	v_not_b32_e32 v6, v7
	v_ashrrev_i32_e32 v5, 31, v5
	v_and_b32_e32 v0, exec_lo, v0
	v_xor_b32_e32 v4, s12, v4
	v_cmp_gt_i32_e64 s12, 0, v7
	v_not_b32_e32 v7, v25
	v_ashrrev_i32_e32 v6, 31, v6
	v_xor_b32_e32 v5, vcc_lo, v5
	v_and_b32_e32 v0, v0, v4
	v_cmp_gt_i32_e32 vcc_lo, 0, v25
	v_not_b32_e32 v4, v26
	v_ashrrev_i32_e32 v7, 31, v7
	v_xor_b32_e32 v6, s12, v6
	v_and_b32_e32 v0, v0, v5
	v_cmp_gt_i32_e64 s12, 0, v26
	v_mov_b32_e32 v26, v1
	v_not_b32_e32 v5, v27
	v_ashrrev_i32_e32 v4, 31, v4
	v_xor_b32_e32 v7, vcc_lo, v7
	v_and_b32_e32 v0, v0, v6
	v_cmp_gt_i32_e32 vcc_lo, 0, v27
	v_not_b32_e32 v6, v3
	v_ashrrev_i32_e32 v5, 31, v5
	v_xor_b32_e32 v4, s12, v4
	v_and_b32_e32 v0, v0, v7
	v_cmp_gt_i32_e64 s12, 0, v3
	v_ashrrev_i32_e32 v3, 31, v6
	v_xor_b32_e32 v5, vcc_lo, v5
	v_bfe_u32 v1, v24, s16, 8
	v_dual_mov_b32 v25, v2 :: v_dual_and_b32 v0, v0, v4
	s_delay_alu instid0(VALU_DEP_4) | instskip(NEXT) | instid1(VALU_DEP_3)
	v_xor_b32_e32 v3, s12, v3
	v_lshl_add_u32 v1, v1, 2, v17
	s_delay_alu instid0(VALU_DEP_3) | instskip(NEXT) | instid1(VALU_DEP_2)
	v_and_b32_e32 v0, v0, v5
	v_lshl_add_u32 v28, v1, 2, 16
	s_delay_alu instid0(VALU_DEP_2) | instskip(NEXT) | instid1(VALU_DEP_1)
	v_and_b32_e32 v0, v0, v3
	v_mbcnt_lo_u32_b32 v27, v0, 0
	v_cmp_ne_u32_e64 s12, 0, v0
	s_delay_alu instid0(VALU_DEP_2) | instskip(NEXT) | instid1(VALU_DEP_2)
	v_cmp_eq_u32_e32 vcc_lo, 0, v27
	s_and_b32 s17, s12, vcc_lo
	s_delay_alu instid0(SALU_CYCLE_1)
	s_and_saveexec_b32 s12, s17
	s_cbranch_execz .LBB10_6
; %bb.5:                                ;   in Loop: Header=BB10_4 Depth=2
	v_bcnt_u32_b32 v0, v0, 0
	ds_store_b32 v28, v0
.LBB10_6:                               ;   in Loop: Header=BB10_4 Depth=2
	s_or_b32 exec_lo, exec_lo, s12
	v_bfe_u32 v0, v26, s16, 1
	v_lshrrev_b32_e32 v1, s16, v26
	; wave barrier
	s_delay_alu instid0(VALU_DEP_2) | instskip(NEXT) | instid1(VALU_DEP_1)
	v_add_co_u32 v0, s12, v0, -1
	v_cndmask_b32_e64 v2, 0, 1, s12
	s_delay_alu instid0(VALU_DEP_3)
	v_lshlrev_b32_e32 v3, 30, v1
	v_lshlrev_b32_e32 v4, 29, v1
	;; [unrolled: 1-line block ×4, first 2 shown]
	v_cmp_ne_u32_e32 vcc_lo, 0, v2
	v_not_b32_e32 v2, v3
	v_cmp_gt_i32_e64 s12, 0, v3
	v_not_b32_e32 v3, v4
	v_lshlrev_b32_e32 v7, 26, v1
	v_xor_b32_e32 v0, vcc_lo, v0
	v_ashrrev_i32_e32 v2, 31, v2
	v_cmp_gt_i32_e32 vcc_lo, 0, v4
	v_not_b32_e32 v4, v5
	v_ashrrev_i32_e32 v3, 31, v3
	v_and_b32_e32 v0, exec_lo, v0
	v_xor_b32_e32 v2, s12, v2
	v_cmp_gt_i32_e64 s12, 0, v5
	v_not_b32_e32 v5, v6
	v_ashrrev_i32_e32 v4, 31, v4
	v_xor_b32_e32 v3, vcc_lo, v3
	v_and_b32_e32 v0, v0, v2
	v_cmp_gt_i32_e32 vcc_lo, 0, v6
	v_not_b32_e32 v2, v7
	v_ashrrev_i32_e32 v5, 31, v5
	v_xor_b32_e32 v4, s12, v4
	v_and_b32_e32 v0, v0, v3
	v_lshlrev_b32_e32 v3, 25, v1
	v_cmp_gt_i32_e64 s12, 0, v7
	v_ashrrev_i32_e32 v2, 31, v2
	v_xor_b32_e32 v5, vcc_lo, v5
	v_and_b32_e32 v0, v0, v4
	v_not_b32_e32 v6, v3
	v_lshlrev_b32_e32 v1, 24, v1
	v_bfe_u32 v4, v26, s16, 8
	v_xor_b32_e32 v2, s12, v2
	v_and_b32_e32 v0, v0, v5
	v_cmp_gt_i32_e32 vcc_lo, 0, v3
	v_ashrrev_i32_e32 v3, 31, v6
	v_not_b32_e32 v5, v1
	v_lshlrev_b32_e32 v4, 2, v4
	v_and_b32_e32 v0, v0, v2
	s_delay_alu instid0(VALU_DEP_4) | instskip(SKIP_3) | instid1(VALU_DEP_4)
	v_xor_b32_e32 v2, vcc_lo, v3
	v_cmp_gt_i32_e32 vcc_lo, 0, v1
	v_ashrrev_i32_e32 v1, 31, v5
	v_add_lshl_u32 v3, v4, v17, 2
	v_and_b32_e32 v0, v0, v2
	s_delay_alu instid0(VALU_DEP_3) | instskip(SKIP_3) | instid1(VALU_DEP_1)
	v_xor_b32_e32 v1, vcc_lo, v1
	ds_load_b32 v29, v3 offset:16
	v_add_nc_u32_e32 v31, 16, v3
	; wave barrier
	v_and_b32_e32 v0, v0, v1
	v_mbcnt_lo_u32_b32 v30, v0, 0
	v_cmp_ne_u32_e64 s12, 0, v0
	s_delay_alu instid0(VALU_DEP_2) | instskip(NEXT) | instid1(VALU_DEP_2)
	v_cmp_eq_u32_e32 vcc_lo, 0, v30
	s_and_b32 s17, s12, vcc_lo
	s_delay_alu instid0(SALU_CYCLE_1)
	s_and_saveexec_b32 s12, s17
	s_cbranch_execz .LBB10_8
; %bb.7:                                ;   in Loop: Header=BB10_4 Depth=2
	s_waitcnt lgkmcnt(0)
	v_bcnt_u32_b32 v0, v0, v29
	ds_store_b32 v31, v0
.LBB10_8:                               ;   in Loop: Header=BB10_4 Depth=2
	s_or_b32 exec_lo, exec_lo, s12
	v_bfe_u32 v0, v25, s16, 1
	v_lshrrev_b32_e32 v1, s16, v25
	; wave barrier
	s_delay_alu instid0(VALU_DEP_2) | instskip(NEXT) | instid1(VALU_DEP_1)
	v_add_co_u32 v0, s12, v0, -1
	v_cndmask_b32_e64 v2, 0, 1, s12
	s_delay_alu instid0(VALU_DEP_3)
	v_lshlrev_b32_e32 v3, 30, v1
	v_lshlrev_b32_e32 v4, 29, v1
	;; [unrolled: 1-line block ×4, first 2 shown]
	v_cmp_ne_u32_e32 vcc_lo, 0, v2
	v_not_b32_e32 v2, v3
	v_cmp_gt_i32_e64 s12, 0, v3
	v_not_b32_e32 v3, v4
	v_lshlrev_b32_e32 v7, 26, v1
	v_xor_b32_e32 v0, vcc_lo, v0
	v_ashrrev_i32_e32 v2, 31, v2
	v_cmp_gt_i32_e32 vcc_lo, 0, v4
	v_not_b32_e32 v4, v5
	v_ashrrev_i32_e32 v3, 31, v3
	v_and_b32_e32 v0, exec_lo, v0
	v_xor_b32_e32 v2, s12, v2
	v_cmp_gt_i32_e64 s12, 0, v5
	v_not_b32_e32 v5, v6
	v_ashrrev_i32_e32 v4, 31, v4
	v_xor_b32_e32 v3, vcc_lo, v3
	v_and_b32_e32 v0, v0, v2
	v_cmp_gt_i32_e32 vcc_lo, 0, v6
	v_not_b32_e32 v2, v7
	v_ashrrev_i32_e32 v5, 31, v5
	v_xor_b32_e32 v4, s12, v4
	v_and_b32_e32 v0, v0, v3
	v_lshlrev_b32_e32 v3, 25, v1
	v_cmp_gt_i32_e64 s12, 0, v7
	v_ashrrev_i32_e32 v2, 31, v2
	v_xor_b32_e32 v5, vcc_lo, v5
	v_and_b32_e32 v0, v0, v4
	v_not_b32_e32 v6, v3
	v_lshlrev_b32_e32 v1, 24, v1
	v_bfe_u32 v4, v25, s16, 8
	v_xor_b32_e32 v2, s12, v2
	v_and_b32_e32 v0, v0, v5
	v_cmp_gt_i32_e32 vcc_lo, 0, v3
	v_ashrrev_i32_e32 v3, 31, v6
	v_not_b32_e32 v5, v1
	v_lshlrev_b32_e32 v4, 2, v4
	v_and_b32_e32 v0, v0, v2
	s_delay_alu instid0(VALU_DEP_4) | instskip(SKIP_3) | instid1(VALU_DEP_4)
	v_xor_b32_e32 v2, vcc_lo, v3
	v_cmp_gt_i32_e32 vcc_lo, 0, v1
	v_ashrrev_i32_e32 v1, 31, v5
	v_add_lshl_u32 v3, v4, v17, 2
	v_and_b32_e32 v0, v0, v2
	s_delay_alu instid0(VALU_DEP_3) | instskip(SKIP_3) | instid1(VALU_DEP_1)
	v_xor_b32_e32 v1, vcc_lo, v1
	ds_load_b32 v32, v3 offset:16
	v_add_nc_u32_e32 v34, 16, v3
	; wave barrier
	v_and_b32_e32 v0, v0, v1
	v_mbcnt_lo_u32_b32 v33, v0, 0
	v_cmp_ne_u32_e64 s12, 0, v0
	s_delay_alu instid0(VALU_DEP_2) | instskip(NEXT) | instid1(VALU_DEP_2)
	v_cmp_eq_u32_e32 vcc_lo, 0, v33
	s_and_b32 s17, s12, vcc_lo
	s_delay_alu instid0(SALU_CYCLE_1)
	s_and_saveexec_b32 s12, s17
	s_cbranch_execz .LBB10_10
; %bb.9:                                ;   in Loop: Header=BB10_4 Depth=2
	s_waitcnt lgkmcnt(0)
	v_bcnt_u32_b32 v0, v0, v32
	ds_store_b32 v34, v0
.LBB10_10:                              ;   in Loop: Header=BB10_4 Depth=2
	s_or_b32 exec_lo, exec_lo, s12
	; wave barrier
	s_waitcnt lgkmcnt(0)
	s_barrier
	buffer_gl0_inv
	ds_load_2addr_b64 v[4:7], v13 offset0:2 offset1:3
	ds_load_2addr_b64 v[0:3], v16 offset0:2 offset1:3
	s_waitcnt lgkmcnt(1)
	v_add_nc_u32_e32 v35, v5, v4
	s_delay_alu instid0(VALU_DEP_1) | instskip(SKIP_1) | instid1(VALU_DEP_1)
	v_add3_u32 v35, v35, v6, v7
	s_waitcnt lgkmcnt(0)
	v_add3_u32 v35, v35, v0, v1
	s_delay_alu instid0(VALU_DEP_1) | instskip(NEXT) | instid1(VALU_DEP_1)
	v_add3_u32 v3, v35, v2, v3
	v_mov_b32_dpp v35, v3 row_shr:1 row_mask:0xf bank_mask:0xf
	s_delay_alu instid0(VALU_DEP_1) | instskip(NEXT) | instid1(VALU_DEP_1)
	v_cndmask_b32_e64 v35, v35, 0, s0
	v_add_nc_u32_e32 v3, v35, v3
	s_delay_alu instid0(VALU_DEP_1) | instskip(NEXT) | instid1(VALU_DEP_1)
	v_mov_b32_dpp v35, v3 row_shr:2 row_mask:0xf bank_mask:0xf
	v_cndmask_b32_e64 v35, 0, v35, s1
	s_delay_alu instid0(VALU_DEP_1) | instskip(NEXT) | instid1(VALU_DEP_1)
	v_add_nc_u32_e32 v3, v3, v35
	v_mov_b32_dpp v35, v3 row_shr:4 row_mask:0xf bank_mask:0xf
	s_delay_alu instid0(VALU_DEP_1) | instskip(NEXT) | instid1(VALU_DEP_1)
	v_cndmask_b32_e64 v35, 0, v35, s2
	v_add_nc_u32_e32 v3, v3, v35
	s_delay_alu instid0(VALU_DEP_1) | instskip(NEXT) | instid1(VALU_DEP_1)
	v_mov_b32_dpp v35, v3 row_shr:8 row_mask:0xf bank_mask:0xf
	v_cndmask_b32_e64 v35, 0, v35, s3
	s_delay_alu instid0(VALU_DEP_1) | instskip(SKIP_3) | instid1(VALU_DEP_1)
	v_add_nc_u32_e32 v3, v3, v35
	ds_swizzle_b32 v35, v3 offset:swizzle(BROADCAST,32,15)
	s_waitcnt lgkmcnt(0)
	v_cndmask_b32_e64 v35, v35, 0, s4
	v_add_nc_u32_e32 v3, v3, v35
	s_and_saveexec_b32 s12, s5
	s_cbranch_execz .LBB10_12
; %bb.11:                               ;   in Loop: Header=BB10_4 Depth=2
	ds_store_b32 v19, v3
.LBB10_12:                              ;   in Loop: Header=BB10_4 Depth=2
	s_or_b32 exec_lo, exec_lo, s12
	s_waitcnt lgkmcnt(0)
	s_barrier
	buffer_gl0_inv
	s_and_saveexec_b32 s12, s6
	s_cbranch_execz .LBB10_14
; %bb.13:                               ;   in Loop: Header=BB10_4 Depth=2
	ds_load_b32 v35, v20
	s_waitcnt lgkmcnt(0)
	v_mov_b32_dpp v36, v35 row_shr:1 row_mask:0xf bank_mask:0xf
	s_delay_alu instid0(VALU_DEP_1) | instskip(NEXT) | instid1(VALU_DEP_1)
	v_cndmask_b32_e64 v36, v36, 0, s10
	v_add_nc_u32_e32 v35, v36, v35
	s_delay_alu instid0(VALU_DEP_1) | instskip(NEXT) | instid1(VALU_DEP_1)
	v_mov_b32_dpp v36, v35 row_shr:2 row_mask:0xf bank_mask:0xf
	v_cndmask_b32_e64 v36, 0, v36, s11
	s_delay_alu instid0(VALU_DEP_1)
	v_add_nc_u32_e32 v35, v35, v36
	ds_store_b32 v20, v35
.LBB10_14:                              ;   in Loop: Header=BB10_4 Depth=2
	s_or_b32 exec_lo, exec_lo, s12
	v_mov_b32_e32 v35, 0
	s_waitcnt lgkmcnt(0)
	s_barrier
	buffer_gl0_inv
	s_and_saveexec_b32 s12, s7
	s_cbranch_execz .LBB10_16
; %bb.15:                               ;   in Loop: Header=BB10_4 Depth=2
	ds_load_b32 v35, v21
.LBB10_16:                              ;   in Loop: Header=BB10_4 Depth=2
	s_or_b32 exec_lo, exec_lo, s12
	s_waitcnt lgkmcnt(0)
	v_add_nc_u32_e32 v3, v35, v3
	s_cmp_gt_u32 s16, 23
	ds_bpermute_b32 v3, v18, v3
	s_waitcnt lgkmcnt(0)
	v_cndmask_b32_e64 v3, v3, v35, s8
	s_delay_alu instid0(VALU_DEP_1) | instskip(NEXT) | instid1(VALU_DEP_1)
	v_cndmask_b32_e64 v3, v3, 0, s9
	v_add_nc_u32_e32 v4, v3, v4
	s_delay_alu instid0(VALU_DEP_1) | instskip(NEXT) | instid1(VALU_DEP_1)
	v_add_nc_u32_e32 v5, v4, v5
	v_add_nc_u32_e32 v6, v5, v6
	s_delay_alu instid0(VALU_DEP_1) | instskip(NEXT) | instid1(VALU_DEP_1)
	v_add_nc_u32_e32 v35, v6, v7
	;; [unrolled: 3-line block ×3, first 2 shown]
	v_add_nc_u32_e32 v1, v0, v2
	ds_store_2addr_b64 v13, v[3:4], v[5:6] offset0:2 offset1:3
	ds_store_2addr_b64 v16, v[35:36], v[0:1] offset0:2 offset1:3
	s_waitcnt lgkmcnt(0)
	s_barrier
	buffer_gl0_inv
	ds_load_b32 v0, v28
	ds_load_b32 v1, v31
	;; [unrolled: 1-line block ×3, first 2 shown]
	s_waitcnt lgkmcnt(2)
	v_add_nc_u32_e32 v5, v0, v27
	s_waitcnt lgkmcnt(1)
	v_add3_u32 v4, v30, v29, v1
	s_waitcnt lgkmcnt(0)
	v_add3_u32 v3, v33, v32, v2
	s_cbranch_scc0 .LBB10_3
; %bb.17:                               ;   in Loop: Header=BB10_2 Depth=1
                                        ; implicit-def: $vgpr2
                                        ; implicit-def: $vgpr1
                                        ; implicit-def: $sgpr16
	s_branch .LBB10_1
.LBB10_18:
	v_lshlrev_b32_e32 v0, 2, v8
	s_add_u32 s0, s18, s14
	s_addc_u32 s1, s19, s15
	s_clause 0x2
	global_store_b32 v0, v2, s[0:1]
	global_store_b32 v0, v3, s[0:1] offset:512
	global_store_b32 v0, v1, s[0:1] offset:1024
	s_nop 0
	s_sendmsg sendmsg(MSG_DEALLOC_VGPRS)
	s_endpgm
	.section	.rodata,"a",@progbits
	.p2align	6, 0x0
	.amdhsa_kernel _Z16sort_keys_kernelI22helper_blocked_blockediLj128ELj3ELj10EEvPKT0_PS1_
		.amdhsa_group_segment_fixed_size 4112
		.amdhsa_private_segment_fixed_size 0
		.amdhsa_kernarg_size 272
		.amdhsa_user_sgpr_count 15
		.amdhsa_user_sgpr_dispatch_ptr 0
		.amdhsa_user_sgpr_queue_ptr 0
		.amdhsa_user_sgpr_kernarg_segment_ptr 1
		.amdhsa_user_sgpr_dispatch_id 0
		.amdhsa_user_sgpr_private_segment_size 0
		.amdhsa_wavefront_size32 1
		.amdhsa_uses_dynamic_stack 0
		.amdhsa_enable_private_segment 0
		.amdhsa_system_sgpr_workgroup_id_x 1
		.amdhsa_system_sgpr_workgroup_id_y 0
		.amdhsa_system_sgpr_workgroup_id_z 0
		.amdhsa_system_sgpr_workgroup_info 0
		.amdhsa_system_vgpr_workitem_id 2
		.amdhsa_next_free_vgpr 37
		.amdhsa_next_free_sgpr 20
		.amdhsa_reserve_vcc 1
		.amdhsa_float_round_mode_32 0
		.amdhsa_float_round_mode_16_64 0
		.amdhsa_float_denorm_mode_32 3
		.amdhsa_float_denorm_mode_16_64 3
		.amdhsa_dx10_clamp 1
		.amdhsa_ieee_mode 1
		.amdhsa_fp16_overflow 0
		.amdhsa_workgroup_processor_mode 1
		.amdhsa_memory_ordered 1
		.amdhsa_forward_progress 0
		.amdhsa_shared_vgpr_count 0
		.amdhsa_exception_fp_ieee_invalid_op 0
		.amdhsa_exception_fp_denorm_src 0
		.amdhsa_exception_fp_ieee_div_zero 0
		.amdhsa_exception_fp_ieee_overflow 0
		.amdhsa_exception_fp_ieee_underflow 0
		.amdhsa_exception_fp_ieee_inexact 0
		.amdhsa_exception_int_div_zero 0
	.end_amdhsa_kernel
	.section	.text._Z16sort_keys_kernelI22helper_blocked_blockediLj128ELj3ELj10EEvPKT0_PS1_,"axG",@progbits,_Z16sort_keys_kernelI22helper_blocked_blockediLj128ELj3ELj10EEvPKT0_PS1_,comdat
.Lfunc_end10:
	.size	_Z16sort_keys_kernelI22helper_blocked_blockediLj128ELj3ELj10EEvPKT0_PS1_, .Lfunc_end10-_Z16sort_keys_kernelI22helper_blocked_blockediLj128ELj3ELj10EEvPKT0_PS1_
                                        ; -- End function
	.section	.AMDGPU.csdata,"",@progbits
; Kernel info:
; codeLenInByte = 2364
; NumSgprs: 22
; NumVgprs: 37
; ScratchSize: 0
; MemoryBound: 0
; FloatMode: 240
; IeeeMode: 1
; LDSByteSize: 4112 bytes/workgroup (compile time only)
; SGPRBlocks: 2
; VGPRBlocks: 4
; NumSGPRsForWavesPerEU: 22
; NumVGPRsForWavesPerEU: 37
; Occupancy: 16
; WaveLimiterHint : 1
; COMPUTE_PGM_RSRC2:SCRATCH_EN: 0
; COMPUTE_PGM_RSRC2:USER_SGPR: 15
; COMPUTE_PGM_RSRC2:TRAP_HANDLER: 0
; COMPUTE_PGM_RSRC2:TGID_X_EN: 1
; COMPUTE_PGM_RSRC2:TGID_Y_EN: 0
; COMPUTE_PGM_RSRC2:TGID_Z_EN: 0
; COMPUTE_PGM_RSRC2:TIDIG_COMP_CNT: 2
	.section	.text._Z17sort_pairs_kernelI22helper_blocked_blockediLj128ELj3ELj10EEvPKT0_PS1_,"axG",@progbits,_Z17sort_pairs_kernelI22helper_blocked_blockediLj128ELj3ELj10EEvPKT0_PS1_,comdat
	.protected	_Z17sort_pairs_kernelI22helper_blocked_blockediLj128ELj3ELj10EEvPKT0_PS1_ ; -- Begin function _Z17sort_pairs_kernelI22helper_blocked_blockediLj128ELj3ELj10EEvPKT0_PS1_
	.globl	_Z17sort_pairs_kernelI22helper_blocked_blockediLj128ELj3ELj10EEvPKT0_PS1_
	.p2align	8
	.type	_Z17sort_pairs_kernelI22helper_blocked_blockediLj128ELj3ELj10EEvPKT0_PS1_,@function
_Z17sort_pairs_kernelI22helper_blocked_blockediLj128ELj3ELj10EEvPKT0_PS1_: ; @_Z17sort_pairs_kernelI22helper_blocked_blockediLj128ELj3ELj10EEvPKT0_PS1_
; %bb.0:
	s_clause 0x1
	s_load_b128 s[16:19], s[0:1], 0x0
	s_load_b32 s11, s[0:1], 0x1c
	v_and_b32_e32 v8, 0x3ff, v0
	s_mov_b32 s13, 0
	s_mul_i32 s12, s15, 0x180
	v_mbcnt_lo_u32_b32 v6, -1, 0
	s_lshl_b64 s[14:15], s[12:13], 2
	v_lshlrev_b32_e32 v1, 2, v8
	s_mov_b32 s12, s13
	v_bfe_u32 v2, v0, 10, 10
	v_dual_mov_b32 v11, s12 :: v_dual_add_nc_u32 v14, -1, v6
	v_dual_mov_b32 v12, s13 :: v_dual_and_b32 v3, 15, v6
	v_and_b32_e32 v7, 16, v6
	s_delay_alu instid0(VALU_DEP_3)
	v_cmp_gt_i32_e32 vcc_lo, 0, v14
	v_bfe_u32 v0, v0, 20, 10
	v_and_b32_e32 v15, 3, v6
	v_cmp_lt_u32_e64 s2, 1, v3
	v_cmp_lt_u32_e64 s3, 3, v3
	s_waitcnt lgkmcnt(0)
	s_add_u32 s0, s16, s14
	s_addc_u32 s1, s17, s15
	v_cmp_lt_u32_e64 s4, 7, v3
	s_clause 0x2
	global_load_b32 v4, v1, s[0:1]
	global_load_b32 v5, v1, s[0:1] offset:512
	global_load_b32 v1, v1, s[0:1] offset:1024
	s_mov_b32 s1, s13
	s_mov_b32 s0, s13
	s_delay_alu instid0(SALU_CYCLE_1)
	v_dual_mov_b32 v10, s1 :: v_dual_mov_b32 v9, s0
	v_lshrrev_b32_e32 v16, 5, v8
	v_cmp_eq_u32_e64 s1, 0, v3
	v_cmp_eq_u32_e64 s5, 0, v7
	v_and_b32_e32 v3, 0x60, v8
	v_cndmask_b32_e32 v7, v14, v6, vcc_lo
	s_lshr_b32 s12, s11, 16
	v_lshlrev_b32_e32 v13, 5, v8
	v_mad_u32_u24 v0, v0, s12, v2
	v_cmp_eq_u32_e64 s9, 0, v15
	v_cmp_lt_u32_e64 s10, 1, v15
	v_mul_u32_u24_e32 v18, 0x60, v16
	v_lshlrev_b32_e32 v16, 2, v16
	v_lshlrev_b32_e32 v15, 2, v7
	v_mul_u32_u24_e32 v7, 3, v3
	s_and_b32 s11, s11, 0xffff
	v_or_b32_e32 v19, 31, v3
	v_mad_u64_u32 v[2:3], null, v0, s11, v[8:9]
	v_lshlrev_b32_e32 v23, 3, v8
	v_mad_i32_i24 v17, 0xffffffe4, v8, v13
	v_lshlrev_b32_e32 v20, 2, v18
	v_or_b32_e32 v0, v6, v18
	v_or_b32_e32 v3, v6, v7
	v_cmp_eq_u32_e64 s0, 0, v6
	v_cmp_gt_u32_e64 s6, 4, v8
	v_cmp_lt_u32_e64 s7, 31, v8
	v_cmp_eq_u32_e64 s8, 0, v8
	v_or_b32_e32 v14, 16, v13
	v_cmp_eq_u32_e64 s11, v19, v8
	v_add_nc_u32_e32 v18, -4, v16
	v_mad_u32_u24 v19, v6, 12, v20
	v_lshlrev_b32_e32 v20, 2, v0
	v_lshlrev_b32_e32 v21, 2, v3
	v_lshrrev_b32_e32 v22, 5, v2
	v_add_nc_u32_e32 v23, v17, v23
	s_waitcnt vmcnt(2)
	v_add_nc_u32_e32 v2, 1, v4
	s_waitcnt vmcnt(1)
	;; [unrolled: 2-line block ×3, first 2 shown]
	v_add_nc_u32_e32 v6, 1, v1
	s_branch .LBB11_2
.LBB11_1:                               ;   in Loop: Header=BB11_2 Depth=1
	v_lshlrev_b32_e32 v2, 2, v30
	v_lshlrev_b32_e32 v3, 2, v7
	;; [unrolled: 1-line block ×3, first 2 shown]
	s_barrier
	buffer_gl0_inv
	ds_store_b32 v2, v24
	ds_store_b32 v3, v29
	;; [unrolled: 1-line block ×3, first 2 shown]
	s_waitcnt lgkmcnt(0)
	s_barrier
	buffer_gl0_inv
	ds_load_2addr_b32 v[0:1], v23 offset1:1
	ds_load_b32 v7, v23 offset:8
	s_waitcnt lgkmcnt(0)
	s_barrier
	buffer_gl0_inv
	ds_store_b32 v2, v27
	ds_store_b32 v3, v26
	;; [unrolled: 1-line block ×3, first 2 shown]
	s_waitcnt lgkmcnt(0)
	s_barrier
	buffer_gl0_inv
	ds_load_2addr_b32 v[2:3], v23 offset1:1
	ds_load_b32 v6, v23 offset:8
	s_add_i32 s13, s13, 1
	s_delay_alu instid0(SALU_CYCLE_1)
	s_cmp_eq_u32 s13, 10
	v_xor_b32_e32 v4, 0x80000000, v0
	v_xor_b32_e32 v5, 0x80000000, v1
	;; [unrolled: 1-line block ×3, first 2 shown]
	s_cbranch_scc1 .LBB11_18
.LBB11_2:                               ; =>This Loop Header: Depth=1
                                        ;     Child Loop BB11_4 Depth 2
	s_delay_alu instid0(VALU_DEP_3) | instskip(NEXT) | instid1(VALU_DEP_3)
	v_xor_b32_e32 v0, 0x80000000, v4
	v_xor_b32_e32 v4, 0x80000000, v5
	s_delay_alu instid0(VALU_DEP_3)
	v_xor_b32_e32 v1, 0x80000000, v1
	s_mov_b32 s16, 0
	ds_store_2addr_b32 v19, v0, v4 offset1:1
	ds_store_b32 v19, v1 offset:8
	; wave barrier
	ds_load_2addr_b32 v[0:1], v20 offset1:32
	ds_load_b32 v4, v20 offset:256
	; wave barrier
	s_waitcnt lgkmcnt(5)
	ds_store_2addr_b32 v19, v2, v3 offset1:1
	s_waitcnt lgkmcnt(5)
	ds_store_b32 v19, v6 offset:8
	; wave barrier
	ds_load_2addr_b32 v[2:3], v20 offset1:32
	ds_load_b32 v5, v20 offset:256
	s_waitcnt lgkmcnt(0)
	s_barrier
	s_branch .LBB11_4
.LBB11_3:                               ;   in Loop: Header=BB11_4 Depth=2
	v_lshlrev_b32_e32 v2, 2, v30
	v_lshlrev_b32_e32 v3, 2, v7
	s_delay_alu instid0(VALU_DEP_3)
	v_lshlrev_b32_e32 v5, 2, v6
	s_barrier
	buffer_gl0_inv
	ds_store_b32 v2, v24
	ds_store_b32 v3, v29
	;; [unrolled: 1-line block ×3, first 2 shown]
	s_waitcnt lgkmcnt(0)
	s_barrier
	buffer_gl0_inv
	ds_load_2addr_b32 v[0:1], v21 offset1:32
	ds_load_b32 v4, v21 offset:256
	s_waitcnt lgkmcnt(0)
	s_barrier
	buffer_gl0_inv
	ds_store_b32 v2, v27
	ds_store_b32 v3, v26
	;; [unrolled: 1-line block ×3, first 2 shown]
	s_waitcnt lgkmcnt(0)
	s_barrier
	buffer_gl0_inv
	ds_load_2addr_b32 v[2:3], v21 offset1:32
	ds_load_b32 v5, v21 offset:256
	s_add_i32 s16, s16, 8
	s_waitcnt lgkmcnt(0)
	s_barrier
	s_cbranch_execz .LBB11_1
.LBB11_4:                               ;   Parent Loop BB11_2 Depth=1
                                        ; =>  This Inner Loop Header: Depth=2
	v_mov_b32_e32 v24, v0
	buffer_gl0_inv
	ds_store_2addr_b64 v13, v[11:12], v[9:10] offset0:2 offset1:3
	ds_store_2addr_b64 v14, v[11:12], v[9:10] offset0:2 offset1:3
	s_waitcnt lgkmcnt(0)
	s_barrier
	v_lshrrev_b32_e32 v6, s16, v24
	buffer_gl0_inv
	; wave barrier
	v_lshlrev_b32_e32 v25, 30, v6
	v_bfe_u32 v0, v24, s16, 1
	v_lshlrev_b32_e32 v26, 29, v6
	v_lshlrev_b32_e32 v27, 28, v6
	;; [unrolled: 1-line block ×4, first 2 shown]
	v_add_co_u32 v0, s12, v0, -1
	s_delay_alu instid0(VALU_DEP_1) | instskip(SKIP_3) | instid1(VALU_DEP_4)
	v_cndmask_b32_e64 v7, 0, 1, s12
	v_cmp_gt_i32_e64 s12, 0, v25
	v_lshlrev_b32_e32 v30, 25, v6
	v_lshlrev_b32_e32 v6, 24, v6
	v_cmp_ne_u32_e32 vcc_lo, 0, v7
	v_not_b32_e32 v7, v25
	v_not_b32_e32 v25, v26
	v_xor_b32_e32 v0, vcc_lo, v0
	s_delay_alu instid0(VALU_DEP_3)
	v_ashrrev_i32_e32 v7, 31, v7
	v_cmp_gt_i32_e32 vcc_lo, 0, v26
	v_not_b32_e32 v26, v27
	v_ashrrev_i32_e32 v25, 31, v25
	v_and_b32_e32 v0, exec_lo, v0
	v_xor_b32_e32 v7, s12, v7
	v_cmp_gt_i32_e64 s12, 0, v27
	v_not_b32_e32 v27, v28
	v_ashrrev_i32_e32 v26, 31, v26
	v_xor_b32_e32 v25, vcc_lo, v25
	v_and_b32_e32 v0, v0, v7
	v_cmp_gt_i32_e32 vcc_lo, 0, v28
	v_ashrrev_i32_e32 v27, 31, v27
	v_xor_b32_e32 v26, s12, v26
	v_not_b32_e32 v7, v29
	v_and_b32_e32 v0, v0, v25
	v_cmp_gt_i32_e64 s12, 0, v29
	v_xor_b32_e32 v27, vcc_lo, v27
	v_mov_b32_e32 v29, v1
	v_ashrrev_i32_e32 v7, 31, v7
	v_and_b32_e32 v0, v0, v26
	v_not_b32_e32 v26, v6
	v_bfe_u32 v1, v24, s16, 8
	v_mov_b32_e32 v28, v4
	v_xor_b32_e32 v7, s12, v7
	v_dual_mov_b32 v27, v2 :: v_dual_and_b32 v0, v0, v27
	v_not_b32_e32 v25, v30
	v_cmp_gt_i32_e32 vcc_lo, 0, v30
	v_cmp_gt_i32_e64 s12, 0, v6
	v_ashrrev_i32_e32 v6, 31, v26
	v_and_b32_e32 v0, v0, v7
	v_ashrrev_i32_e32 v25, 31, v25
	v_lshl_add_u32 v1, v1, 2, v22
	v_mov_b32_e32 v26, v3
	v_xor_b32_e32 v6, s12, v6
	s_delay_alu instid0(VALU_DEP_4) | instskip(NEXT) | instid1(VALU_DEP_4)
	v_xor_b32_e32 v25, vcc_lo, v25
	v_lshl_add_u32 v31, v1, 2, 16
	s_delay_alu instid0(VALU_DEP_2) | instskip(NEXT) | instid1(VALU_DEP_1)
	v_dual_mov_b32 v25, v5 :: v_dual_and_b32 v0, v0, v25
	v_and_b32_e32 v0, v0, v6
	s_delay_alu instid0(VALU_DEP_1) | instskip(SKIP_1) | instid1(VALU_DEP_2)
	v_mbcnt_lo_u32_b32 v30, v0, 0
	v_cmp_ne_u32_e64 s12, 0, v0
	v_cmp_eq_u32_e32 vcc_lo, 0, v30
	s_delay_alu instid0(VALU_DEP_2) | instskip(NEXT) | instid1(SALU_CYCLE_1)
	s_and_b32 s17, s12, vcc_lo
	s_and_saveexec_b32 s12, s17
	s_cbranch_execz .LBB11_6
; %bb.5:                                ;   in Loop: Header=BB11_4 Depth=2
	v_bcnt_u32_b32 v0, v0, 0
	ds_store_b32 v31, v0
.LBB11_6:                               ;   in Loop: Header=BB11_4 Depth=2
	s_or_b32 exec_lo, exec_lo, s12
	v_bfe_u32 v0, v29, s16, 1
	v_lshrrev_b32_e32 v1, s16, v29
	; wave barrier
	s_delay_alu instid0(VALU_DEP_2) | instskip(NEXT) | instid1(VALU_DEP_1)
	v_add_co_u32 v0, s12, v0, -1
	v_cndmask_b32_e64 v2, 0, 1, s12
	s_delay_alu instid0(VALU_DEP_3)
	v_lshlrev_b32_e32 v3, 30, v1
	v_lshlrev_b32_e32 v4, 29, v1
	;; [unrolled: 1-line block ×4, first 2 shown]
	v_cmp_ne_u32_e32 vcc_lo, 0, v2
	v_not_b32_e32 v2, v3
	v_cmp_gt_i32_e64 s12, 0, v3
	v_not_b32_e32 v3, v4
	v_lshlrev_b32_e32 v7, 26, v1
	v_xor_b32_e32 v0, vcc_lo, v0
	v_ashrrev_i32_e32 v2, 31, v2
	v_cmp_gt_i32_e32 vcc_lo, 0, v4
	v_not_b32_e32 v4, v5
	v_ashrrev_i32_e32 v3, 31, v3
	v_and_b32_e32 v0, exec_lo, v0
	v_xor_b32_e32 v2, s12, v2
	v_cmp_gt_i32_e64 s12, 0, v5
	v_not_b32_e32 v5, v6
	v_ashrrev_i32_e32 v4, 31, v4
	v_xor_b32_e32 v3, vcc_lo, v3
	v_and_b32_e32 v0, v0, v2
	v_cmp_gt_i32_e32 vcc_lo, 0, v6
	v_not_b32_e32 v2, v7
	v_ashrrev_i32_e32 v5, 31, v5
	v_xor_b32_e32 v4, s12, v4
	v_and_b32_e32 v0, v0, v3
	v_lshlrev_b32_e32 v3, 25, v1
	v_cmp_gt_i32_e64 s12, 0, v7
	v_ashrrev_i32_e32 v2, 31, v2
	v_xor_b32_e32 v5, vcc_lo, v5
	v_and_b32_e32 v0, v0, v4
	v_not_b32_e32 v6, v3
	v_lshlrev_b32_e32 v1, 24, v1
	v_bfe_u32 v4, v29, s16, 8
	v_xor_b32_e32 v2, s12, v2
	v_and_b32_e32 v0, v0, v5
	v_cmp_gt_i32_e32 vcc_lo, 0, v3
	v_ashrrev_i32_e32 v3, 31, v6
	v_not_b32_e32 v5, v1
	v_lshlrev_b32_e32 v4, 2, v4
	v_and_b32_e32 v0, v0, v2
	s_delay_alu instid0(VALU_DEP_4) | instskip(SKIP_3) | instid1(VALU_DEP_4)
	v_xor_b32_e32 v2, vcc_lo, v3
	v_cmp_gt_i32_e32 vcc_lo, 0, v1
	v_ashrrev_i32_e32 v1, 31, v5
	v_add_lshl_u32 v3, v4, v22, 2
	v_and_b32_e32 v0, v0, v2
	s_delay_alu instid0(VALU_DEP_3) | instskip(SKIP_3) | instid1(VALU_DEP_1)
	v_xor_b32_e32 v1, vcc_lo, v1
	ds_load_b32 v32, v3 offset:16
	v_add_nc_u32_e32 v34, 16, v3
	; wave barrier
	v_and_b32_e32 v0, v0, v1
	v_mbcnt_lo_u32_b32 v33, v0, 0
	v_cmp_ne_u32_e64 s12, 0, v0
	s_delay_alu instid0(VALU_DEP_2) | instskip(NEXT) | instid1(VALU_DEP_2)
	v_cmp_eq_u32_e32 vcc_lo, 0, v33
	s_and_b32 s17, s12, vcc_lo
	s_delay_alu instid0(SALU_CYCLE_1)
	s_and_saveexec_b32 s12, s17
	s_cbranch_execz .LBB11_8
; %bb.7:                                ;   in Loop: Header=BB11_4 Depth=2
	s_waitcnt lgkmcnt(0)
	v_bcnt_u32_b32 v0, v0, v32
	ds_store_b32 v34, v0
.LBB11_8:                               ;   in Loop: Header=BB11_4 Depth=2
	s_or_b32 exec_lo, exec_lo, s12
	v_bfe_u32 v0, v28, s16, 1
	v_lshrrev_b32_e32 v1, s16, v28
	; wave barrier
	s_delay_alu instid0(VALU_DEP_2) | instskip(NEXT) | instid1(VALU_DEP_1)
	v_add_co_u32 v0, s12, v0, -1
	v_cndmask_b32_e64 v2, 0, 1, s12
	s_delay_alu instid0(VALU_DEP_3)
	v_lshlrev_b32_e32 v3, 30, v1
	v_lshlrev_b32_e32 v4, 29, v1
	;; [unrolled: 1-line block ×4, first 2 shown]
	v_cmp_ne_u32_e32 vcc_lo, 0, v2
	v_not_b32_e32 v2, v3
	v_cmp_gt_i32_e64 s12, 0, v3
	v_not_b32_e32 v3, v4
	v_lshlrev_b32_e32 v7, 26, v1
	v_xor_b32_e32 v0, vcc_lo, v0
	v_ashrrev_i32_e32 v2, 31, v2
	v_cmp_gt_i32_e32 vcc_lo, 0, v4
	v_not_b32_e32 v4, v5
	v_ashrrev_i32_e32 v3, 31, v3
	v_and_b32_e32 v0, exec_lo, v0
	v_xor_b32_e32 v2, s12, v2
	v_cmp_gt_i32_e64 s12, 0, v5
	v_not_b32_e32 v5, v6
	v_ashrrev_i32_e32 v4, 31, v4
	v_xor_b32_e32 v3, vcc_lo, v3
	v_and_b32_e32 v0, v0, v2
	v_cmp_gt_i32_e32 vcc_lo, 0, v6
	v_not_b32_e32 v2, v7
	v_ashrrev_i32_e32 v5, 31, v5
	v_xor_b32_e32 v4, s12, v4
	v_and_b32_e32 v0, v0, v3
	v_lshlrev_b32_e32 v3, 25, v1
	v_cmp_gt_i32_e64 s12, 0, v7
	v_ashrrev_i32_e32 v2, 31, v2
	v_xor_b32_e32 v5, vcc_lo, v5
	v_and_b32_e32 v0, v0, v4
	v_not_b32_e32 v6, v3
	v_lshlrev_b32_e32 v1, 24, v1
	v_bfe_u32 v4, v28, s16, 8
	v_xor_b32_e32 v2, s12, v2
	v_and_b32_e32 v0, v0, v5
	v_cmp_gt_i32_e32 vcc_lo, 0, v3
	v_ashrrev_i32_e32 v3, 31, v6
	v_not_b32_e32 v5, v1
	v_lshlrev_b32_e32 v4, 2, v4
	v_and_b32_e32 v0, v0, v2
	s_delay_alu instid0(VALU_DEP_4) | instskip(SKIP_3) | instid1(VALU_DEP_4)
	v_xor_b32_e32 v2, vcc_lo, v3
	v_cmp_gt_i32_e32 vcc_lo, 0, v1
	v_ashrrev_i32_e32 v1, 31, v5
	v_add_lshl_u32 v3, v4, v22, 2
	v_and_b32_e32 v0, v0, v2
	s_delay_alu instid0(VALU_DEP_3) | instskip(SKIP_3) | instid1(VALU_DEP_1)
	v_xor_b32_e32 v1, vcc_lo, v1
	ds_load_b32 v35, v3 offset:16
	v_add_nc_u32_e32 v37, 16, v3
	; wave barrier
	v_and_b32_e32 v0, v0, v1
	v_mbcnt_lo_u32_b32 v36, v0, 0
	v_cmp_ne_u32_e64 s12, 0, v0
	s_delay_alu instid0(VALU_DEP_2) | instskip(NEXT) | instid1(VALU_DEP_2)
	v_cmp_eq_u32_e32 vcc_lo, 0, v36
	s_and_b32 s17, s12, vcc_lo
	s_delay_alu instid0(SALU_CYCLE_1)
	s_and_saveexec_b32 s12, s17
	s_cbranch_execz .LBB11_10
; %bb.9:                                ;   in Loop: Header=BB11_4 Depth=2
	s_waitcnt lgkmcnt(0)
	v_bcnt_u32_b32 v0, v0, v35
	ds_store_b32 v37, v0
.LBB11_10:                              ;   in Loop: Header=BB11_4 Depth=2
	s_or_b32 exec_lo, exec_lo, s12
	; wave barrier
	s_waitcnt lgkmcnt(0)
	s_barrier
	buffer_gl0_inv
	ds_load_2addr_b64 v[4:7], v13 offset0:2 offset1:3
	ds_load_2addr_b64 v[0:3], v14 offset0:2 offset1:3
	s_waitcnt lgkmcnt(1)
	v_add_nc_u32_e32 v38, v5, v4
	s_delay_alu instid0(VALU_DEP_1) | instskip(SKIP_1) | instid1(VALU_DEP_1)
	v_add3_u32 v38, v38, v6, v7
	s_waitcnt lgkmcnt(0)
	v_add3_u32 v38, v38, v0, v1
	s_delay_alu instid0(VALU_DEP_1) | instskip(NEXT) | instid1(VALU_DEP_1)
	v_add3_u32 v3, v38, v2, v3
	v_mov_b32_dpp v38, v3 row_shr:1 row_mask:0xf bank_mask:0xf
	s_delay_alu instid0(VALU_DEP_1) | instskip(NEXT) | instid1(VALU_DEP_1)
	v_cndmask_b32_e64 v38, v38, 0, s1
	v_add_nc_u32_e32 v3, v38, v3
	s_delay_alu instid0(VALU_DEP_1) | instskip(NEXT) | instid1(VALU_DEP_1)
	v_mov_b32_dpp v38, v3 row_shr:2 row_mask:0xf bank_mask:0xf
	v_cndmask_b32_e64 v38, 0, v38, s2
	s_delay_alu instid0(VALU_DEP_1) | instskip(NEXT) | instid1(VALU_DEP_1)
	v_add_nc_u32_e32 v3, v3, v38
	v_mov_b32_dpp v38, v3 row_shr:4 row_mask:0xf bank_mask:0xf
	s_delay_alu instid0(VALU_DEP_1) | instskip(NEXT) | instid1(VALU_DEP_1)
	v_cndmask_b32_e64 v38, 0, v38, s3
	v_add_nc_u32_e32 v3, v3, v38
	s_delay_alu instid0(VALU_DEP_1) | instskip(NEXT) | instid1(VALU_DEP_1)
	v_mov_b32_dpp v38, v3 row_shr:8 row_mask:0xf bank_mask:0xf
	v_cndmask_b32_e64 v38, 0, v38, s4
	s_delay_alu instid0(VALU_DEP_1) | instskip(SKIP_3) | instid1(VALU_DEP_1)
	v_add_nc_u32_e32 v3, v3, v38
	ds_swizzle_b32 v38, v3 offset:swizzle(BROADCAST,32,15)
	s_waitcnt lgkmcnt(0)
	v_cndmask_b32_e64 v38, v38, 0, s5
	v_add_nc_u32_e32 v3, v3, v38
	s_and_saveexec_b32 s12, s11
	s_cbranch_execz .LBB11_12
; %bb.11:                               ;   in Loop: Header=BB11_4 Depth=2
	ds_store_b32 v16, v3
.LBB11_12:                              ;   in Loop: Header=BB11_4 Depth=2
	s_or_b32 exec_lo, exec_lo, s12
	s_waitcnt lgkmcnt(0)
	s_barrier
	buffer_gl0_inv
	s_and_saveexec_b32 s12, s6
	s_cbranch_execz .LBB11_14
; %bb.13:                               ;   in Loop: Header=BB11_4 Depth=2
	ds_load_b32 v38, v17
	s_waitcnt lgkmcnt(0)
	v_mov_b32_dpp v39, v38 row_shr:1 row_mask:0xf bank_mask:0xf
	s_delay_alu instid0(VALU_DEP_1) | instskip(NEXT) | instid1(VALU_DEP_1)
	v_cndmask_b32_e64 v39, v39, 0, s9
	v_add_nc_u32_e32 v38, v39, v38
	s_delay_alu instid0(VALU_DEP_1) | instskip(NEXT) | instid1(VALU_DEP_1)
	v_mov_b32_dpp v39, v38 row_shr:2 row_mask:0xf bank_mask:0xf
	v_cndmask_b32_e64 v39, 0, v39, s10
	s_delay_alu instid0(VALU_DEP_1)
	v_add_nc_u32_e32 v38, v38, v39
	ds_store_b32 v17, v38
.LBB11_14:                              ;   in Loop: Header=BB11_4 Depth=2
	s_or_b32 exec_lo, exec_lo, s12
	v_mov_b32_e32 v38, 0
	s_waitcnt lgkmcnt(0)
	s_barrier
	buffer_gl0_inv
	s_and_saveexec_b32 s12, s7
	s_cbranch_execz .LBB11_16
; %bb.15:                               ;   in Loop: Header=BB11_4 Depth=2
	ds_load_b32 v38, v18
.LBB11_16:                              ;   in Loop: Header=BB11_4 Depth=2
	s_or_b32 exec_lo, exec_lo, s12
	s_waitcnt lgkmcnt(0)
	v_add_nc_u32_e32 v3, v38, v3
	s_cmp_gt_u32 s16, 23
	ds_bpermute_b32 v3, v15, v3
	s_waitcnt lgkmcnt(0)
	v_cndmask_b32_e64 v3, v3, v38, s0
	s_delay_alu instid0(VALU_DEP_1) | instskip(NEXT) | instid1(VALU_DEP_1)
	v_cndmask_b32_e64 v3, v3, 0, s8
	v_add_nc_u32_e32 v4, v3, v4
	s_delay_alu instid0(VALU_DEP_1) | instskip(NEXT) | instid1(VALU_DEP_1)
	v_add_nc_u32_e32 v5, v4, v5
	v_add_nc_u32_e32 v6, v5, v6
	s_delay_alu instid0(VALU_DEP_1) | instskip(NEXT) | instid1(VALU_DEP_1)
	v_add_nc_u32_e32 v38, v6, v7
	v_add_nc_u32_e32 v39, v38, v0
	s_delay_alu instid0(VALU_DEP_1) | instskip(NEXT) | instid1(VALU_DEP_1)
	v_add_nc_u32_e32 v0, v39, v1
	v_add_nc_u32_e32 v1, v0, v2
	ds_store_2addr_b64 v13, v[3:4], v[5:6] offset0:2 offset1:3
	ds_store_2addr_b64 v14, v[38:39], v[0:1] offset0:2 offset1:3
	s_waitcnt lgkmcnt(0)
	s_barrier
	buffer_gl0_inv
	ds_load_b32 v0, v31
	ds_load_b32 v1, v34
	;; [unrolled: 1-line block ×3, first 2 shown]
	s_waitcnt lgkmcnt(2)
	v_add_nc_u32_e32 v30, v0, v30
	s_waitcnt lgkmcnt(1)
	v_add3_u32 v7, v33, v32, v1
	s_waitcnt lgkmcnt(0)
	v_add3_u32 v6, v36, v35, v2
	s_cbranch_scc0 .LBB11_3
; %bb.17:                               ;   in Loop: Header=BB11_2 Depth=1
                                        ; implicit-def: $vgpr4
                                        ; implicit-def: $vgpr1
                                        ; implicit-def: $vgpr5
                                        ; implicit-def: $vgpr3
                                        ; implicit-def: $sgpr16
	s_branch .LBB11_1
.LBB11_18:
	s_waitcnt lgkmcnt(1)
	v_add_nc_u32_e32 v0, v4, v2
	v_add_nc_u32_e32 v2, v5, v3
	v_lshlrev_b32_e32 v3, 2, v8
	s_waitcnt lgkmcnt(0)
	v_add_nc_u32_e32 v1, v1, v6
	s_add_u32 s0, s18, s14
	s_addc_u32 s1, s19, s15
	s_clause 0x2
	global_store_b32 v3, v0, s[0:1]
	global_store_b32 v3, v2, s[0:1] offset:512
	global_store_b32 v3, v1, s[0:1] offset:1024
	s_nop 0
	s_sendmsg sendmsg(MSG_DEALLOC_VGPRS)
	s_endpgm
	.section	.rodata,"a",@progbits
	.p2align	6, 0x0
	.amdhsa_kernel _Z17sort_pairs_kernelI22helper_blocked_blockediLj128ELj3ELj10EEvPKT0_PS1_
		.amdhsa_group_segment_fixed_size 4112
		.amdhsa_private_segment_fixed_size 0
		.amdhsa_kernarg_size 272
		.amdhsa_user_sgpr_count 15
		.amdhsa_user_sgpr_dispatch_ptr 0
		.amdhsa_user_sgpr_queue_ptr 0
		.amdhsa_user_sgpr_kernarg_segment_ptr 1
		.amdhsa_user_sgpr_dispatch_id 0
		.amdhsa_user_sgpr_private_segment_size 0
		.amdhsa_wavefront_size32 1
		.amdhsa_uses_dynamic_stack 0
		.amdhsa_enable_private_segment 0
		.amdhsa_system_sgpr_workgroup_id_x 1
		.amdhsa_system_sgpr_workgroup_id_y 0
		.amdhsa_system_sgpr_workgroup_id_z 0
		.amdhsa_system_sgpr_workgroup_info 0
		.amdhsa_system_vgpr_workitem_id 2
		.amdhsa_next_free_vgpr 40
		.amdhsa_next_free_sgpr 20
		.amdhsa_reserve_vcc 1
		.amdhsa_float_round_mode_32 0
		.amdhsa_float_round_mode_16_64 0
		.amdhsa_float_denorm_mode_32 3
		.amdhsa_float_denorm_mode_16_64 3
		.amdhsa_dx10_clamp 1
		.amdhsa_ieee_mode 1
		.amdhsa_fp16_overflow 0
		.amdhsa_workgroup_processor_mode 1
		.amdhsa_memory_ordered 1
		.amdhsa_forward_progress 0
		.amdhsa_shared_vgpr_count 0
		.amdhsa_exception_fp_ieee_invalid_op 0
		.amdhsa_exception_fp_denorm_src 0
		.amdhsa_exception_fp_ieee_div_zero 0
		.amdhsa_exception_fp_ieee_overflow 0
		.amdhsa_exception_fp_ieee_underflow 0
		.amdhsa_exception_fp_ieee_inexact 0
		.amdhsa_exception_int_div_zero 0
	.end_amdhsa_kernel
	.section	.text._Z17sort_pairs_kernelI22helper_blocked_blockediLj128ELj3ELj10EEvPKT0_PS1_,"axG",@progbits,_Z17sort_pairs_kernelI22helper_blocked_blockediLj128ELj3ELj10EEvPKT0_PS1_,comdat
.Lfunc_end11:
	.size	_Z17sort_pairs_kernelI22helper_blocked_blockediLj128ELj3ELj10EEvPKT0_PS1_, .Lfunc_end11-_Z17sort_pairs_kernelI22helper_blocked_blockediLj128ELj3ELj10EEvPKT0_PS1_
                                        ; -- End function
	.section	.AMDGPU.csdata,"",@progbits
; Kernel info:
; codeLenInByte = 2576
; NumSgprs: 22
; NumVgprs: 40
; ScratchSize: 0
; MemoryBound: 0
; FloatMode: 240
; IeeeMode: 1
; LDSByteSize: 4112 bytes/workgroup (compile time only)
; SGPRBlocks: 2
; VGPRBlocks: 4
; NumSGPRsForWavesPerEU: 22
; NumVGPRsForWavesPerEU: 40
; Occupancy: 16
; WaveLimiterHint : 1
; COMPUTE_PGM_RSRC2:SCRATCH_EN: 0
; COMPUTE_PGM_RSRC2:USER_SGPR: 15
; COMPUTE_PGM_RSRC2:TRAP_HANDLER: 0
; COMPUTE_PGM_RSRC2:TGID_X_EN: 1
; COMPUTE_PGM_RSRC2:TGID_Y_EN: 0
; COMPUTE_PGM_RSRC2:TGID_Z_EN: 0
; COMPUTE_PGM_RSRC2:TIDIG_COMP_CNT: 2
	.section	.text._Z16sort_keys_kernelI22helper_blocked_blockediLj128ELj4ELj10EEvPKT0_PS1_,"axG",@progbits,_Z16sort_keys_kernelI22helper_blocked_blockediLj128ELj4ELj10EEvPKT0_PS1_,comdat
	.protected	_Z16sort_keys_kernelI22helper_blocked_blockediLj128ELj4ELj10EEvPKT0_PS1_ ; -- Begin function _Z16sort_keys_kernelI22helper_blocked_blockediLj128ELj4ELj10EEvPKT0_PS1_
	.globl	_Z16sort_keys_kernelI22helper_blocked_blockediLj128ELj4ELj10EEvPKT0_PS1_
	.p2align	8
	.type	_Z16sort_keys_kernelI22helper_blocked_blockediLj128ELj4ELj10EEvPKT0_PS1_,@function
_Z16sort_keys_kernelI22helper_blocked_blockediLj128ELj4ELj10EEvPKT0_PS1_: ; @_Z16sort_keys_kernelI22helper_blocked_blockediLj128ELj4ELj10EEvPKT0_PS1_
; %bb.0:
	s_clause 0x1
	s_load_b128 s[16:19], s[0:1], 0x0
	s_load_b32 s3, s[0:1], 0x1c
	s_mov_b32 s23, 0
	s_lshl_b32 s22, s15, 9
	v_bfe_u32 v5, v0, 10, 10
	s_lshl_b64 s[20:21], s[22:23], 2
	s_mov_b32 s22, s23
	v_and_b32_e32 v8, 0x3ff, v0
	v_bfe_u32 v0, v0, 20, 10
	v_mbcnt_lo_u32_b32 v9, -1, 0
	s_delay_alu instid0(VALU_DEP_1)
	v_and_b32_e32 v13, 28, v9
	v_cmp_eq_u32_e64 s12, 0, v9
	s_waitcnt lgkmcnt(0)
	s_add_u32 s0, s16, s20
	s_addc_u32 s1, s17, s21
	s_lshr_b32 s2, s3, 16
	s_and_b32 s3, s3, 0xffff
	v_mad_u32_u24 v0, v0, s2, v5
	s_mov_b32 s16, s23
	s_mov_b32 s17, s23
	v_and_b32_e32 v10, 3, v9
	s_delay_alu instid0(VALU_DEP_2) | instskip(SKIP_2) | instid1(VALU_DEP_4)
	v_mad_u64_u32 v[5:6], null, v0, s3, v[8:9]
	v_add_nc_u32_e32 v6, -1, v9
	v_and_b32_e32 v0, 15, v9
	v_cmp_eq_u32_e64 s2, 1, v10
	v_cmp_eq_u32_e64 s3, 0, v10
	v_cmp_lt_u32_e64 s14, 1, v10
	v_cmp_gt_i32_e32 vcc_lo, 0, v6
	v_lshlrev_b32_e32 v7, 2, v8
	v_cmp_eq_u32_e64 s4, 0, v0
	v_cmp_lt_u32_e64 s5, 1, v0
	v_cmp_lt_u32_e64 s6, 3, v0
	;; [unrolled: 1-line block ×3, first 2 shown]
	v_cndmask_b32_e32 v0, v6, v9, vcc_lo
	s_clause 0x3
	global_load_b32 v2, v7, s[0:1]
	global_load_b32 v3, v7, s[0:1] offset:512
	global_load_b32 v4, v7, s[0:1] offset:1024
	;; [unrolled: 1-line block ×3, first 2 shown]
	v_cmp_eq_u32_e64 s0, 3, v10
	v_cmp_eq_u32_e64 s1, 2, v10
	v_lshrrev_b32_e32 v19, 5, v5
	v_and_b32_e32 v5, 16, v9
	v_lshlrev_b32_e32 v20, 2, v0
	v_and_or_b32 v0, 0x180, v7, v9
	v_mov_b32_e32 v9, s22
	v_or_b32_e32 v11, 31, v8
	v_lshlrev_b32_e32 v14, 5, v8
	v_cmp_gt_u32_e64 s10, 4, v8
	v_lshlrev_b32_e32 v24, 2, v0
	v_mul_u32_u24_e32 v0, 12, v8
	v_cmp_eq_u32_e64 s9, v11, v8
	v_dual_mov_b32 v11, s16 :: v_dual_mov_b32 v12, s17
	v_cmp_eq_u32_e64 s8, 0, v5
	v_lshrrev_b32_e32 v5, 3, v8
	v_mad_i32_i24 v22, 0xffffffe4, v8, v14
	v_or_b32_e32 v18, 16, v14
	v_cmp_lt_u32_e64 s11, 31, v8
	v_cmp_eq_u32_e64 s13, 0, v8
	v_dual_mov_b32 v10, s23 :: v_dual_and_b32 v21, 12, v5
	v_or_b32_e32 v15, 32, v13
	v_or_b32_e32 v16, 64, v13
	;; [unrolled: 1-line block ×3, first 2 shown]
	s_delay_alu instid0(VALU_DEP_4)
	v_add_nc_u32_e32 v23, -4, v21
	v_add_nc_u32_e32 v25, v22, v0
	s_branch .LBB12_2
.LBB12_1:                               ;   in Loop: Header=BB12_2 Depth=1
	v_lshlrev_b32_e32 v0, 2, v7
	v_lshlrev_b32_e32 v1, 2, v6
	;; [unrolled: 1-line block ×4, first 2 shown]
	s_barrier
	buffer_gl0_inv
	ds_store_b32 v0, v26
	ds_store_b32 v1, v29
	;; [unrolled: 1-line block ×4, first 2 shown]
	s_waitcnt lgkmcnt(0)
	s_barrier
	buffer_gl0_inv
	ds_load_2addr_b64 v[2:5], v25 offset1:1
	s_add_i32 s23, s23, 1
	s_delay_alu instid0(SALU_CYCLE_1)
	s_cmp_eq_u32 s23, 10
	s_waitcnt lgkmcnt(0)
	v_xor_b32_e32 v2, 0x80000000, v2
	v_xor_b32_e32 v3, 0x80000000, v3
	;; [unrolled: 1-line block ×4, first 2 shown]
	s_cbranch_scc1 .LBB12_20
.LBB12_2:                               ; =>This Loop Header: Depth=1
                                        ;     Child Loop BB12_4 Depth 2
	s_waitcnt vmcnt(3)
	v_xor_b32_e32 v0, 0x80000000, v2
	s_waitcnt vmcnt(2)
	v_xor_b32_e32 v2, 0x80000000, v3
	;; [unrolled: 2-line block ×4, first 2 shown]
	s_mov_b32 s16, 0
	ds_bpermute_b32 v4, v13, v0
	ds_bpermute_b32 v5, v13, v2
	;; [unrolled: 1-line block ×16, first 2 shown]
	s_waitcnt lgkmcnt(0)
	s_barrier
	v_cndmask_b32_e64 v1, v4, v5, s2
	v_cndmask_b32_e64 v4, v6, v7, s2
	;; [unrolled: 1-line block ×4, first 2 shown]
	s_delay_alu instid0(VALU_DEP_4) | instskip(NEXT) | instid1(VALU_DEP_4)
	v_cndmask_b32_e64 v1, v1, v28, s1
	v_cndmask_b32_e64 v2, v4, v29, s1
	s_delay_alu instid0(VALU_DEP_4) | instskip(NEXT) | instid1(VALU_DEP_4)
	v_cndmask_b32_e64 v4, v5, v30, s1
	v_cndmask_b32_e64 v3, v0, v3, s1
	;; [unrolled: 3-line block ×4, first 2 shown]
	s_branch .LBB12_4
.LBB12_3:                               ;   in Loop: Header=BB12_4 Depth=2
	v_lshlrev_b32_e32 v0, 2, v7
	v_lshlrev_b32_e32 v1, 2, v6
	;; [unrolled: 1-line block ×4, first 2 shown]
	s_barrier
	buffer_gl0_inv
	ds_store_b32 v0, v26
	ds_store_b32 v1, v29
	;; [unrolled: 1-line block ×4, first 2 shown]
	s_waitcnt lgkmcnt(0)
	s_barrier
	buffer_gl0_inv
	ds_load_2addr_b32 v[0:1], v24 offset1:32
	ds_load_2addr_b32 v[2:3], v24 offset0:64 offset1:96
	s_add_i32 s16, s16, 8
	s_waitcnt lgkmcnt(0)
	s_barrier
	s_cbranch_execz .LBB12_1
.LBB12_4:                               ;   Parent Loop BB12_2 Depth=1
                                        ; =>  This Inner Loop Header: Depth=2
	v_mov_b32_e32 v26, v0
	buffer_gl0_inv
	ds_store_2addr_b64 v14, v[9:10], v[11:12] offset0:2 offset1:3
	ds_store_2addr_b64 v18, v[9:10], v[11:12] offset0:2 offset1:3
	s_waitcnt lgkmcnt(0)
	s_barrier
	v_lshrrev_b32_e32 v4, s16, v26
	buffer_gl0_inv
	; wave barrier
	v_lshlrev_b32_e32 v7, 29, v4
	v_bfe_u32 v0, v26, s16, 1
	v_lshlrev_b32_e32 v6, 30, v4
	v_lshlrev_b32_e32 v27, 28, v4
	;; [unrolled: 1-line block ×4, first 2 shown]
	v_add_co_u32 v0, s15, v0, -1
	s_delay_alu instid0(VALU_DEP_1) | instskip(SKIP_3) | instid1(VALU_DEP_4)
	v_cndmask_b32_e64 v5, 0, 1, s15
	v_cmp_gt_i32_e64 s15, 0, v6
	v_lshlrev_b32_e32 v30, 25, v4
	v_lshlrev_b32_e32 v4, 24, v4
	v_cmp_ne_u32_e32 vcc_lo, 0, v5
	v_not_b32_e32 v5, v6
	v_not_b32_e32 v6, v7
	v_xor_b32_e32 v0, vcc_lo, v0
	s_delay_alu instid0(VALU_DEP_3)
	v_ashrrev_i32_e32 v5, 31, v5
	v_cmp_gt_i32_e32 vcc_lo, 0, v7
	v_not_b32_e32 v7, v27
	v_ashrrev_i32_e32 v6, 31, v6
	v_and_b32_e32 v0, exec_lo, v0
	v_xor_b32_e32 v5, s15, v5
	v_cmp_gt_i32_e64 s15, 0, v27
	v_ashrrev_i32_e32 v7, 31, v7
	v_xor_b32_e32 v6, vcc_lo, v6
	s_delay_alu instid0(VALU_DEP_4) | instskip(SKIP_1) | instid1(VALU_DEP_4)
	v_and_b32_e32 v0, v0, v5
	v_not_b32_e32 v5, v29
	v_xor_b32_e32 v7, s15, v7
	v_cmp_gt_i32_e64 s15, 0, v29
	v_mov_b32_e32 v29, v1
	v_not_b32_e32 v27, v28
	v_cmp_gt_i32_e32 vcc_lo, 0, v28
	v_and_b32_e32 v0, v0, v6
	v_not_b32_e32 v6, v30
	v_ashrrev_i32_e32 v5, 31, v5
	v_ashrrev_i32_e32 v27, 31, v27
	v_bfe_u32 v1, v26, s16, 8
	v_and_b32_e32 v0, v0, v7
	v_not_b32_e32 v7, v4
	v_ashrrev_i32_e32 v6, 31, v6
	v_xor_b32_e32 v27, vcc_lo, v27
	v_cmp_gt_i32_e32 vcc_lo, 0, v30
	v_xor_b32_e32 v5, s15, v5
	v_cmp_gt_i32_e64 s15, 0, v4
	v_ashrrev_i32_e32 v4, 31, v7
	v_and_b32_e32 v0, v0, v27
	v_xor_b32_e32 v6, vcc_lo, v6
	v_lshl_add_u32 v1, v1, 2, v19
	v_mov_b32_e32 v27, v3
	v_xor_b32_e32 v4, s15, v4
	v_and_b32_e32 v0, v0, v5
	v_mov_b32_e32 v28, v2
	v_lshl_add_u32 v31, v1, 2, 16
	s_delay_alu instid0(VALU_DEP_3) | instskip(NEXT) | instid1(VALU_DEP_1)
	v_and_b32_e32 v0, v0, v6
	v_and_b32_e32 v0, v0, v4
	s_delay_alu instid0(VALU_DEP_1) | instskip(SKIP_1) | instid1(VALU_DEP_2)
	v_mbcnt_lo_u32_b32 v30, v0, 0
	v_cmp_ne_u32_e64 s15, 0, v0
	v_cmp_eq_u32_e32 vcc_lo, 0, v30
	s_delay_alu instid0(VALU_DEP_2) | instskip(NEXT) | instid1(SALU_CYCLE_1)
	s_and_b32 s17, s15, vcc_lo
	s_and_saveexec_b32 s15, s17
	s_cbranch_execz .LBB12_6
; %bb.5:                                ;   in Loop: Header=BB12_4 Depth=2
	v_bcnt_u32_b32 v0, v0, 0
	ds_store_b32 v31, v0
.LBB12_6:                               ;   in Loop: Header=BB12_4 Depth=2
	s_or_b32 exec_lo, exec_lo, s15
	v_bfe_u32 v0, v29, s16, 1
	v_lshrrev_b32_e32 v1, s16, v29
	; wave barrier
	s_delay_alu instid0(VALU_DEP_2) | instskip(NEXT) | instid1(VALU_DEP_1)
	v_add_co_u32 v0, s15, v0, -1
	v_cndmask_b32_e64 v2, 0, 1, s15
	s_delay_alu instid0(VALU_DEP_3)
	v_lshlrev_b32_e32 v3, 30, v1
	v_lshlrev_b32_e32 v4, 29, v1
	;; [unrolled: 1-line block ×4, first 2 shown]
	v_cmp_ne_u32_e32 vcc_lo, 0, v2
	v_not_b32_e32 v2, v3
	v_cmp_gt_i32_e64 s15, 0, v3
	v_not_b32_e32 v3, v4
	v_lshlrev_b32_e32 v7, 26, v1
	v_xor_b32_e32 v0, vcc_lo, v0
	v_ashrrev_i32_e32 v2, 31, v2
	v_cmp_gt_i32_e32 vcc_lo, 0, v4
	v_not_b32_e32 v4, v5
	v_ashrrev_i32_e32 v3, 31, v3
	v_and_b32_e32 v0, exec_lo, v0
	v_xor_b32_e32 v2, s15, v2
	v_cmp_gt_i32_e64 s15, 0, v5
	v_not_b32_e32 v5, v6
	v_ashrrev_i32_e32 v4, 31, v4
	v_xor_b32_e32 v3, vcc_lo, v3
	v_and_b32_e32 v0, v0, v2
	v_cmp_gt_i32_e32 vcc_lo, 0, v6
	v_not_b32_e32 v2, v7
	v_ashrrev_i32_e32 v5, 31, v5
	v_xor_b32_e32 v4, s15, v4
	v_and_b32_e32 v0, v0, v3
	v_lshlrev_b32_e32 v3, 25, v1
	v_cmp_gt_i32_e64 s15, 0, v7
	v_ashrrev_i32_e32 v2, 31, v2
	v_xor_b32_e32 v5, vcc_lo, v5
	v_and_b32_e32 v0, v0, v4
	v_not_b32_e32 v6, v3
	v_lshlrev_b32_e32 v1, 24, v1
	v_bfe_u32 v4, v29, s16, 8
	v_xor_b32_e32 v2, s15, v2
	v_and_b32_e32 v0, v0, v5
	v_cmp_gt_i32_e32 vcc_lo, 0, v3
	v_ashrrev_i32_e32 v3, 31, v6
	v_not_b32_e32 v5, v1
	v_lshlrev_b32_e32 v4, 2, v4
	v_and_b32_e32 v0, v0, v2
	s_delay_alu instid0(VALU_DEP_4) | instskip(SKIP_3) | instid1(VALU_DEP_4)
	v_xor_b32_e32 v2, vcc_lo, v3
	v_cmp_gt_i32_e32 vcc_lo, 0, v1
	v_ashrrev_i32_e32 v1, 31, v5
	v_add_lshl_u32 v3, v4, v19, 2
	v_and_b32_e32 v0, v0, v2
	s_delay_alu instid0(VALU_DEP_3) | instskip(SKIP_3) | instid1(VALU_DEP_1)
	v_xor_b32_e32 v1, vcc_lo, v1
	ds_load_b32 v32, v3 offset:16
	v_add_nc_u32_e32 v34, 16, v3
	; wave barrier
	v_and_b32_e32 v0, v0, v1
	v_mbcnt_lo_u32_b32 v33, v0, 0
	v_cmp_ne_u32_e64 s15, 0, v0
	s_delay_alu instid0(VALU_DEP_2) | instskip(NEXT) | instid1(VALU_DEP_2)
	v_cmp_eq_u32_e32 vcc_lo, 0, v33
	s_and_b32 s17, s15, vcc_lo
	s_delay_alu instid0(SALU_CYCLE_1)
	s_and_saveexec_b32 s15, s17
	s_cbranch_execz .LBB12_8
; %bb.7:                                ;   in Loop: Header=BB12_4 Depth=2
	s_waitcnt lgkmcnt(0)
	v_bcnt_u32_b32 v0, v0, v32
	ds_store_b32 v34, v0
.LBB12_8:                               ;   in Loop: Header=BB12_4 Depth=2
	s_or_b32 exec_lo, exec_lo, s15
	v_bfe_u32 v0, v28, s16, 1
	v_lshrrev_b32_e32 v1, s16, v28
	; wave barrier
	s_delay_alu instid0(VALU_DEP_2) | instskip(NEXT) | instid1(VALU_DEP_1)
	v_add_co_u32 v0, s15, v0, -1
	v_cndmask_b32_e64 v2, 0, 1, s15
	s_delay_alu instid0(VALU_DEP_3)
	v_lshlrev_b32_e32 v3, 30, v1
	v_lshlrev_b32_e32 v4, 29, v1
	;; [unrolled: 1-line block ×4, first 2 shown]
	v_cmp_ne_u32_e32 vcc_lo, 0, v2
	v_not_b32_e32 v2, v3
	v_cmp_gt_i32_e64 s15, 0, v3
	v_not_b32_e32 v3, v4
	v_lshlrev_b32_e32 v7, 26, v1
	v_xor_b32_e32 v0, vcc_lo, v0
	v_ashrrev_i32_e32 v2, 31, v2
	v_cmp_gt_i32_e32 vcc_lo, 0, v4
	v_not_b32_e32 v4, v5
	v_ashrrev_i32_e32 v3, 31, v3
	v_and_b32_e32 v0, exec_lo, v0
	v_xor_b32_e32 v2, s15, v2
	v_cmp_gt_i32_e64 s15, 0, v5
	v_not_b32_e32 v5, v6
	v_ashrrev_i32_e32 v4, 31, v4
	v_xor_b32_e32 v3, vcc_lo, v3
	v_and_b32_e32 v0, v0, v2
	v_cmp_gt_i32_e32 vcc_lo, 0, v6
	v_not_b32_e32 v2, v7
	v_ashrrev_i32_e32 v5, 31, v5
	v_xor_b32_e32 v4, s15, v4
	v_and_b32_e32 v0, v0, v3
	v_lshlrev_b32_e32 v3, 25, v1
	v_cmp_gt_i32_e64 s15, 0, v7
	v_ashrrev_i32_e32 v2, 31, v2
	v_xor_b32_e32 v5, vcc_lo, v5
	v_and_b32_e32 v0, v0, v4
	v_not_b32_e32 v6, v3
	v_lshlrev_b32_e32 v1, 24, v1
	v_bfe_u32 v4, v28, s16, 8
	v_xor_b32_e32 v2, s15, v2
	v_and_b32_e32 v0, v0, v5
	v_cmp_gt_i32_e32 vcc_lo, 0, v3
	v_ashrrev_i32_e32 v3, 31, v6
	v_not_b32_e32 v5, v1
	v_lshlrev_b32_e32 v4, 2, v4
	v_and_b32_e32 v0, v0, v2
	s_delay_alu instid0(VALU_DEP_4) | instskip(SKIP_3) | instid1(VALU_DEP_4)
	v_xor_b32_e32 v2, vcc_lo, v3
	v_cmp_gt_i32_e32 vcc_lo, 0, v1
	v_ashrrev_i32_e32 v1, 31, v5
	v_add_lshl_u32 v3, v4, v19, 2
	v_and_b32_e32 v0, v0, v2
	s_delay_alu instid0(VALU_DEP_3) | instskip(SKIP_3) | instid1(VALU_DEP_1)
	v_xor_b32_e32 v1, vcc_lo, v1
	ds_load_b32 v35, v3 offset:16
	v_add_nc_u32_e32 v37, 16, v3
	; wave barrier
	v_and_b32_e32 v0, v0, v1
	v_mbcnt_lo_u32_b32 v36, v0, 0
	v_cmp_ne_u32_e64 s15, 0, v0
	s_delay_alu instid0(VALU_DEP_2) | instskip(NEXT) | instid1(VALU_DEP_2)
	v_cmp_eq_u32_e32 vcc_lo, 0, v36
	s_and_b32 s17, s15, vcc_lo
	s_delay_alu instid0(SALU_CYCLE_1)
	s_and_saveexec_b32 s15, s17
	s_cbranch_execz .LBB12_10
; %bb.9:                                ;   in Loop: Header=BB12_4 Depth=2
	s_waitcnt lgkmcnt(0)
	v_bcnt_u32_b32 v0, v0, v35
	ds_store_b32 v37, v0
.LBB12_10:                              ;   in Loop: Header=BB12_4 Depth=2
	s_or_b32 exec_lo, exec_lo, s15
	v_bfe_u32 v0, v27, s16, 1
	v_lshrrev_b32_e32 v1, s16, v27
	; wave barrier
	s_delay_alu instid0(VALU_DEP_2) | instskip(NEXT) | instid1(VALU_DEP_1)
	v_add_co_u32 v0, s15, v0, -1
	v_cndmask_b32_e64 v2, 0, 1, s15
	s_delay_alu instid0(VALU_DEP_3)
	v_lshlrev_b32_e32 v3, 30, v1
	v_lshlrev_b32_e32 v4, 29, v1
	v_lshlrev_b32_e32 v5, 28, v1
	v_lshlrev_b32_e32 v6, 27, v1
	v_cmp_ne_u32_e32 vcc_lo, 0, v2
	v_not_b32_e32 v2, v3
	v_cmp_gt_i32_e64 s15, 0, v3
	v_not_b32_e32 v3, v4
	v_lshlrev_b32_e32 v7, 26, v1
	v_xor_b32_e32 v0, vcc_lo, v0
	v_ashrrev_i32_e32 v2, 31, v2
	v_cmp_gt_i32_e32 vcc_lo, 0, v4
	v_not_b32_e32 v4, v5
	v_ashrrev_i32_e32 v3, 31, v3
	v_and_b32_e32 v0, exec_lo, v0
	v_xor_b32_e32 v2, s15, v2
	v_cmp_gt_i32_e64 s15, 0, v5
	v_not_b32_e32 v5, v6
	v_ashrrev_i32_e32 v4, 31, v4
	v_xor_b32_e32 v3, vcc_lo, v3
	v_and_b32_e32 v0, v0, v2
	v_cmp_gt_i32_e32 vcc_lo, 0, v6
	v_not_b32_e32 v2, v7
	v_ashrrev_i32_e32 v5, 31, v5
	v_xor_b32_e32 v4, s15, v4
	v_and_b32_e32 v0, v0, v3
	v_lshlrev_b32_e32 v3, 25, v1
	v_cmp_gt_i32_e64 s15, 0, v7
	v_ashrrev_i32_e32 v2, 31, v2
	v_xor_b32_e32 v5, vcc_lo, v5
	v_and_b32_e32 v0, v0, v4
	v_not_b32_e32 v6, v3
	v_lshlrev_b32_e32 v1, 24, v1
	v_bfe_u32 v4, v27, s16, 8
	v_xor_b32_e32 v2, s15, v2
	v_and_b32_e32 v0, v0, v5
	v_cmp_gt_i32_e32 vcc_lo, 0, v3
	v_ashrrev_i32_e32 v3, 31, v6
	v_not_b32_e32 v5, v1
	v_lshlrev_b32_e32 v4, 2, v4
	v_and_b32_e32 v0, v0, v2
	s_delay_alu instid0(VALU_DEP_4) | instskip(SKIP_3) | instid1(VALU_DEP_4)
	v_xor_b32_e32 v2, vcc_lo, v3
	v_cmp_gt_i32_e32 vcc_lo, 0, v1
	v_ashrrev_i32_e32 v1, 31, v5
	v_add_lshl_u32 v3, v4, v19, 2
	v_and_b32_e32 v0, v0, v2
	s_delay_alu instid0(VALU_DEP_3) | instskip(SKIP_3) | instid1(VALU_DEP_1)
	v_xor_b32_e32 v1, vcc_lo, v1
	ds_load_b32 v38, v3 offset:16
	v_add_nc_u32_e32 v40, 16, v3
	; wave barrier
	v_and_b32_e32 v0, v0, v1
	v_mbcnt_lo_u32_b32 v39, v0, 0
	v_cmp_ne_u32_e64 s15, 0, v0
	s_delay_alu instid0(VALU_DEP_2) | instskip(NEXT) | instid1(VALU_DEP_2)
	v_cmp_eq_u32_e32 vcc_lo, 0, v39
	s_and_b32 s17, s15, vcc_lo
	s_delay_alu instid0(SALU_CYCLE_1)
	s_and_saveexec_b32 s15, s17
	s_cbranch_execz .LBB12_12
; %bb.11:                               ;   in Loop: Header=BB12_4 Depth=2
	s_waitcnt lgkmcnt(0)
	v_bcnt_u32_b32 v0, v0, v38
	ds_store_b32 v40, v0
.LBB12_12:                              ;   in Loop: Header=BB12_4 Depth=2
	s_or_b32 exec_lo, exec_lo, s15
	; wave barrier
	s_waitcnt lgkmcnt(0)
	s_barrier
	buffer_gl0_inv
	ds_load_2addr_b64 v[4:7], v14 offset0:2 offset1:3
	ds_load_2addr_b64 v[0:3], v18 offset0:2 offset1:3
	s_waitcnt lgkmcnt(1)
	v_add_nc_u32_e32 v41, v5, v4
	s_delay_alu instid0(VALU_DEP_1) | instskip(SKIP_1) | instid1(VALU_DEP_1)
	v_add3_u32 v41, v41, v6, v7
	s_waitcnt lgkmcnt(0)
	v_add3_u32 v41, v41, v0, v1
	s_delay_alu instid0(VALU_DEP_1) | instskip(NEXT) | instid1(VALU_DEP_1)
	v_add3_u32 v3, v41, v2, v3
	v_mov_b32_dpp v41, v3 row_shr:1 row_mask:0xf bank_mask:0xf
	s_delay_alu instid0(VALU_DEP_1) | instskip(NEXT) | instid1(VALU_DEP_1)
	v_cndmask_b32_e64 v41, v41, 0, s4
	v_add_nc_u32_e32 v3, v41, v3
	s_delay_alu instid0(VALU_DEP_1) | instskip(NEXT) | instid1(VALU_DEP_1)
	v_mov_b32_dpp v41, v3 row_shr:2 row_mask:0xf bank_mask:0xf
	v_cndmask_b32_e64 v41, 0, v41, s5
	s_delay_alu instid0(VALU_DEP_1) | instskip(NEXT) | instid1(VALU_DEP_1)
	v_add_nc_u32_e32 v3, v3, v41
	v_mov_b32_dpp v41, v3 row_shr:4 row_mask:0xf bank_mask:0xf
	s_delay_alu instid0(VALU_DEP_1) | instskip(NEXT) | instid1(VALU_DEP_1)
	v_cndmask_b32_e64 v41, 0, v41, s6
	v_add_nc_u32_e32 v3, v3, v41
	s_delay_alu instid0(VALU_DEP_1) | instskip(NEXT) | instid1(VALU_DEP_1)
	v_mov_b32_dpp v41, v3 row_shr:8 row_mask:0xf bank_mask:0xf
	v_cndmask_b32_e64 v41, 0, v41, s7
	s_delay_alu instid0(VALU_DEP_1) | instskip(SKIP_3) | instid1(VALU_DEP_1)
	v_add_nc_u32_e32 v3, v3, v41
	ds_swizzle_b32 v41, v3 offset:swizzle(BROADCAST,32,15)
	s_waitcnt lgkmcnt(0)
	v_cndmask_b32_e64 v41, v41, 0, s8
	v_add_nc_u32_e32 v3, v3, v41
	s_and_saveexec_b32 s15, s9
	s_cbranch_execz .LBB12_14
; %bb.13:                               ;   in Loop: Header=BB12_4 Depth=2
	ds_store_b32 v21, v3
.LBB12_14:                              ;   in Loop: Header=BB12_4 Depth=2
	s_or_b32 exec_lo, exec_lo, s15
	s_waitcnt lgkmcnt(0)
	s_barrier
	buffer_gl0_inv
	s_and_saveexec_b32 s15, s10
	s_cbranch_execz .LBB12_16
; %bb.15:                               ;   in Loop: Header=BB12_4 Depth=2
	ds_load_b32 v41, v22
	s_waitcnt lgkmcnt(0)
	v_mov_b32_dpp v42, v41 row_shr:1 row_mask:0xf bank_mask:0xf
	s_delay_alu instid0(VALU_DEP_1) | instskip(NEXT) | instid1(VALU_DEP_1)
	v_cndmask_b32_e64 v42, v42, 0, s3
	v_add_nc_u32_e32 v41, v42, v41
	s_delay_alu instid0(VALU_DEP_1) | instskip(NEXT) | instid1(VALU_DEP_1)
	v_mov_b32_dpp v42, v41 row_shr:2 row_mask:0xf bank_mask:0xf
	v_cndmask_b32_e64 v42, 0, v42, s14
	s_delay_alu instid0(VALU_DEP_1)
	v_add_nc_u32_e32 v41, v41, v42
	ds_store_b32 v22, v41
.LBB12_16:                              ;   in Loop: Header=BB12_4 Depth=2
	s_or_b32 exec_lo, exec_lo, s15
	v_mov_b32_e32 v41, 0
	s_waitcnt lgkmcnt(0)
	s_barrier
	buffer_gl0_inv
	s_and_saveexec_b32 s15, s11
	s_cbranch_execz .LBB12_18
; %bb.17:                               ;   in Loop: Header=BB12_4 Depth=2
	ds_load_b32 v41, v23
.LBB12_18:                              ;   in Loop: Header=BB12_4 Depth=2
	s_or_b32 exec_lo, exec_lo, s15
	s_waitcnt lgkmcnt(0)
	v_add_nc_u32_e32 v3, v41, v3
	s_cmp_gt_u32 s16, 23
	ds_bpermute_b32 v3, v20, v3
	s_waitcnt lgkmcnt(0)
	v_cndmask_b32_e64 v3, v3, v41, s12
	s_delay_alu instid0(VALU_DEP_1) | instskip(NEXT) | instid1(VALU_DEP_1)
	v_cndmask_b32_e64 v3, v3, 0, s13
	v_add_nc_u32_e32 v4, v3, v4
	s_delay_alu instid0(VALU_DEP_1) | instskip(NEXT) | instid1(VALU_DEP_1)
	v_add_nc_u32_e32 v5, v4, v5
	v_add_nc_u32_e32 v6, v5, v6
	s_delay_alu instid0(VALU_DEP_1) | instskip(NEXT) | instid1(VALU_DEP_1)
	v_add_nc_u32_e32 v41, v6, v7
	;; [unrolled: 3-line block ×3, first 2 shown]
	v_add_nc_u32_e32 v1, v0, v2
	ds_store_2addr_b64 v14, v[3:4], v[5:6] offset0:2 offset1:3
	ds_store_2addr_b64 v18, v[41:42], v[0:1] offset0:2 offset1:3
	s_waitcnt lgkmcnt(0)
	s_barrier
	buffer_gl0_inv
	ds_load_b32 v0, v31
	ds_load_b32 v1, v34
	;; [unrolled: 1-line block ×4, first 2 shown]
	s_waitcnt lgkmcnt(3)
	v_add_nc_u32_e32 v7, v0, v30
	s_waitcnt lgkmcnt(2)
	v_add3_u32 v6, v33, v32, v1
	s_waitcnt lgkmcnt(1)
	v_add3_u32 v5, v36, v35, v2
	;; [unrolled: 2-line block ×3, first 2 shown]
	s_cbranch_scc0 .LBB12_3
; %bb.19:                               ;   in Loop: Header=BB12_2 Depth=1
                                        ; implicit-def: $vgpr3
                                        ; implicit-def: $vgpr1
                                        ; implicit-def: $sgpr16
	s_branch .LBB12_1
.LBB12_20:
	v_lshlrev_b32_e32 v0, 2, v8
	s_add_u32 s0, s18, s20
	s_addc_u32 s1, s19, s21
	s_clause 0x3
	global_store_b32 v0, v2, s[0:1]
	global_store_b32 v0, v3, s[0:1] offset:512
	global_store_b32 v0, v4, s[0:1] offset:1024
	;; [unrolled: 1-line block ×3, first 2 shown]
	s_nop 0
	s_sendmsg sendmsg(MSG_DEALLOC_VGPRS)
	s_endpgm
	.section	.rodata,"a",@progbits
	.p2align	6, 0x0
	.amdhsa_kernel _Z16sort_keys_kernelI22helper_blocked_blockediLj128ELj4ELj10EEvPKT0_PS1_
		.amdhsa_group_segment_fixed_size 4112
		.amdhsa_private_segment_fixed_size 0
		.amdhsa_kernarg_size 272
		.amdhsa_user_sgpr_count 15
		.amdhsa_user_sgpr_dispatch_ptr 0
		.amdhsa_user_sgpr_queue_ptr 0
		.amdhsa_user_sgpr_kernarg_segment_ptr 1
		.amdhsa_user_sgpr_dispatch_id 0
		.amdhsa_user_sgpr_private_segment_size 0
		.amdhsa_wavefront_size32 1
		.amdhsa_uses_dynamic_stack 0
		.amdhsa_enable_private_segment 0
		.amdhsa_system_sgpr_workgroup_id_x 1
		.amdhsa_system_sgpr_workgroup_id_y 0
		.amdhsa_system_sgpr_workgroup_id_z 0
		.amdhsa_system_sgpr_workgroup_info 0
		.amdhsa_system_vgpr_workitem_id 2
		.amdhsa_next_free_vgpr 43
		.amdhsa_next_free_sgpr 24
		.amdhsa_reserve_vcc 1
		.amdhsa_float_round_mode_32 0
		.amdhsa_float_round_mode_16_64 0
		.amdhsa_float_denorm_mode_32 3
		.amdhsa_float_denorm_mode_16_64 3
		.amdhsa_dx10_clamp 1
		.amdhsa_ieee_mode 1
		.amdhsa_fp16_overflow 0
		.amdhsa_workgroup_processor_mode 1
		.amdhsa_memory_ordered 1
		.amdhsa_forward_progress 0
		.amdhsa_shared_vgpr_count 0
		.amdhsa_exception_fp_ieee_invalid_op 0
		.amdhsa_exception_fp_denorm_src 0
		.amdhsa_exception_fp_ieee_div_zero 0
		.amdhsa_exception_fp_ieee_overflow 0
		.amdhsa_exception_fp_ieee_underflow 0
		.amdhsa_exception_fp_ieee_inexact 0
		.amdhsa_exception_int_div_zero 0
	.end_amdhsa_kernel
	.section	.text._Z16sort_keys_kernelI22helper_blocked_blockediLj128ELj4ELj10EEvPKT0_PS1_,"axG",@progbits,_Z16sort_keys_kernelI22helper_blocked_blockediLj128ELj4ELj10EEvPKT0_PS1_,comdat
.Lfunc_end12:
	.size	_Z16sort_keys_kernelI22helper_blocked_blockediLj128ELj4ELj10EEvPKT0_PS1_, .Lfunc_end12-_Z16sort_keys_kernelI22helper_blocked_blockediLj128ELj4ELj10EEvPKT0_PS1_
                                        ; -- End function
	.section	.AMDGPU.csdata,"",@progbits
; Kernel info:
; codeLenInByte = 2968
; NumSgprs: 26
; NumVgprs: 43
; ScratchSize: 0
; MemoryBound: 0
; FloatMode: 240
; IeeeMode: 1
; LDSByteSize: 4112 bytes/workgroup (compile time only)
; SGPRBlocks: 3
; VGPRBlocks: 5
; NumSGPRsForWavesPerEU: 26
; NumVGPRsForWavesPerEU: 43
; Occupancy: 16
; WaveLimiterHint : 1
; COMPUTE_PGM_RSRC2:SCRATCH_EN: 0
; COMPUTE_PGM_RSRC2:USER_SGPR: 15
; COMPUTE_PGM_RSRC2:TRAP_HANDLER: 0
; COMPUTE_PGM_RSRC2:TGID_X_EN: 1
; COMPUTE_PGM_RSRC2:TGID_Y_EN: 0
; COMPUTE_PGM_RSRC2:TGID_Z_EN: 0
; COMPUTE_PGM_RSRC2:TIDIG_COMP_CNT: 2
	.section	.text._Z17sort_pairs_kernelI22helper_blocked_blockediLj128ELj4ELj10EEvPKT0_PS1_,"axG",@progbits,_Z17sort_pairs_kernelI22helper_blocked_blockediLj128ELj4ELj10EEvPKT0_PS1_,comdat
	.protected	_Z17sort_pairs_kernelI22helper_blocked_blockediLj128ELj4ELj10EEvPKT0_PS1_ ; -- Begin function _Z17sort_pairs_kernelI22helper_blocked_blockediLj128ELj4ELj10EEvPKT0_PS1_
	.globl	_Z17sort_pairs_kernelI22helper_blocked_blockediLj128ELj4ELj10EEvPKT0_PS1_
	.p2align	8
	.type	_Z17sort_pairs_kernelI22helper_blocked_blockediLj128ELj4ELj10EEvPKT0_PS1_,@function
_Z17sort_pairs_kernelI22helper_blocked_blockediLj128ELj4ELj10EEvPKT0_PS1_: ; @_Z17sort_pairs_kernelI22helper_blocked_blockediLj128ELj4ELj10EEvPKT0_PS1_
; %bb.0:
	s_clause 0x1
	s_load_b128 s[16:19], s[0:1], 0x0
	s_load_b32 s14, s[0:1], 0x1c
	v_and_b32_e32 v8, 0x3ff, v0
	s_mov_b32 s23, 0
	s_lshl_b32 s22, s15, 9
	v_mbcnt_lo_u32_b32 v3, -1, 0
	s_lshl_b64 s[20:21], s[22:23], 2
	s_mov_b32 s22, s23
	s_delay_alu instid0(SALU_CYCLE_1)
	v_dual_mov_b32 v11, s22 :: v_dual_lshlrev_b32 v2, 2, v8
	v_bfe_u32 v18, v0, 10, 10
	v_bfe_u32 v0, v0, 20, 10
	v_add_nc_u32_e32 v21, -1, v3
	v_and_b32_e32 v19, 15, v3
	v_and_b32_e32 v20, 16, v3
	v_dual_mov_b32 v12, s23 :: v_dual_and_b32 v13, 28, v3
	s_delay_alu instid0(VALU_DEP_4) | instskip(NEXT) | instid1(VALU_DEP_4)
	v_cmp_gt_i32_e32 vcc_lo, 0, v21
	v_cmp_eq_u32_e64 s5, 0, v19
	v_cmp_lt_u32_e64 s6, 1, v19
	s_waitcnt lgkmcnt(0)
	s_add_u32 s0, s16, s20
	s_addc_u32 s1, s17, s21
	s_lshr_b32 s15, s14, 16
	s_clause 0x3
	global_load_b32 v5, v2, s[0:1]
	global_load_b32 v6, v2, s[0:1] offset:512
	global_load_b32 v7, v2, s[0:1] offset:1024
	;; [unrolled: 1-line block ×3, first 2 shown]
	s_mov_b32 s1, s23
	s_mov_b32 s0, s23
	v_dual_mov_b32 v10, s1 :: v_dual_and_b32 v1, 3, v3
	v_mov_b32_e32 v9, s0
	v_mad_u32_u24 v22, v0, s15, v18
	s_and_b32 s14, s14, 0xffff
	v_lshlrev_b32_e32 v17, 5, v8
	v_cmp_eq_u32_e64 s1, 3, v1
	v_cmp_eq_u32_e64 s2, 2, v1
	;; [unrolled: 1-line block ×4, first 2 shown]
	v_cmp_lt_u32_e64 s13, 1, v1
	v_mad_u64_u32 v[0:1], null, v22, s14, v[8:9]
	v_cmp_lt_u32_e64 s7, 3, v19
	v_cmp_lt_u32_e64 s8, 7, v19
	v_cmp_eq_u32_e64 s9, 0, v20
	v_or_b32_e32 v20, 31, v8
	v_cndmask_b32_e32 v21, v21, v3, vcc_lo
	v_lshrrev_b32_e32 v19, 3, v8
	v_mul_u32_u24_e32 v25, 12, v8
	v_and_or_b32 v1, 0x180, v2, v3
	v_cmp_eq_u32_e64 s14, v20, v8
	v_lshrrev_b32_e32 v24, 5, v0
	v_and_b32_e32 v19, 12, v19
	v_cmp_eq_u32_e64 s0, 0, v3
	v_or_b32_e32 v14, 32, v13
	v_or_b32_e32 v15, 64, v13
	;; [unrolled: 1-line block ×3, first 2 shown]
	v_cmp_gt_u32_e64 s10, 4, v8
	v_cmp_lt_u32_e64 s11, 31, v8
	v_cmp_eq_u32_e64 s12, 0, v8
	v_or_b32_e32 v18, 16, v17
	v_add_nc_u32_e32 v22, -4, v19
	v_lshlrev_b32_e32 v23, 2, v1
	s_waitcnt vmcnt(3)
	v_add_nc_u32_e32 v0, 1, v5
	v_lshlrev_b32_e32 v20, 2, v21
	v_mad_i32_i24 v21, 0xffffffe4, v8, v17
	s_waitcnt vmcnt(2)
	v_add_nc_u32_e32 v1, 1, v6
	s_waitcnt vmcnt(1)
	v_add_nc_u32_e32 v2, 1, v7
	;; [unrolled: 2-line block ×3, first 2 shown]
	v_add_nc_u32_e32 v25, v21, v25
	s_branch .LBB13_2
.LBB13_1:                               ;   in Loop: Header=BB13_2 Depth=1
	v_lshlrev_b32_e32 v0, 2, v38
	v_lshlrev_b32_e32 v1, 2, v36
	;; [unrolled: 1-line block ×4, first 2 shown]
	s_barrier
	buffer_gl0_inv
	ds_store_b32 v0, v26
	ds_store_b32 v1, v33
	;; [unrolled: 1-line block ×4, first 2 shown]
	s_waitcnt lgkmcnt(0)
	s_barrier
	buffer_gl0_inv
	ds_load_2addr_b64 v[32:35], v25 offset1:1
	s_waitcnt lgkmcnt(0)
	s_barrier
	buffer_gl0_inv
	ds_store_b32 v0, v31
	ds_store_b32 v1, v29
	;; [unrolled: 1-line block ×4, first 2 shown]
	s_waitcnt lgkmcnt(0)
	s_barrier
	buffer_gl0_inv
	ds_load_2addr_b64 v[0:3], v25 offset1:1
	s_add_i32 s23, s23, 1
	s_delay_alu instid0(SALU_CYCLE_1)
	s_cmp_eq_u32 s23, 10
	v_xor_b32_e32 v5, 0x80000000, v32
	v_xor_b32_e32 v6, 0x80000000, v33
	;; [unrolled: 1-line block ×4, first 2 shown]
	s_cbranch_scc1 .LBB13_20
.LBB13_2:                               ; =>This Loop Header: Depth=1
                                        ;     Child Loop BB13_4 Depth 2
	v_xor_b32_e32 v5, 0x80000000, v5
	v_xor_b32_e32 v6, 0x80000000, v6
	v_xor_b32_e32 v7, 0x80000000, v7
	v_xor_b32_e32 v4, 0x80000000, v4
	s_waitcnt lgkmcnt(0)
	ds_bpermute_b32 v35, v13, v0
	ds_bpermute_b32 v26, v13, v5
	;; [unrolled: 1-line block ×22, first 2 shown]
	s_waitcnt lgkmcnt(19)
	v_cndmask_b32_e64 v26, v26, v27, s3
	ds_bpermute_b32 v4, v16, v4
	s_waitcnt lgkmcnt(18)
	v_cndmask_b32_e64 v27, v28, v29, s3
	ds_bpermute_b32 v29, v16, v1
	s_waitcnt lgkmcnt(17)
	v_cndmask_b32_e64 v28, v30, v31, s3
	s_waitcnt lgkmcnt(16)
	v_cndmask_b32_e64 v26, v26, v32, s2
	ds_bpermute_b32 v30, v13, v2
	s_waitcnt lgkmcnt(16)
	v_cndmask_b32_e64 v27, v27, v33, s2
	ds_bpermute_b32 v31, v14, v2
	ds_bpermute_b32 v32, v15, v2
	;; [unrolled: 1-line block ×3, first 2 shown]
	s_waitcnt lgkmcnt(18)
	v_cndmask_b32_e64 v28, v28, v34, s2
	ds_bpermute_b32 v34, v13, v3
	ds_bpermute_b32 v44, v14, v3
	;; [unrolled: 1-line block ×4, first 2 shown]
	s_waitcnt lgkmcnt(15)
	v_cndmask_b32_e64 v0, v26, v0, s1
	s_waitcnt lgkmcnt(14)
	v_cndmask_b32_e64 v1, v27, v42, s1
	;; [unrolled: 2-line block ×3, first 2 shown]
	v_cndmask_b32_e64 v5, v35, v36, s3
	v_cndmask_b32_e64 v6, v37, v38, s3
	;; [unrolled: 1-line block ×3, first 2 shown]
	s_waitcnt lgkmcnt(10)
	v_cndmask_b32_e64 v2, v28, v43, s1
	s_waitcnt lgkmcnt(8)
	v_cndmask_b32_e64 v27, v41, v29, s3
	v_cndmask_b32_e64 v3, v3, v7, s2
	s_mov_b32 s16, 0
	s_waitcnt lgkmcnt(7)
	v_cndmask_b32_e64 v5, v5, v30, s2
	s_waitcnt lgkmcnt(0)
	v_cndmask_b32_e64 v6, v6, v31, s2
	v_cndmask_b32_e64 v7, v26, v32, s2
	;; [unrolled: 1-line block ×8, first 2 shown]
	s_barrier
	s_branch .LBB13_4
.LBB13_3:                               ;   in Loop: Header=BB13_4 Depth=2
	v_lshlrev_b32_e32 v4, 2, v38
	v_lshlrev_b32_e32 v5, 2, v36
	;; [unrolled: 1-line block ×4, first 2 shown]
	s_barrier
	buffer_gl0_inv
	ds_store_b32 v4, v26
	ds_store_b32 v5, v33
	;; [unrolled: 1-line block ×4, first 2 shown]
	s_waitcnt lgkmcnt(0)
	s_barrier
	buffer_gl0_inv
	ds_load_2addr_b32 v[0:1], v23 offset1:32
	ds_load_2addr_b32 v[2:3], v23 offset0:64 offset1:96
	s_waitcnt lgkmcnt(0)
	s_barrier
	buffer_gl0_inv
	ds_store_b32 v4, v31
	ds_store_b32 v5, v29
	ds_store_b32 v6, v28
	ds_store_b32 v7, v27
	s_waitcnt lgkmcnt(0)
	s_barrier
	buffer_gl0_inv
	ds_load_2addr_b32 v[4:5], v23 offset1:32
	ds_load_2addr_b32 v[6:7], v23 offset0:64 offset1:96
	s_add_i32 s16, s16, 8
	s_waitcnt lgkmcnt(0)
	s_barrier
	s_cbranch_execz .LBB13_1
.LBB13_4:                               ;   Parent Loop BB13_2 Depth=1
                                        ; =>  This Inner Loop Header: Depth=2
	v_mov_b32_e32 v26, v0
	buffer_gl0_inv
	ds_store_2addr_b64 v17, v[11:12], v[9:10] offset0:2 offset1:3
	ds_store_2addr_b64 v18, v[11:12], v[9:10] offset0:2 offset1:3
	s_waitcnt lgkmcnt(0)
	s_barrier
	v_lshrrev_b32_e32 v27, s16, v26
	buffer_gl0_inv
	; wave barrier
	v_lshlrev_b32_e32 v29, 30, v27
	v_bfe_u32 v0, v26, s16, 1
	v_lshlrev_b32_e32 v30, 29, v27
	v_lshlrev_b32_e32 v31, 28, v27
	;; [unrolled: 1-line block ×4, first 2 shown]
	v_add_co_u32 v0, s15, v0, -1
	s_delay_alu instid0(VALU_DEP_1) | instskip(SKIP_3) | instid1(VALU_DEP_4)
	v_cndmask_b32_e64 v28, 0, 1, s15
	v_cmp_gt_i32_e64 s15, 0, v29
	v_lshlrev_b32_e32 v34, 25, v27
	v_lshlrev_b32_e32 v27, 24, v27
	v_cmp_ne_u32_e32 vcc_lo, 0, v28
	v_not_b32_e32 v28, v29
	v_not_b32_e32 v29, v30
	v_xor_b32_e32 v0, vcc_lo, v0
	s_delay_alu instid0(VALU_DEP_3)
	v_ashrrev_i32_e32 v28, 31, v28
	v_cmp_gt_i32_e32 vcc_lo, 0, v30
	v_not_b32_e32 v30, v31
	v_ashrrev_i32_e32 v29, 31, v29
	v_and_b32_e32 v0, exec_lo, v0
	v_xor_b32_e32 v28, s15, v28
	v_cmp_gt_i32_e64 s15, 0, v31
	v_ashrrev_i32_e32 v30, 31, v30
	v_xor_b32_e32 v29, vcc_lo, v29
	s_delay_alu instid0(VALU_DEP_4) | instskip(SKIP_1) | instid1(VALU_DEP_4)
	v_and_b32_e32 v0, v0, v28
	v_not_b32_e32 v28, v33
	v_xor_b32_e32 v30, s15, v30
	v_cmp_gt_i32_e64 s15, 0, v33
	s_delay_alu instid0(VALU_DEP_4) | instskip(NEXT) | instid1(VALU_DEP_4)
	v_dual_mov_b32 v33, v1 :: v_dual_and_b32 v0, v0, v29
	v_ashrrev_i32_e32 v28, 31, v28
	v_not_b32_e32 v29, v34
	v_bfe_u32 v1, v26, s16, 8
	s_delay_alu instid0(VALU_DEP_4)
	v_and_b32_e32 v0, v0, v30
	v_not_b32_e32 v30, v27
	v_xor_b32_e32 v28, s15, v28
	v_cmp_gt_i32_e64 s15, 0, v27
	v_ashrrev_i32_e32 v29, 31, v29
	v_lshl_add_u32 v1, v1, 2, v24
	v_ashrrev_i32_e32 v27, 31, v30
	v_mov_b32_e32 v30, v3
	s_delay_alu instid0(VALU_DEP_3) | instskip(NEXT) | instid1(VALU_DEP_3)
	v_lshl_add_u32 v35, v1, 2, 16
	v_xor_b32_e32 v3, s15, v27
	v_mov_b32_e32 v27, v7
	v_not_b32_e32 v31, v32
	v_cmp_gt_i32_e32 vcc_lo, 0, v32
	v_mov_b32_e32 v32, v2
	s_delay_alu instid0(VALU_DEP_3) | instskip(NEXT) | instid1(VALU_DEP_1)
	v_ashrrev_i32_e32 v31, 31, v31
	v_xor_b32_e32 v31, vcc_lo, v31
	v_cmp_gt_i32_e32 vcc_lo, 0, v34
	s_delay_alu instid0(VALU_DEP_2) | instskip(SKIP_2) | instid1(VALU_DEP_3)
	v_and_b32_e32 v0, v0, v31
	v_mov_b32_e32 v31, v4
	v_xor_b32_e32 v29, vcc_lo, v29
	v_and_b32_e32 v0, v0, v28
	v_mov_b32_e32 v28, v6
	s_delay_alu instid0(VALU_DEP_2) | instskip(NEXT) | instid1(VALU_DEP_1)
	v_dual_mov_b32 v29, v5 :: v_dual_and_b32 v0, v0, v29
	v_and_b32_e32 v0, v0, v3
	s_delay_alu instid0(VALU_DEP_1) | instskip(SKIP_1) | instid1(VALU_DEP_2)
	v_mbcnt_lo_u32_b32 v34, v0, 0
	v_cmp_ne_u32_e64 s15, 0, v0
	v_cmp_eq_u32_e32 vcc_lo, 0, v34
	s_delay_alu instid0(VALU_DEP_2) | instskip(NEXT) | instid1(SALU_CYCLE_1)
	s_and_b32 s17, s15, vcc_lo
	s_and_saveexec_b32 s15, s17
	s_cbranch_execz .LBB13_6
; %bb.5:                                ;   in Loop: Header=BB13_4 Depth=2
	v_bcnt_u32_b32 v0, v0, 0
	ds_store_b32 v35, v0
.LBB13_6:                               ;   in Loop: Header=BB13_4 Depth=2
	s_or_b32 exec_lo, exec_lo, s15
	v_bfe_u32 v0, v33, s16, 1
	v_lshrrev_b32_e32 v1, s16, v33
	; wave barrier
	s_delay_alu instid0(VALU_DEP_2) | instskip(NEXT) | instid1(VALU_DEP_1)
	v_add_co_u32 v0, s15, v0, -1
	v_cndmask_b32_e64 v2, 0, 1, s15
	s_delay_alu instid0(VALU_DEP_3)
	v_lshlrev_b32_e32 v3, 30, v1
	v_lshlrev_b32_e32 v4, 29, v1
	;; [unrolled: 1-line block ×4, first 2 shown]
	v_cmp_ne_u32_e32 vcc_lo, 0, v2
	v_not_b32_e32 v2, v3
	v_cmp_gt_i32_e64 s15, 0, v3
	v_not_b32_e32 v3, v4
	v_lshlrev_b32_e32 v7, 26, v1
	v_xor_b32_e32 v0, vcc_lo, v0
	v_ashrrev_i32_e32 v2, 31, v2
	v_cmp_gt_i32_e32 vcc_lo, 0, v4
	v_not_b32_e32 v4, v5
	v_ashrrev_i32_e32 v3, 31, v3
	v_and_b32_e32 v0, exec_lo, v0
	v_xor_b32_e32 v2, s15, v2
	v_cmp_gt_i32_e64 s15, 0, v5
	v_not_b32_e32 v5, v6
	v_ashrrev_i32_e32 v4, 31, v4
	v_xor_b32_e32 v3, vcc_lo, v3
	v_and_b32_e32 v0, v0, v2
	v_cmp_gt_i32_e32 vcc_lo, 0, v6
	v_not_b32_e32 v2, v7
	v_ashrrev_i32_e32 v5, 31, v5
	v_xor_b32_e32 v4, s15, v4
	v_and_b32_e32 v0, v0, v3
	v_lshlrev_b32_e32 v3, 25, v1
	v_cmp_gt_i32_e64 s15, 0, v7
	v_ashrrev_i32_e32 v2, 31, v2
	v_xor_b32_e32 v5, vcc_lo, v5
	v_and_b32_e32 v0, v0, v4
	v_not_b32_e32 v6, v3
	v_lshlrev_b32_e32 v1, 24, v1
	v_bfe_u32 v4, v33, s16, 8
	v_xor_b32_e32 v2, s15, v2
	v_and_b32_e32 v0, v0, v5
	v_cmp_gt_i32_e32 vcc_lo, 0, v3
	v_ashrrev_i32_e32 v3, 31, v6
	v_not_b32_e32 v5, v1
	v_lshlrev_b32_e32 v4, 2, v4
	v_and_b32_e32 v0, v0, v2
	s_delay_alu instid0(VALU_DEP_4) | instskip(SKIP_3) | instid1(VALU_DEP_4)
	v_xor_b32_e32 v2, vcc_lo, v3
	v_cmp_gt_i32_e32 vcc_lo, 0, v1
	v_ashrrev_i32_e32 v1, 31, v5
	v_add_lshl_u32 v3, v4, v24, 2
	v_and_b32_e32 v0, v0, v2
	s_delay_alu instid0(VALU_DEP_3) | instskip(SKIP_3) | instid1(VALU_DEP_1)
	v_xor_b32_e32 v1, vcc_lo, v1
	ds_load_b32 v36, v3 offset:16
	v_add_nc_u32_e32 v38, 16, v3
	; wave barrier
	v_and_b32_e32 v0, v0, v1
	v_mbcnt_lo_u32_b32 v37, v0, 0
	v_cmp_ne_u32_e64 s15, 0, v0
	s_delay_alu instid0(VALU_DEP_2) | instskip(NEXT) | instid1(VALU_DEP_2)
	v_cmp_eq_u32_e32 vcc_lo, 0, v37
	s_and_b32 s17, s15, vcc_lo
	s_delay_alu instid0(SALU_CYCLE_1)
	s_and_saveexec_b32 s15, s17
	s_cbranch_execz .LBB13_8
; %bb.7:                                ;   in Loop: Header=BB13_4 Depth=2
	s_waitcnt lgkmcnt(0)
	v_bcnt_u32_b32 v0, v0, v36
	ds_store_b32 v38, v0
.LBB13_8:                               ;   in Loop: Header=BB13_4 Depth=2
	s_or_b32 exec_lo, exec_lo, s15
	v_bfe_u32 v0, v32, s16, 1
	v_lshrrev_b32_e32 v1, s16, v32
	; wave barrier
	s_delay_alu instid0(VALU_DEP_2) | instskip(NEXT) | instid1(VALU_DEP_1)
	v_add_co_u32 v0, s15, v0, -1
	v_cndmask_b32_e64 v2, 0, 1, s15
	s_delay_alu instid0(VALU_DEP_3)
	v_lshlrev_b32_e32 v3, 30, v1
	v_lshlrev_b32_e32 v4, 29, v1
	v_lshlrev_b32_e32 v5, 28, v1
	v_lshlrev_b32_e32 v6, 27, v1
	v_cmp_ne_u32_e32 vcc_lo, 0, v2
	v_not_b32_e32 v2, v3
	v_cmp_gt_i32_e64 s15, 0, v3
	v_not_b32_e32 v3, v4
	v_lshlrev_b32_e32 v7, 26, v1
	v_xor_b32_e32 v0, vcc_lo, v0
	v_ashrrev_i32_e32 v2, 31, v2
	v_cmp_gt_i32_e32 vcc_lo, 0, v4
	v_not_b32_e32 v4, v5
	v_ashrrev_i32_e32 v3, 31, v3
	v_and_b32_e32 v0, exec_lo, v0
	v_xor_b32_e32 v2, s15, v2
	v_cmp_gt_i32_e64 s15, 0, v5
	v_not_b32_e32 v5, v6
	v_ashrrev_i32_e32 v4, 31, v4
	v_xor_b32_e32 v3, vcc_lo, v3
	v_and_b32_e32 v0, v0, v2
	v_cmp_gt_i32_e32 vcc_lo, 0, v6
	v_not_b32_e32 v2, v7
	v_ashrrev_i32_e32 v5, 31, v5
	v_xor_b32_e32 v4, s15, v4
	v_and_b32_e32 v0, v0, v3
	v_lshlrev_b32_e32 v3, 25, v1
	v_cmp_gt_i32_e64 s15, 0, v7
	v_ashrrev_i32_e32 v2, 31, v2
	v_xor_b32_e32 v5, vcc_lo, v5
	v_and_b32_e32 v0, v0, v4
	v_not_b32_e32 v6, v3
	v_lshlrev_b32_e32 v1, 24, v1
	v_bfe_u32 v4, v32, s16, 8
	v_xor_b32_e32 v2, s15, v2
	v_and_b32_e32 v0, v0, v5
	v_cmp_gt_i32_e32 vcc_lo, 0, v3
	v_ashrrev_i32_e32 v3, 31, v6
	v_not_b32_e32 v5, v1
	v_lshlrev_b32_e32 v4, 2, v4
	v_and_b32_e32 v0, v0, v2
	s_delay_alu instid0(VALU_DEP_4) | instskip(SKIP_3) | instid1(VALU_DEP_4)
	v_xor_b32_e32 v2, vcc_lo, v3
	v_cmp_gt_i32_e32 vcc_lo, 0, v1
	v_ashrrev_i32_e32 v1, 31, v5
	v_add_lshl_u32 v3, v4, v24, 2
	v_and_b32_e32 v0, v0, v2
	s_delay_alu instid0(VALU_DEP_3) | instskip(SKIP_3) | instid1(VALU_DEP_1)
	v_xor_b32_e32 v1, vcc_lo, v1
	ds_load_b32 v39, v3 offset:16
	v_add_nc_u32_e32 v41, 16, v3
	; wave barrier
	v_and_b32_e32 v0, v0, v1
	v_mbcnt_lo_u32_b32 v40, v0, 0
	v_cmp_ne_u32_e64 s15, 0, v0
	s_delay_alu instid0(VALU_DEP_2) | instskip(NEXT) | instid1(VALU_DEP_2)
	v_cmp_eq_u32_e32 vcc_lo, 0, v40
	s_and_b32 s17, s15, vcc_lo
	s_delay_alu instid0(SALU_CYCLE_1)
	s_and_saveexec_b32 s15, s17
	s_cbranch_execz .LBB13_10
; %bb.9:                                ;   in Loop: Header=BB13_4 Depth=2
	s_waitcnt lgkmcnt(0)
	v_bcnt_u32_b32 v0, v0, v39
	ds_store_b32 v41, v0
.LBB13_10:                              ;   in Loop: Header=BB13_4 Depth=2
	s_or_b32 exec_lo, exec_lo, s15
	v_bfe_u32 v0, v30, s16, 1
	v_lshrrev_b32_e32 v1, s16, v30
	; wave barrier
	s_delay_alu instid0(VALU_DEP_2) | instskip(NEXT) | instid1(VALU_DEP_1)
	v_add_co_u32 v0, s15, v0, -1
	v_cndmask_b32_e64 v2, 0, 1, s15
	s_delay_alu instid0(VALU_DEP_3)
	v_lshlrev_b32_e32 v3, 30, v1
	v_lshlrev_b32_e32 v4, 29, v1
	;; [unrolled: 1-line block ×4, first 2 shown]
	v_cmp_ne_u32_e32 vcc_lo, 0, v2
	v_not_b32_e32 v2, v3
	v_cmp_gt_i32_e64 s15, 0, v3
	v_not_b32_e32 v3, v4
	v_lshlrev_b32_e32 v7, 26, v1
	v_xor_b32_e32 v0, vcc_lo, v0
	v_ashrrev_i32_e32 v2, 31, v2
	v_cmp_gt_i32_e32 vcc_lo, 0, v4
	v_not_b32_e32 v4, v5
	v_ashrrev_i32_e32 v3, 31, v3
	v_and_b32_e32 v0, exec_lo, v0
	v_xor_b32_e32 v2, s15, v2
	v_cmp_gt_i32_e64 s15, 0, v5
	v_not_b32_e32 v5, v6
	v_ashrrev_i32_e32 v4, 31, v4
	v_xor_b32_e32 v3, vcc_lo, v3
	v_and_b32_e32 v0, v0, v2
	v_cmp_gt_i32_e32 vcc_lo, 0, v6
	v_not_b32_e32 v2, v7
	v_ashrrev_i32_e32 v5, 31, v5
	v_xor_b32_e32 v4, s15, v4
	v_and_b32_e32 v0, v0, v3
	v_lshlrev_b32_e32 v3, 25, v1
	v_cmp_gt_i32_e64 s15, 0, v7
	v_ashrrev_i32_e32 v2, 31, v2
	v_xor_b32_e32 v5, vcc_lo, v5
	v_and_b32_e32 v0, v0, v4
	v_not_b32_e32 v6, v3
	v_lshlrev_b32_e32 v1, 24, v1
	v_bfe_u32 v4, v30, s16, 8
	v_xor_b32_e32 v2, s15, v2
	v_and_b32_e32 v0, v0, v5
	v_cmp_gt_i32_e32 vcc_lo, 0, v3
	v_ashrrev_i32_e32 v3, 31, v6
	v_not_b32_e32 v5, v1
	v_lshlrev_b32_e32 v4, 2, v4
	v_and_b32_e32 v0, v0, v2
	s_delay_alu instid0(VALU_DEP_4) | instskip(SKIP_3) | instid1(VALU_DEP_4)
	v_xor_b32_e32 v2, vcc_lo, v3
	v_cmp_gt_i32_e32 vcc_lo, 0, v1
	v_ashrrev_i32_e32 v1, 31, v5
	v_add_lshl_u32 v3, v4, v24, 2
	v_and_b32_e32 v0, v0, v2
	s_delay_alu instid0(VALU_DEP_3) | instskip(SKIP_3) | instid1(VALU_DEP_1)
	v_xor_b32_e32 v1, vcc_lo, v1
	ds_load_b32 v42, v3 offset:16
	v_add_nc_u32_e32 v44, 16, v3
	; wave barrier
	v_and_b32_e32 v0, v0, v1
	v_mbcnt_lo_u32_b32 v43, v0, 0
	v_cmp_ne_u32_e64 s15, 0, v0
	s_delay_alu instid0(VALU_DEP_2) | instskip(NEXT) | instid1(VALU_DEP_2)
	v_cmp_eq_u32_e32 vcc_lo, 0, v43
	s_and_b32 s17, s15, vcc_lo
	s_delay_alu instid0(SALU_CYCLE_1)
	s_and_saveexec_b32 s15, s17
	s_cbranch_execz .LBB13_12
; %bb.11:                               ;   in Loop: Header=BB13_4 Depth=2
	s_waitcnt lgkmcnt(0)
	v_bcnt_u32_b32 v0, v0, v42
	ds_store_b32 v44, v0
.LBB13_12:                              ;   in Loop: Header=BB13_4 Depth=2
	s_or_b32 exec_lo, exec_lo, s15
	; wave barrier
	s_waitcnt lgkmcnt(0)
	s_barrier
	buffer_gl0_inv
	ds_load_2addr_b64 v[4:7], v17 offset0:2 offset1:3
	ds_load_2addr_b64 v[0:3], v18 offset0:2 offset1:3
	s_waitcnt lgkmcnt(1)
	v_add_nc_u32_e32 v45, v5, v4
	s_delay_alu instid0(VALU_DEP_1) | instskip(SKIP_1) | instid1(VALU_DEP_1)
	v_add3_u32 v45, v45, v6, v7
	s_waitcnt lgkmcnt(0)
	v_add3_u32 v45, v45, v0, v1
	s_delay_alu instid0(VALU_DEP_1) | instskip(NEXT) | instid1(VALU_DEP_1)
	v_add3_u32 v3, v45, v2, v3
	v_mov_b32_dpp v45, v3 row_shr:1 row_mask:0xf bank_mask:0xf
	s_delay_alu instid0(VALU_DEP_1) | instskip(NEXT) | instid1(VALU_DEP_1)
	v_cndmask_b32_e64 v45, v45, 0, s5
	v_add_nc_u32_e32 v3, v45, v3
	s_delay_alu instid0(VALU_DEP_1) | instskip(NEXT) | instid1(VALU_DEP_1)
	v_mov_b32_dpp v45, v3 row_shr:2 row_mask:0xf bank_mask:0xf
	v_cndmask_b32_e64 v45, 0, v45, s6
	s_delay_alu instid0(VALU_DEP_1) | instskip(NEXT) | instid1(VALU_DEP_1)
	v_add_nc_u32_e32 v3, v3, v45
	v_mov_b32_dpp v45, v3 row_shr:4 row_mask:0xf bank_mask:0xf
	s_delay_alu instid0(VALU_DEP_1) | instskip(NEXT) | instid1(VALU_DEP_1)
	v_cndmask_b32_e64 v45, 0, v45, s7
	v_add_nc_u32_e32 v3, v3, v45
	s_delay_alu instid0(VALU_DEP_1) | instskip(NEXT) | instid1(VALU_DEP_1)
	v_mov_b32_dpp v45, v3 row_shr:8 row_mask:0xf bank_mask:0xf
	v_cndmask_b32_e64 v45, 0, v45, s8
	s_delay_alu instid0(VALU_DEP_1) | instskip(SKIP_3) | instid1(VALU_DEP_1)
	v_add_nc_u32_e32 v3, v3, v45
	ds_swizzle_b32 v45, v3 offset:swizzle(BROADCAST,32,15)
	s_waitcnt lgkmcnt(0)
	v_cndmask_b32_e64 v45, v45, 0, s9
	v_add_nc_u32_e32 v3, v3, v45
	s_and_saveexec_b32 s15, s14
	s_cbranch_execz .LBB13_14
; %bb.13:                               ;   in Loop: Header=BB13_4 Depth=2
	ds_store_b32 v19, v3
.LBB13_14:                              ;   in Loop: Header=BB13_4 Depth=2
	s_or_b32 exec_lo, exec_lo, s15
	s_waitcnt lgkmcnt(0)
	s_barrier
	buffer_gl0_inv
	s_and_saveexec_b32 s15, s10
	s_cbranch_execz .LBB13_16
; %bb.15:                               ;   in Loop: Header=BB13_4 Depth=2
	ds_load_b32 v45, v21
	s_waitcnt lgkmcnt(0)
	v_mov_b32_dpp v46, v45 row_shr:1 row_mask:0xf bank_mask:0xf
	s_delay_alu instid0(VALU_DEP_1) | instskip(NEXT) | instid1(VALU_DEP_1)
	v_cndmask_b32_e64 v46, v46, 0, s4
	v_add_nc_u32_e32 v45, v46, v45
	s_delay_alu instid0(VALU_DEP_1) | instskip(NEXT) | instid1(VALU_DEP_1)
	v_mov_b32_dpp v46, v45 row_shr:2 row_mask:0xf bank_mask:0xf
	v_cndmask_b32_e64 v46, 0, v46, s13
	s_delay_alu instid0(VALU_DEP_1)
	v_add_nc_u32_e32 v45, v45, v46
	ds_store_b32 v21, v45
.LBB13_16:                              ;   in Loop: Header=BB13_4 Depth=2
	s_or_b32 exec_lo, exec_lo, s15
	v_mov_b32_e32 v45, 0
	s_waitcnt lgkmcnt(0)
	s_barrier
	buffer_gl0_inv
	s_and_saveexec_b32 s15, s11
	s_cbranch_execz .LBB13_18
; %bb.17:                               ;   in Loop: Header=BB13_4 Depth=2
	ds_load_b32 v45, v22
.LBB13_18:                              ;   in Loop: Header=BB13_4 Depth=2
	s_or_b32 exec_lo, exec_lo, s15
	s_waitcnt lgkmcnt(0)
	v_add_nc_u32_e32 v3, v45, v3
	s_cmp_gt_u32 s16, 23
	ds_bpermute_b32 v3, v20, v3
	s_waitcnt lgkmcnt(0)
	v_cndmask_b32_e64 v3, v3, v45, s0
	s_delay_alu instid0(VALU_DEP_1) | instskip(NEXT) | instid1(VALU_DEP_1)
	v_cndmask_b32_e64 v3, v3, 0, s12
	v_add_nc_u32_e32 v4, v3, v4
	s_delay_alu instid0(VALU_DEP_1) | instskip(NEXT) | instid1(VALU_DEP_1)
	v_add_nc_u32_e32 v5, v4, v5
	v_add_nc_u32_e32 v6, v5, v6
	s_delay_alu instid0(VALU_DEP_1) | instskip(NEXT) | instid1(VALU_DEP_1)
	v_add_nc_u32_e32 v45, v6, v7
	;; [unrolled: 3-line block ×3, first 2 shown]
	v_add_nc_u32_e32 v1, v0, v2
	ds_store_2addr_b64 v17, v[3:4], v[5:6] offset0:2 offset1:3
	ds_store_2addr_b64 v18, v[45:46], v[0:1] offset0:2 offset1:3
	s_waitcnt lgkmcnt(0)
	s_barrier
	buffer_gl0_inv
	ds_load_b32 v0, v35
	ds_load_b32 v1, v38
	;; [unrolled: 1-line block ×4, first 2 shown]
	s_waitcnt lgkmcnt(3)
	v_add_nc_u32_e32 v38, v0, v34
	s_waitcnt lgkmcnt(2)
	v_add3_u32 v36, v37, v36, v1
	s_waitcnt lgkmcnt(1)
	v_add3_u32 v35, v40, v39, v2
	s_waitcnt lgkmcnt(0)
	v_add3_u32 v34, v43, v42, v3
	s_cbranch_scc0 .LBB13_3
; %bb.19:                               ;   in Loop: Header=BB13_2 Depth=1
                                        ; implicit-def: $vgpr3
                                        ; implicit-def: $vgpr1
                                        ; implicit-def: $vgpr7
                                        ; implicit-def: $vgpr5
                                        ; implicit-def: $sgpr16
	s_branch .LBB13_1
.LBB13_20:
	s_waitcnt lgkmcnt(0)
	v_add_nc_u32_e32 v0, v5, v0
	v_lshlrev_b32_e32 v5, 2, v8
	v_add_nc_u32_e32 v1, v6, v1
	v_add_nc_u32_e32 v2, v7, v2
	s_add_u32 s0, s18, s20
	v_add_nc_u32_e32 v3, v4, v3
	s_addc_u32 s1, s19, s21
	s_clause 0x3
	global_store_b32 v5, v0, s[0:1]
	global_store_b32 v5, v1, s[0:1] offset:512
	global_store_b32 v5, v2, s[0:1] offset:1024
	;; [unrolled: 1-line block ×3, first 2 shown]
	s_nop 0
	s_sendmsg sendmsg(MSG_DEALLOC_VGPRS)
	s_endpgm
	.section	.rodata,"a",@progbits
	.p2align	6, 0x0
	.amdhsa_kernel _Z17sort_pairs_kernelI22helper_blocked_blockediLj128ELj4ELj10EEvPKT0_PS1_
		.amdhsa_group_segment_fixed_size 4112
		.amdhsa_private_segment_fixed_size 0
		.amdhsa_kernarg_size 272
		.amdhsa_user_sgpr_count 15
		.amdhsa_user_sgpr_dispatch_ptr 0
		.amdhsa_user_sgpr_queue_ptr 0
		.amdhsa_user_sgpr_kernarg_segment_ptr 1
		.amdhsa_user_sgpr_dispatch_id 0
		.amdhsa_user_sgpr_private_segment_size 0
		.amdhsa_wavefront_size32 1
		.amdhsa_uses_dynamic_stack 0
		.amdhsa_enable_private_segment 0
		.amdhsa_system_sgpr_workgroup_id_x 1
		.amdhsa_system_sgpr_workgroup_id_y 0
		.amdhsa_system_sgpr_workgroup_id_z 0
		.amdhsa_system_sgpr_workgroup_info 0
		.amdhsa_system_vgpr_workitem_id 2
		.amdhsa_next_free_vgpr 47
		.amdhsa_next_free_sgpr 24
		.amdhsa_reserve_vcc 1
		.amdhsa_float_round_mode_32 0
		.amdhsa_float_round_mode_16_64 0
		.amdhsa_float_denorm_mode_32 3
		.amdhsa_float_denorm_mode_16_64 3
		.amdhsa_dx10_clamp 1
		.amdhsa_ieee_mode 1
		.amdhsa_fp16_overflow 0
		.amdhsa_workgroup_processor_mode 1
		.amdhsa_memory_ordered 1
		.amdhsa_forward_progress 0
		.amdhsa_shared_vgpr_count 0
		.amdhsa_exception_fp_ieee_invalid_op 0
		.amdhsa_exception_fp_denorm_src 0
		.amdhsa_exception_fp_ieee_div_zero 0
		.amdhsa_exception_fp_ieee_overflow 0
		.amdhsa_exception_fp_ieee_underflow 0
		.amdhsa_exception_fp_ieee_inexact 0
		.amdhsa_exception_int_div_zero 0
	.end_amdhsa_kernel
	.section	.text._Z17sort_pairs_kernelI22helper_blocked_blockediLj128ELj4ELj10EEvPKT0_PS1_,"axG",@progbits,_Z17sort_pairs_kernelI22helper_blocked_blockediLj128ELj4ELj10EEvPKT0_PS1_,comdat
.Lfunc_end13:
	.size	_Z17sort_pairs_kernelI22helper_blocked_blockediLj128ELj4ELj10EEvPKT0_PS1_, .Lfunc_end13-_Z17sort_pairs_kernelI22helper_blocked_blockediLj128ELj4ELj10EEvPKT0_PS1_
                                        ; -- End function
	.section	.AMDGPU.csdata,"",@progbits
; Kernel info:
; codeLenInByte = 3444
; NumSgprs: 26
; NumVgprs: 47
; ScratchSize: 0
; MemoryBound: 0
; FloatMode: 240
; IeeeMode: 1
; LDSByteSize: 4112 bytes/workgroup (compile time only)
; SGPRBlocks: 3
; VGPRBlocks: 5
; NumSGPRsForWavesPerEU: 26
; NumVGPRsForWavesPerEU: 47
; Occupancy: 16
; WaveLimiterHint : 1
; COMPUTE_PGM_RSRC2:SCRATCH_EN: 0
; COMPUTE_PGM_RSRC2:USER_SGPR: 15
; COMPUTE_PGM_RSRC2:TRAP_HANDLER: 0
; COMPUTE_PGM_RSRC2:TGID_X_EN: 1
; COMPUTE_PGM_RSRC2:TGID_Y_EN: 0
; COMPUTE_PGM_RSRC2:TGID_Z_EN: 0
; COMPUTE_PGM_RSRC2:TIDIG_COMP_CNT: 2
	.section	.text._Z16sort_keys_kernelI22helper_blocked_blockediLj128ELj8ELj10EEvPKT0_PS1_,"axG",@progbits,_Z16sort_keys_kernelI22helper_blocked_blockediLj128ELj8ELj10EEvPKT0_PS1_,comdat
	.protected	_Z16sort_keys_kernelI22helper_blocked_blockediLj128ELj8ELj10EEvPKT0_PS1_ ; -- Begin function _Z16sort_keys_kernelI22helper_blocked_blockediLj128ELj8ELj10EEvPKT0_PS1_
	.globl	_Z16sort_keys_kernelI22helper_blocked_blockediLj128ELj8ELj10EEvPKT0_PS1_
	.p2align	8
	.type	_Z16sort_keys_kernelI22helper_blocked_blockediLj128ELj8ELj10EEvPKT0_PS1_,@function
_Z16sort_keys_kernelI22helper_blocked_blockediLj128ELj8ELj10EEvPKT0_PS1_: ; @_Z16sort_keys_kernelI22helper_blocked_blockediLj128ELj8ELj10EEvPKT0_PS1_
; %bb.0:
	s_clause 0x1
	s_load_b128 s[16:19], s[0:1], 0x0
	s_load_b32 s2, s[0:1], 0x1c
	s_mov_b32 s13, 0
	s_lshl_b32 s12, s15, 10
	v_mbcnt_lo_u32_b32 v11, -1, 0
	s_lshl_b64 s[14:15], s[12:13], 2
	s_mov_b32 s12, s13
	v_and_b32_e32 v8, 0x3ff, v0
	v_bfe_u32 v9, v0, 10, 10
	v_bfe_u32 v0, v0, 20, 10
	v_cmp_eq_u32_e64 s8, 0, v11
	s_delay_alu instid0(VALU_DEP_4)
	v_lshlrev_b32_e32 v1, 2, v8
	v_lshlrev_b32_e32 v13, 3, v8
	s_waitcnt lgkmcnt(0)
	s_add_u32 s0, s16, s14
	s_addc_u32 s1, s17, s15
	s_mov_b32 s16, s13
	s_clause 0x7
	global_load_b32 v2, v1, s[0:1]
	global_load_b32 v3, v1, s[0:1] offset:512
	global_load_b32 v4, v1, s[0:1] offset:1024
	;; [unrolled: 1-line block ×7, first 2 shown]
	s_lshr_b32 s0, s2, 16
	s_mov_b32 s17, s13
	v_mad_u32_u24 v0, v0, s0, v9
	s_and_b32 s0, s2, 0xffff
	s_delay_alu instid0(VALU_DEP_1) | instid1(SALU_CYCLE_1)
	v_mad_u64_u32 v[9:10], null, v0, s0, v[8:9]
	v_and_or_b32 v0, 0x300, v13, v11
	v_and_b32_e32 v10, 15, v11
	s_delay_alu instid0(VALU_DEP_2) | instskip(NEXT) | instid1(VALU_DEP_4)
	v_lshlrev_b32_e32 v15, 2, v0
	v_lshrrev_b32_e32 v17, 5, v9
	v_add_nc_u32_e32 v9, -1, v11
	v_and_b32_e32 v0, 16, v11
	v_cmp_eq_u32_e64 s0, 0, v10
	v_cmp_lt_u32_e64 s1, 1, v10
	v_cmp_lt_u32_e64 s2, 3, v10
	v_cmp_gt_i32_e32 vcc_lo, 0, v9
	v_cmp_eq_u32_e64 s4, 0, v0
	v_cmp_lt_u32_e64 s3, 7, v10
	v_cndmask_b32_e32 v0, v9, v11, vcc_lo
	v_lshrrev_b32_e32 v9, 3, v8
	s_delay_alu instid0(VALU_DEP_2) | instskip(NEXT) | instid1(VALU_DEP_2)
	v_lshlrev_b32_e32 v18, 2, v0
	v_and_b32_e32 v19, 12, v9
	v_dual_mov_b32 v9, s12 :: v_dual_and_b32 v12, 0x60, v8
	v_lshlrev_b32_e32 v13, 5, v8
	v_and_b32_e32 v0, 3, v11
	v_cmp_gt_u32_e64 s6, 4, v8
	v_cmp_lt_u32_e64 s7, 31, v8
	v_or_b32_e32 v14, v11, v12
	v_or_b32_e32 v12, 31, v12
	v_cmp_eq_u32_e64 s10, 0, v0
	v_cmp_lt_u32_e64 s11, 1, v0
	v_mul_u32_u24_e32 v0, 28, v8
	v_lshlrev_b32_e32 v14, 5, v14
	v_cmp_eq_u32_e64 s5, v12, v8
	v_dual_mov_b32 v11, s16 :: v_dual_mov_b32 v12, s17
	v_mad_i32_i24 v20, 0xffffffe4, v8, v13
	v_or_b32_e32 v16, 16, v13
	v_cmp_eq_u32_e64 s9, 0, v8
	v_dual_mov_b32 v10, s13 :: v_dual_add_nc_u32 v21, -4, v19
	s_delay_alu instid0(VALU_DEP_4)
	v_add_nc_u32_e32 v22, v20, v0
	s_branch .LBB14_2
.LBB14_1:                               ;   in Loop: Header=BB14_2 Depth=1
	v_lshlrev_b32_e32 v0, 2, v41
	v_lshlrev_b32_e32 v1, 2, v38
	v_lshlrev_b32_e32 v2, 2, v36
	s_barrier
	buffer_gl0_inv
	ds_store_b32 v0, v23
	ds_store_b32 v1, v30
	;; [unrolled: 1-line block ×3, first 2 shown]
	v_lshlrev_b32_e32 v0, 2, v35
	v_lshlrev_b32_e32 v1, 2, v34
	;; [unrolled: 1-line block ×5, first 2 shown]
	ds_store_b32 v0, v28
	ds_store_b32 v1, v27
	;; [unrolled: 1-line block ×5, first 2 shown]
	s_waitcnt lgkmcnt(0)
	s_barrier
	buffer_gl0_inv
	ds_load_2addr_b64 v[2:5], v22 offset1:1
	ds_load_2addr_b64 v[23:26], v22 offset0:2 offset1:3
	s_add_i32 s13, s13, 1
	s_delay_alu instid0(SALU_CYCLE_1)
	s_cmp_eq_u32 s13, 10
	s_waitcnt lgkmcnt(1)
	v_xor_b32_e32 v2, 0x80000000, v2
	v_xor_b32_e32 v3, 0x80000000, v3
	;; [unrolled: 1-line block ×4, first 2 shown]
	s_waitcnt lgkmcnt(0)
	v_xor_b32_e32 v6, 0x80000000, v23
	v_xor_b32_e32 v7, 0x80000000, v24
	;; [unrolled: 1-line block ×4, first 2 shown]
	s_cbranch_scc1 .LBB14_28
.LBB14_2:                               ; =>This Loop Header: Depth=1
                                        ;     Child Loop BB14_4 Depth 2
	s_waitcnt vmcnt(7)
	v_xor_b32_e32 v2, 0x80000000, v2
	s_waitcnt vmcnt(6)
	v_xor_b32_e32 v3, 0x80000000, v3
	;; [unrolled: 2-line block ×8, first 2 shown]
	ds_store_2addr_b64 v14, v[2:3], v[4:5] offset1:1
	ds_store_2addr_b64 v14, v[6:7], v[0:1] offset0:2 offset1:3
	; wave barrier
	ds_load_2addr_b32 v[0:1], v15 offset1:32
	ds_load_2addr_b32 v[2:3], v15 offset0:64 offset1:96
	ds_load_2addr_b32 v[4:5], v15 offset0:128 offset1:160
	;; [unrolled: 1-line block ×3, first 2 shown]
	s_mov_b32 s16, 0
	s_waitcnt lgkmcnt(0)
	s_barrier
	buffer_gl0_inv
	; wave barrier
	s_barrier
	s_branch .LBB14_4
.LBB14_3:                               ;   in Loop: Header=BB14_4 Depth=2
	v_lshlrev_b32_e32 v0, 2, v41
	v_lshlrev_b32_e32 v1, 2, v38
	;; [unrolled: 1-line block ×3, first 2 shown]
	s_barrier
	buffer_gl0_inv
	ds_store_b32 v0, v23
	ds_store_b32 v1, v30
	;; [unrolled: 1-line block ×3, first 2 shown]
	v_lshlrev_b32_e32 v0, 2, v35
	v_lshlrev_b32_e32 v1, 2, v34
	;; [unrolled: 1-line block ×5, first 2 shown]
	ds_store_b32 v0, v28
	ds_store_b32 v1, v27
	;; [unrolled: 1-line block ×5, first 2 shown]
	s_waitcnt lgkmcnt(0)
	s_barrier
	buffer_gl0_inv
	ds_load_2addr_b32 v[0:1], v15 offset1:32
	ds_load_2addr_b32 v[2:3], v15 offset0:64 offset1:96
	ds_load_2addr_b32 v[4:5], v15 offset0:128 offset1:160
	;; [unrolled: 1-line block ×3, first 2 shown]
	s_add_i32 s16, s16, 8
	s_waitcnt lgkmcnt(0)
	s_barrier
	s_cbranch_execz .LBB14_1
.LBB14_4:                               ;   Parent Loop BB14_2 Depth=1
                                        ; =>  This Inner Loop Header: Depth=2
	v_mov_b32_e32 v23, v0
	buffer_gl0_inv
	ds_store_2addr_b64 v13, v[9:10], v[11:12] offset0:2 offset1:3
	ds_store_2addr_b64 v16, v[9:10], v[11:12] offset0:2 offset1:3
	s_waitcnt lgkmcnt(0)
	s_barrier
	v_lshrrev_b32_e32 v24, s16, v23
	buffer_gl0_inv
	; wave barrier
	v_lshlrev_b32_e32 v26, 30, v24
	v_bfe_u32 v0, v23, s16, 1
	v_lshlrev_b32_e32 v27, 29, v24
	v_lshlrev_b32_e32 v28, 28, v24
	;; [unrolled: 1-line block ×4, first 2 shown]
	v_add_co_u32 v0, s12, v0, -1
	s_delay_alu instid0(VALU_DEP_1) | instskip(SKIP_3) | instid1(VALU_DEP_4)
	v_cndmask_b32_e64 v25, 0, 1, s12
	v_cmp_gt_i32_e64 s12, 0, v26
	v_lshlrev_b32_e32 v31, 25, v24
	v_lshlrev_b32_e32 v24, 24, v24
	v_cmp_ne_u32_e32 vcc_lo, 0, v25
	v_not_b32_e32 v25, v26
	v_not_b32_e32 v26, v27
	v_xor_b32_e32 v0, vcc_lo, v0
	s_delay_alu instid0(VALU_DEP_3)
	v_ashrrev_i32_e32 v25, 31, v25
	v_cmp_gt_i32_e32 vcc_lo, 0, v27
	v_not_b32_e32 v27, v28
	v_ashrrev_i32_e32 v26, 31, v26
	v_and_b32_e32 v0, exec_lo, v0
	v_xor_b32_e32 v25, s12, v25
	v_cmp_gt_i32_e64 s12, 0, v28
	v_not_b32_e32 v28, v29
	v_ashrrev_i32_e32 v27, 31, v27
	v_xor_b32_e32 v26, vcc_lo, v26
	v_and_b32_e32 v0, v0, v25
	v_cmp_gt_i32_e32 vcc_lo, 0, v29
	v_mov_b32_e32 v29, v2
	v_ashrrev_i32_e32 v28, 31, v28
	v_xor_b32_e32 v27, s12, v27
	v_and_b32_e32 v0, v0, v26
	v_not_b32_e32 v25, v30
	v_cmp_gt_i32_e64 s12, 0, v30
	v_xor_b32_e32 v28, vcc_lo, v28
	v_mov_b32_e32 v30, v1
	v_and_b32_e32 v0, v0, v27
	v_ashrrev_i32_e32 v25, 31, v25
	v_not_b32_e32 v27, v24
	v_bfe_u32 v1, v23, s16, 8
	s_delay_alu instid0(VALU_DEP_4)
	v_and_b32_e32 v0, v0, v28
	v_mov_b32_e32 v28, v3
	v_not_b32_e32 v26, v31
	v_cmp_gt_i32_e32 vcc_lo, 0, v31
	v_xor_b32_e32 v25, s12, v25
	v_cmp_gt_i32_e64 s12, 0, v24
	v_ashrrev_i32_e32 v27, 31, v27
	v_ashrrev_i32_e32 v26, 31, v26
	v_mov_b32_e32 v24, v7
	v_and_b32_e32 v0, v0, v25
	v_lshl_add_u32 v1, v1, 2, v17
	v_xor_b32_e32 v7, s12, v27
	v_xor_b32_e32 v26, vcc_lo, v26
	v_mov_b32_e32 v25, v6
	v_mov_b32_e32 v27, v4
	v_lshl_add_u32 v32, v1, 2, 16
	s_delay_alu instid0(VALU_DEP_4) | instskip(SKIP_1) | instid1(VALU_DEP_2)
	v_and_b32_e32 v0, v0, v26
	v_mov_b32_e32 v26, v5
	v_and_b32_e32 v0, v0, v7
	s_delay_alu instid0(VALU_DEP_1) | instskip(SKIP_1) | instid1(VALU_DEP_2)
	v_mbcnt_lo_u32_b32 v31, v0, 0
	v_cmp_ne_u32_e64 s12, 0, v0
	v_cmp_eq_u32_e32 vcc_lo, 0, v31
	s_delay_alu instid0(VALU_DEP_2) | instskip(NEXT) | instid1(SALU_CYCLE_1)
	s_and_b32 s17, s12, vcc_lo
	s_and_saveexec_b32 s12, s17
	s_cbranch_execz .LBB14_6
; %bb.5:                                ;   in Loop: Header=BB14_4 Depth=2
	v_bcnt_u32_b32 v0, v0, 0
	ds_store_b32 v32, v0
.LBB14_6:                               ;   in Loop: Header=BB14_4 Depth=2
	s_or_b32 exec_lo, exec_lo, s12
	v_bfe_u32 v0, v30, s16, 1
	v_lshrrev_b32_e32 v1, s16, v30
	; wave barrier
	s_delay_alu instid0(VALU_DEP_2) | instskip(NEXT) | instid1(VALU_DEP_1)
	v_add_co_u32 v0, s12, v0, -1
	v_cndmask_b32_e64 v2, 0, 1, s12
	s_delay_alu instid0(VALU_DEP_3)
	v_lshlrev_b32_e32 v3, 30, v1
	v_lshlrev_b32_e32 v4, 29, v1
	;; [unrolled: 1-line block ×4, first 2 shown]
	v_cmp_ne_u32_e32 vcc_lo, 0, v2
	v_not_b32_e32 v2, v3
	v_cmp_gt_i32_e64 s12, 0, v3
	v_not_b32_e32 v3, v4
	v_lshlrev_b32_e32 v7, 26, v1
	v_xor_b32_e32 v0, vcc_lo, v0
	v_ashrrev_i32_e32 v2, 31, v2
	v_cmp_gt_i32_e32 vcc_lo, 0, v4
	v_not_b32_e32 v4, v5
	v_ashrrev_i32_e32 v3, 31, v3
	v_and_b32_e32 v0, exec_lo, v0
	v_xor_b32_e32 v2, s12, v2
	v_cmp_gt_i32_e64 s12, 0, v5
	v_not_b32_e32 v5, v6
	v_ashrrev_i32_e32 v4, 31, v4
	v_xor_b32_e32 v3, vcc_lo, v3
	v_and_b32_e32 v0, v0, v2
	v_cmp_gt_i32_e32 vcc_lo, 0, v6
	v_not_b32_e32 v2, v7
	v_ashrrev_i32_e32 v5, 31, v5
	v_xor_b32_e32 v4, s12, v4
	v_and_b32_e32 v0, v0, v3
	v_lshlrev_b32_e32 v3, 25, v1
	v_cmp_gt_i32_e64 s12, 0, v7
	v_ashrrev_i32_e32 v2, 31, v2
	v_xor_b32_e32 v5, vcc_lo, v5
	v_and_b32_e32 v0, v0, v4
	v_not_b32_e32 v6, v3
	v_lshlrev_b32_e32 v1, 24, v1
	v_bfe_u32 v4, v30, s16, 8
	v_xor_b32_e32 v2, s12, v2
	v_and_b32_e32 v0, v0, v5
	v_cmp_gt_i32_e32 vcc_lo, 0, v3
	v_ashrrev_i32_e32 v3, 31, v6
	v_not_b32_e32 v5, v1
	v_lshlrev_b32_e32 v4, 2, v4
	v_and_b32_e32 v0, v0, v2
	s_delay_alu instid0(VALU_DEP_4) | instskip(SKIP_3) | instid1(VALU_DEP_4)
	v_xor_b32_e32 v2, vcc_lo, v3
	v_cmp_gt_i32_e32 vcc_lo, 0, v1
	v_ashrrev_i32_e32 v1, 31, v5
	v_add_lshl_u32 v3, v4, v17, 2
	v_and_b32_e32 v0, v0, v2
	s_delay_alu instid0(VALU_DEP_3) | instskip(SKIP_3) | instid1(VALU_DEP_1)
	v_xor_b32_e32 v1, vcc_lo, v1
	ds_load_b32 v33, v3 offset:16
	v_add_nc_u32_e32 v35, 16, v3
	; wave barrier
	v_and_b32_e32 v0, v0, v1
	v_mbcnt_lo_u32_b32 v34, v0, 0
	v_cmp_ne_u32_e64 s12, 0, v0
	s_delay_alu instid0(VALU_DEP_2) | instskip(NEXT) | instid1(VALU_DEP_2)
	v_cmp_eq_u32_e32 vcc_lo, 0, v34
	s_and_b32 s17, s12, vcc_lo
	s_delay_alu instid0(SALU_CYCLE_1)
	s_and_saveexec_b32 s12, s17
	s_cbranch_execz .LBB14_8
; %bb.7:                                ;   in Loop: Header=BB14_4 Depth=2
	s_waitcnt lgkmcnt(0)
	v_bcnt_u32_b32 v0, v0, v33
	ds_store_b32 v35, v0
.LBB14_8:                               ;   in Loop: Header=BB14_4 Depth=2
	s_or_b32 exec_lo, exec_lo, s12
	v_bfe_u32 v0, v29, s16, 1
	v_lshrrev_b32_e32 v1, s16, v29
	; wave barrier
	s_delay_alu instid0(VALU_DEP_2) | instskip(NEXT) | instid1(VALU_DEP_1)
	v_add_co_u32 v0, s12, v0, -1
	v_cndmask_b32_e64 v2, 0, 1, s12
	s_delay_alu instid0(VALU_DEP_3)
	v_lshlrev_b32_e32 v3, 30, v1
	v_lshlrev_b32_e32 v4, 29, v1
	;; [unrolled: 1-line block ×4, first 2 shown]
	v_cmp_ne_u32_e32 vcc_lo, 0, v2
	v_not_b32_e32 v2, v3
	v_cmp_gt_i32_e64 s12, 0, v3
	v_not_b32_e32 v3, v4
	v_lshlrev_b32_e32 v7, 26, v1
	v_xor_b32_e32 v0, vcc_lo, v0
	v_ashrrev_i32_e32 v2, 31, v2
	v_cmp_gt_i32_e32 vcc_lo, 0, v4
	v_not_b32_e32 v4, v5
	v_ashrrev_i32_e32 v3, 31, v3
	v_and_b32_e32 v0, exec_lo, v0
	v_xor_b32_e32 v2, s12, v2
	v_cmp_gt_i32_e64 s12, 0, v5
	v_not_b32_e32 v5, v6
	v_ashrrev_i32_e32 v4, 31, v4
	v_xor_b32_e32 v3, vcc_lo, v3
	v_and_b32_e32 v0, v0, v2
	v_cmp_gt_i32_e32 vcc_lo, 0, v6
	v_not_b32_e32 v2, v7
	v_ashrrev_i32_e32 v5, 31, v5
	v_xor_b32_e32 v4, s12, v4
	v_and_b32_e32 v0, v0, v3
	v_lshlrev_b32_e32 v3, 25, v1
	v_cmp_gt_i32_e64 s12, 0, v7
	v_ashrrev_i32_e32 v2, 31, v2
	v_xor_b32_e32 v5, vcc_lo, v5
	v_and_b32_e32 v0, v0, v4
	v_not_b32_e32 v6, v3
	v_lshlrev_b32_e32 v1, 24, v1
	v_bfe_u32 v4, v29, s16, 8
	v_xor_b32_e32 v2, s12, v2
	v_and_b32_e32 v0, v0, v5
	v_cmp_gt_i32_e32 vcc_lo, 0, v3
	v_ashrrev_i32_e32 v3, 31, v6
	v_not_b32_e32 v5, v1
	v_lshlrev_b32_e32 v4, 2, v4
	v_and_b32_e32 v0, v0, v2
	s_delay_alu instid0(VALU_DEP_4) | instskip(SKIP_3) | instid1(VALU_DEP_4)
	v_xor_b32_e32 v2, vcc_lo, v3
	v_cmp_gt_i32_e32 vcc_lo, 0, v1
	v_ashrrev_i32_e32 v1, 31, v5
	v_add_lshl_u32 v3, v4, v17, 2
	v_and_b32_e32 v0, v0, v2
	s_delay_alu instid0(VALU_DEP_3) | instskip(SKIP_3) | instid1(VALU_DEP_1)
	v_xor_b32_e32 v1, vcc_lo, v1
	ds_load_b32 v36, v3 offset:16
	v_add_nc_u32_e32 v38, 16, v3
	; wave barrier
	v_and_b32_e32 v0, v0, v1
	v_mbcnt_lo_u32_b32 v37, v0, 0
	v_cmp_ne_u32_e64 s12, 0, v0
	s_delay_alu instid0(VALU_DEP_2) | instskip(NEXT) | instid1(VALU_DEP_2)
	v_cmp_eq_u32_e32 vcc_lo, 0, v37
	s_and_b32 s17, s12, vcc_lo
	s_delay_alu instid0(SALU_CYCLE_1)
	s_and_saveexec_b32 s12, s17
	s_cbranch_execz .LBB14_10
; %bb.9:                                ;   in Loop: Header=BB14_4 Depth=2
	s_waitcnt lgkmcnt(0)
	v_bcnt_u32_b32 v0, v0, v36
	ds_store_b32 v38, v0
.LBB14_10:                              ;   in Loop: Header=BB14_4 Depth=2
	s_or_b32 exec_lo, exec_lo, s12
	v_bfe_u32 v0, v28, s16, 1
	v_lshrrev_b32_e32 v1, s16, v28
	; wave barrier
	s_delay_alu instid0(VALU_DEP_2) | instskip(NEXT) | instid1(VALU_DEP_1)
	v_add_co_u32 v0, s12, v0, -1
	v_cndmask_b32_e64 v2, 0, 1, s12
	s_delay_alu instid0(VALU_DEP_3)
	v_lshlrev_b32_e32 v3, 30, v1
	v_lshlrev_b32_e32 v4, 29, v1
	v_lshlrev_b32_e32 v5, 28, v1
	v_lshlrev_b32_e32 v6, 27, v1
	v_cmp_ne_u32_e32 vcc_lo, 0, v2
	v_not_b32_e32 v2, v3
	v_cmp_gt_i32_e64 s12, 0, v3
	v_not_b32_e32 v3, v4
	v_lshlrev_b32_e32 v7, 26, v1
	v_xor_b32_e32 v0, vcc_lo, v0
	v_ashrrev_i32_e32 v2, 31, v2
	v_cmp_gt_i32_e32 vcc_lo, 0, v4
	v_not_b32_e32 v4, v5
	v_ashrrev_i32_e32 v3, 31, v3
	v_and_b32_e32 v0, exec_lo, v0
	v_xor_b32_e32 v2, s12, v2
	v_cmp_gt_i32_e64 s12, 0, v5
	v_not_b32_e32 v5, v6
	v_ashrrev_i32_e32 v4, 31, v4
	v_xor_b32_e32 v3, vcc_lo, v3
	v_and_b32_e32 v0, v0, v2
	v_cmp_gt_i32_e32 vcc_lo, 0, v6
	v_not_b32_e32 v2, v7
	v_ashrrev_i32_e32 v5, 31, v5
	v_xor_b32_e32 v4, s12, v4
	v_and_b32_e32 v0, v0, v3
	v_lshlrev_b32_e32 v3, 25, v1
	v_cmp_gt_i32_e64 s12, 0, v7
	v_ashrrev_i32_e32 v2, 31, v2
	v_xor_b32_e32 v5, vcc_lo, v5
	v_and_b32_e32 v0, v0, v4
	v_not_b32_e32 v6, v3
	v_lshlrev_b32_e32 v1, 24, v1
	v_bfe_u32 v4, v28, s16, 8
	v_xor_b32_e32 v2, s12, v2
	v_and_b32_e32 v0, v0, v5
	v_cmp_gt_i32_e32 vcc_lo, 0, v3
	v_ashrrev_i32_e32 v3, 31, v6
	v_not_b32_e32 v5, v1
	v_lshlrev_b32_e32 v4, 2, v4
	v_and_b32_e32 v0, v0, v2
	s_delay_alu instid0(VALU_DEP_4) | instskip(SKIP_3) | instid1(VALU_DEP_4)
	v_xor_b32_e32 v2, vcc_lo, v3
	v_cmp_gt_i32_e32 vcc_lo, 0, v1
	v_ashrrev_i32_e32 v1, 31, v5
	v_add_lshl_u32 v3, v4, v17, 2
	v_and_b32_e32 v0, v0, v2
	s_delay_alu instid0(VALU_DEP_3) | instskip(SKIP_3) | instid1(VALU_DEP_1)
	v_xor_b32_e32 v1, vcc_lo, v1
	ds_load_b32 v39, v3 offset:16
	v_add_nc_u32_e32 v41, 16, v3
	; wave barrier
	v_and_b32_e32 v0, v0, v1
	v_mbcnt_lo_u32_b32 v40, v0, 0
	v_cmp_ne_u32_e64 s12, 0, v0
	s_delay_alu instid0(VALU_DEP_2) | instskip(NEXT) | instid1(VALU_DEP_2)
	v_cmp_eq_u32_e32 vcc_lo, 0, v40
	s_and_b32 s17, s12, vcc_lo
	s_delay_alu instid0(SALU_CYCLE_1)
	s_and_saveexec_b32 s12, s17
	s_cbranch_execz .LBB14_12
; %bb.11:                               ;   in Loop: Header=BB14_4 Depth=2
	s_waitcnt lgkmcnt(0)
	v_bcnt_u32_b32 v0, v0, v39
	ds_store_b32 v41, v0
.LBB14_12:                              ;   in Loop: Header=BB14_4 Depth=2
	s_or_b32 exec_lo, exec_lo, s12
	v_bfe_u32 v0, v27, s16, 1
	v_lshrrev_b32_e32 v1, s16, v27
	; wave barrier
	s_delay_alu instid0(VALU_DEP_2) | instskip(NEXT) | instid1(VALU_DEP_1)
	v_add_co_u32 v0, s12, v0, -1
	v_cndmask_b32_e64 v2, 0, 1, s12
	s_delay_alu instid0(VALU_DEP_3)
	v_lshlrev_b32_e32 v3, 30, v1
	v_lshlrev_b32_e32 v4, 29, v1
	;; [unrolled: 1-line block ×4, first 2 shown]
	v_cmp_ne_u32_e32 vcc_lo, 0, v2
	v_not_b32_e32 v2, v3
	v_cmp_gt_i32_e64 s12, 0, v3
	v_not_b32_e32 v3, v4
	v_lshlrev_b32_e32 v7, 26, v1
	v_xor_b32_e32 v0, vcc_lo, v0
	v_ashrrev_i32_e32 v2, 31, v2
	v_cmp_gt_i32_e32 vcc_lo, 0, v4
	v_not_b32_e32 v4, v5
	v_ashrrev_i32_e32 v3, 31, v3
	v_and_b32_e32 v0, exec_lo, v0
	v_xor_b32_e32 v2, s12, v2
	v_cmp_gt_i32_e64 s12, 0, v5
	v_not_b32_e32 v5, v6
	v_ashrrev_i32_e32 v4, 31, v4
	v_xor_b32_e32 v3, vcc_lo, v3
	v_and_b32_e32 v0, v0, v2
	v_cmp_gt_i32_e32 vcc_lo, 0, v6
	v_not_b32_e32 v2, v7
	v_ashrrev_i32_e32 v5, 31, v5
	v_xor_b32_e32 v4, s12, v4
	v_and_b32_e32 v0, v0, v3
	v_lshlrev_b32_e32 v3, 25, v1
	v_cmp_gt_i32_e64 s12, 0, v7
	v_ashrrev_i32_e32 v2, 31, v2
	v_xor_b32_e32 v5, vcc_lo, v5
	v_and_b32_e32 v0, v0, v4
	v_not_b32_e32 v6, v3
	v_lshlrev_b32_e32 v1, 24, v1
	v_bfe_u32 v4, v27, s16, 8
	v_xor_b32_e32 v2, s12, v2
	v_and_b32_e32 v0, v0, v5
	v_cmp_gt_i32_e32 vcc_lo, 0, v3
	v_ashrrev_i32_e32 v3, 31, v6
	v_not_b32_e32 v5, v1
	v_lshlrev_b32_e32 v4, 2, v4
	v_and_b32_e32 v0, v0, v2
	s_delay_alu instid0(VALU_DEP_4) | instskip(SKIP_3) | instid1(VALU_DEP_4)
	v_xor_b32_e32 v2, vcc_lo, v3
	v_cmp_gt_i32_e32 vcc_lo, 0, v1
	v_ashrrev_i32_e32 v1, 31, v5
	v_add_lshl_u32 v3, v4, v17, 2
	v_and_b32_e32 v0, v0, v2
	s_delay_alu instid0(VALU_DEP_3) | instskip(SKIP_3) | instid1(VALU_DEP_1)
	v_xor_b32_e32 v1, vcc_lo, v1
	ds_load_b32 v42, v3 offset:16
	v_add_nc_u32_e32 v44, 16, v3
	; wave barrier
	v_and_b32_e32 v0, v0, v1
	v_mbcnt_lo_u32_b32 v43, v0, 0
	v_cmp_ne_u32_e64 s12, 0, v0
	s_delay_alu instid0(VALU_DEP_2) | instskip(NEXT) | instid1(VALU_DEP_2)
	v_cmp_eq_u32_e32 vcc_lo, 0, v43
	s_and_b32 s17, s12, vcc_lo
	s_delay_alu instid0(SALU_CYCLE_1)
	s_and_saveexec_b32 s12, s17
	s_cbranch_execz .LBB14_14
; %bb.13:                               ;   in Loop: Header=BB14_4 Depth=2
	s_waitcnt lgkmcnt(0)
	v_bcnt_u32_b32 v0, v0, v42
	ds_store_b32 v44, v0
.LBB14_14:                              ;   in Loop: Header=BB14_4 Depth=2
	s_or_b32 exec_lo, exec_lo, s12
	v_bfe_u32 v0, v26, s16, 1
	v_lshrrev_b32_e32 v1, s16, v26
	; wave barrier
	s_delay_alu instid0(VALU_DEP_2) | instskip(NEXT) | instid1(VALU_DEP_1)
	v_add_co_u32 v0, s12, v0, -1
	v_cndmask_b32_e64 v2, 0, 1, s12
	s_delay_alu instid0(VALU_DEP_3)
	v_lshlrev_b32_e32 v3, 30, v1
	v_lshlrev_b32_e32 v4, 29, v1
	;; [unrolled: 1-line block ×4, first 2 shown]
	v_cmp_ne_u32_e32 vcc_lo, 0, v2
	v_not_b32_e32 v2, v3
	v_cmp_gt_i32_e64 s12, 0, v3
	v_not_b32_e32 v3, v4
	v_lshlrev_b32_e32 v7, 26, v1
	v_xor_b32_e32 v0, vcc_lo, v0
	v_ashrrev_i32_e32 v2, 31, v2
	v_cmp_gt_i32_e32 vcc_lo, 0, v4
	v_not_b32_e32 v4, v5
	v_ashrrev_i32_e32 v3, 31, v3
	v_and_b32_e32 v0, exec_lo, v0
	v_xor_b32_e32 v2, s12, v2
	v_cmp_gt_i32_e64 s12, 0, v5
	v_not_b32_e32 v5, v6
	v_ashrrev_i32_e32 v4, 31, v4
	v_xor_b32_e32 v3, vcc_lo, v3
	v_and_b32_e32 v0, v0, v2
	v_cmp_gt_i32_e32 vcc_lo, 0, v6
	v_not_b32_e32 v2, v7
	v_ashrrev_i32_e32 v5, 31, v5
	v_xor_b32_e32 v4, s12, v4
	v_and_b32_e32 v0, v0, v3
	v_lshlrev_b32_e32 v3, 25, v1
	v_cmp_gt_i32_e64 s12, 0, v7
	v_ashrrev_i32_e32 v2, 31, v2
	v_xor_b32_e32 v5, vcc_lo, v5
	v_and_b32_e32 v0, v0, v4
	v_not_b32_e32 v6, v3
	v_lshlrev_b32_e32 v1, 24, v1
	v_bfe_u32 v4, v26, s16, 8
	v_xor_b32_e32 v2, s12, v2
	v_and_b32_e32 v0, v0, v5
	v_cmp_gt_i32_e32 vcc_lo, 0, v3
	v_ashrrev_i32_e32 v3, 31, v6
	v_not_b32_e32 v5, v1
	v_lshlrev_b32_e32 v4, 2, v4
	v_and_b32_e32 v0, v0, v2
	s_delay_alu instid0(VALU_DEP_4) | instskip(SKIP_3) | instid1(VALU_DEP_4)
	v_xor_b32_e32 v2, vcc_lo, v3
	v_cmp_gt_i32_e32 vcc_lo, 0, v1
	v_ashrrev_i32_e32 v1, 31, v5
	v_add_lshl_u32 v3, v4, v17, 2
	v_and_b32_e32 v0, v0, v2
	s_delay_alu instid0(VALU_DEP_3) | instskip(SKIP_3) | instid1(VALU_DEP_1)
	v_xor_b32_e32 v1, vcc_lo, v1
	ds_load_b32 v45, v3 offset:16
	v_add_nc_u32_e32 v47, 16, v3
	; wave barrier
	v_and_b32_e32 v0, v0, v1
	v_mbcnt_lo_u32_b32 v46, v0, 0
	v_cmp_ne_u32_e64 s12, 0, v0
	s_delay_alu instid0(VALU_DEP_2) | instskip(NEXT) | instid1(VALU_DEP_2)
	v_cmp_eq_u32_e32 vcc_lo, 0, v46
	s_and_b32 s17, s12, vcc_lo
	s_delay_alu instid0(SALU_CYCLE_1)
	s_and_saveexec_b32 s12, s17
	s_cbranch_execz .LBB14_16
; %bb.15:                               ;   in Loop: Header=BB14_4 Depth=2
	s_waitcnt lgkmcnt(0)
	v_bcnt_u32_b32 v0, v0, v45
	ds_store_b32 v47, v0
.LBB14_16:                              ;   in Loop: Header=BB14_4 Depth=2
	s_or_b32 exec_lo, exec_lo, s12
	v_bfe_u32 v0, v25, s16, 1
	v_lshrrev_b32_e32 v1, s16, v25
	; wave barrier
	s_delay_alu instid0(VALU_DEP_2) | instskip(NEXT) | instid1(VALU_DEP_1)
	v_add_co_u32 v0, s12, v0, -1
	v_cndmask_b32_e64 v2, 0, 1, s12
	s_delay_alu instid0(VALU_DEP_3)
	v_lshlrev_b32_e32 v3, 30, v1
	v_lshlrev_b32_e32 v4, 29, v1
	;; [unrolled: 1-line block ×4, first 2 shown]
	v_cmp_ne_u32_e32 vcc_lo, 0, v2
	v_not_b32_e32 v2, v3
	v_cmp_gt_i32_e64 s12, 0, v3
	v_not_b32_e32 v3, v4
	v_lshlrev_b32_e32 v7, 26, v1
	v_xor_b32_e32 v0, vcc_lo, v0
	v_ashrrev_i32_e32 v2, 31, v2
	v_cmp_gt_i32_e32 vcc_lo, 0, v4
	v_not_b32_e32 v4, v5
	v_ashrrev_i32_e32 v3, 31, v3
	v_and_b32_e32 v0, exec_lo, v0
	v_xor_b32_e32 v2, s12, v2
	v_cmp_gt_i32_e64 s12, 0, v5
	v_not_b32_e32 v5, v6
	v_ashrrev_i32_e32 v4, 31, v4
	v_xor_b32_e32 v3, vcc_lo, v3
	v_and_b32_e32 v0, v0, v2
	v_cmp_gt_i32_e32 vcc_lo, 0, v6
	v_not_b32_e32 v2, v7
	v_ashrrev_i32_e32 v5, 31, v5
	v_xor_b32_e32 v4, s12, v4
	v_and_b32_e32 v0, v0, v3
	v_lshlrev_b32_e32 v3, 25, v1
	v_cmp_gt_i32_e64 s12, 0, v7
	v_ashrrev_i32_e32 v2, 31, v2
	v_xor_b32_e32 v5, vcc_lo, v5
	v_and_b32_e32 v0, v0, v4
	v_not_b32_e32 v6, v3
	v_lshlrev_b32_e32 v1, 24, v1
	v_bfe_u32 v4, v25, s16, 8
	v_xor_b32_e32 v2, s12, v2
	v_and_b32_e32 v0, v0, v5
	v_cmp_gt_i32_e32 vcc_lo, 0, v3
	v_ashrrev_i32_e32 v3, 31, v6
	v_not_b32_e32 v5, v1
	v_lshlrev_b32_e32 v4, 2, v4
	v_and_b32_e32 v0, v0, v2
	s_delay_alu instid0(VALU_DEP_4) | instskip(SKIP_3) | instid1(VALU_DEP_4)
	v_xor_b32_e32 v2, vcc_lo, v3
	v_cmp_gt_i32_e32 vcc_lo, 0, v1
	v_ashrrev_i32_e32 v1, 31, v5
	v_add_lshl_u32 v3, v4, v17, 2
	v_and_b32_e32 v0, v0, v2
	s_delay_alu instid0(VALU_DEP_3) | instskip(SKIP_3) | instid1(VALU_DEP_1)
	v_xor_b32_e32 v1, vcc_lo, v1
	ds_load_b32 v48, v3 offset:16
	v_add_nc_u32_e32 v50, 16, v3
	; wave barrier
	v_and_b32_e32 v0, v0, v1
	v_mbcnt_lo_u32_b32 v49, v0, 0
	v_cmp_ne_u32_e64 s12, 0, v0
	s_delay_alu instid0(VALU_DEP_2) | instskip(NEXT) | instid1(VALU_DEP_2)
	v_cmp_eq_u32_e32 vcc_lo, 0, v49
	s_and_b32 s17, s12, vcc_lo
	s_delay_alu instid0(SALU_CYCLE_1)
	s_and_saveexec_b32 s12, s17
	s_cbranch_execz .LBB14_18
; %bb.17:                               ;   in Loop: Header=BB14_4 Depth=2
	s_waitcnt lgkmcnt(0)
	v_bcnt_u32_b32 v0, v0, v48
	ds_store_b32 v50, v0
.LBB14_18:                              ;   in Loop: Header=BB14_4 Depth=2
	s_or_b32 exec_lo, exec_lo, s12
	v_bfe_u32 v0, v24, s16, 1
	v_lshrrev_b32_e32 v1, s16, v24
	; wave barrier
	s_delay_alu instid0(VALU_DEP_2) | instskip(NEXT) | instid1(VALU_DEP_1)
	v_add_co_u32 v0, s12, v0, -1
	v_cndmask_b32_e64 v2, 0, 1, s12
	s_delay_alu instid0(VALU_DEP_3)
	v_lshlrev_b32_e32 v3, 30, v1
	v_lshlrev_b32_e32 v4, 29, v1
	;; [unrolled: 1-line block ×4, first 2 shown]
	v_cmp_ne_u32_e32 vcc_lo, 0, v2
	v_not_b32_e32 v2, v3
	v_cmp_gt_i32_e64 s12, 0, v3
	v_not_b32_e32 v3, v4
	v_lshlrev_b32_e32 v7, 26, v1
	v_xor_b32_e32 v0, vcc_lo, v0
	v_ashrrev_i32_e32 v2, 31, v2
	v_cmp_gt_i32_e32 vcc_lo, 0, v4
	v_not_b32_e32 v4, v5
	v_ashrrev_i32_e32 v3, 31, v3
	v_and_b32_e32 v0, exec_lo, v0
	v_xor_b32_e32 v2, s12, v2
	v_cmp_gt_i32_e64 s12, 0, v5
	v_not_b32_e32 v5, v6
	v_ashrrev_i32_e32 v4, 31, v4
	v_xor_b32_e32 v3, vcc_lo, v3
	v_and_b32_e32 v0, v0, v2
	v_cmp_gt_i32_e32 vcc_lo, 0, v6
	v_not_b32_e32 v2, v7
	v_ashrrev_i32_e32 v5, 31, v5
	v_xor_b32_e32 v4, s12, v4
	v_and_b32_e32 v0, v0, v3
	v_lshlrev_b32_e32 v3, 25, v1
	v_cmp_gt_i32_e64 s12, 0, v7
	v_ashrrev_i32_e32 v2, 31, v2
	v_xor_b32_e32 v5, vcc_lo, v5
	v_and_b32_e32 v0, v0, v4
	v_not_b32_e32 v6, v3
	v_lshlrev_b32_e32 v1, 24, v1
	v_bfe_u32 v4, v24, s16, 8
	v_xor_b32_e32 v2, s12, v2
	v_and_b32_e32 v0, v0, v5
	v_cmp_gt_i32_e32 vcc_lo, 0, v3
	v_ashrrev_i32_e32 v3, 31, v6
	v_not_b32_e32 v5, v1
	v_lshlrev_b32_e32 v4, 2, v4
	v_and_b32_e32 v0, v0, v2
	s_delay_alu instid0(VALU_DEP_4) | instskip(SKIP_3) | instid1(VALU_DEP_4)
	v_xor_b32_e32 v2, vcc_lo, v3
	v_cmp_gt_i32_e32 vcc_lo, 0, v1
	v_ashrrev_i32_e32 v1, 31, v5
	v_add_lshl_u32 v3, v4, v17, 2
	v_and_b32_e32 v0, v0, v2
	s_delay_alu instid0(VALU_DEP_3) | instskip(SKIP_3) | instid1(VALU_DEP_1)
	v_xor_b32_e32 v1, vcc_lo, v1
	ds_load_b32 v51, v3 offset:16
	v_add_nc_u32_e32 v53, 16, v3
	; wave barrier
	v_and_b32_e32 v0, v0, v1
	v_mbcnt_lo_u32_b32 v52, v0, 0
	v_cmp_ne_u32_e64 s12, 0, v0
	s_delay_alu instid0(VALU_DEP_2) | instskip(NEXT) | instid1(VALU_DEP_2)
	v_cmp_eq_u32_e32 vcc_lo, 0, v52
	s_and_b32 s17, s12, vcc_lo
	s_delay_alu instid0(SALU_CYCLE_1)
	s_and_saveexec_b32 s12, s17
	s_cbranch_execz .LBB14_20
; %bb.19:                               ;   in Loop: Header=BB14_4 Depth=2
	s_waitcnt lgkmcnt(0)
	v_bcnt_u32_b32 v0, v0, v51
	ds_store_b32 v53, v0
.LBB14_20:                              ;   in Loop: Header=BB14_4 Depth=2
	s_or_b32 exec_lo, exec_lo, s12
	; wave barrier
	s_waitcnt lgkmcnt(0)
	s_barrier
	buffer_gl0_inv
	ds_load_2addr_b64 v[4:7], v13 offset0:2 offset1:3
	ds_load_2addr_b64 v[0:3], v16 offset0:2 offset1:3
	s_waitcnt lgkmcnt(1)
	v_add_nc_u32_e32 v54, v5, v4
	s_delay_alu instid0(VALU_DEP_1) | instskip(SKIP_1) | instid1(VALU_DEP_1)
	v_add3_u32 v54, v54, v6, v7
	s_waitcnt lgkmcnt(0)
	v_add3_u32 v54, v54, v0, v1
	s_delay_alu instid0(VALU_DEP_1) | instskip(NEXT) | instid1(VALU_DEP_1)
	v_add3_u32 v3, v54, v2, v3
	v_mov_b32_dpp v54, v3 row_shr:1 row_mask:0xf bank_mask:0xf
	s_delay_alu instid0(VALU_DEP_1) | instskip(NEXT) | instid1(VALU_DEP_1)
	v_cndmask_b32_e64 v54, v54, 0, s0
	v_add_nc_u32_e32 v3, v54, v3
	s_delay_alu instid0(VALU_DEP_1) | instskip(NEXT) | instid1(VALU_DEP_1)
	v_mov_b32_dpp v54, v3 row_shr:2 row_mask:0xf bank_mask:0xf
	v_cndmask_b32_e64 v54, 0, v54, s1
	s_delay_alu instid0(VALU_DEP_1) | instskip(NEXT) | instid1(VALU_DEP_1)
	v_add_nc_u32_e32 v3, v3, v54
	v_mov_b32_dpp v54, v3 row_shr:4 row_mask:0xf bank_mask:0xf
	s_delay_alu instid0(VALU_DEP_1) | instskip(NEXT) | instid1(VALU_DEP_1)
	v_cndmask_b32_e64 v54, 0, v54, s2
	v_add_nc_u32_e32 v3, v3, v54
	s_delay_alu instid0(VALU_DEP_1) | instskip(NEXT) | instid1(VALU_DEP_1)
	v_mov_b32_dpp v54, v3 row_shr:8 row_mask:0xf bank_mask:0xf
	v_cndmask_b32_e64 v54, 0, v54, s3
	s_delay_alu instid0(VALU_DEP_1) | instskip(SKIP_3) | instid1(VALU_DEP_1)
	v_add_nc_u32_e32 v3, v3, v54
	ds_swizzle_b32 v54, v3 offset:swizzle(BROADCAST,32,15)
	s_waitcnt lgkmcnt(0)
	v_cndmask_b32_e64 v54, v54, 0, s4
	v_add_nc_u32_e32 v3, v3, v54
	s_and_saveexec_b32 s12, s5
	s_cbranch_execz .LBB14_22
; %bb.21:                               ;   in Loop: Header=BB14_4 Depth=2
	ds_store_b32 v19, v3
.LBB14_22:                              ;   in Loop: Header=BB14_4 Depth=2
	s_or_b32 exec_lo, exec_lo, s12
	s_waitcnt lgkmcnt(0)
	s_barrier
	buffer_gl0_inv
	s_and_saveexec_b32 s12, s6
	s_cbranch_execz .LBB14_24
; %bb.23:                               ;   in Loop: Header=BB14_4 Depth=2
	ds_load_b32 v54, v20
	s_waitcnt lgkmcnt(0)
	v_mov_b32_dpp v55, v54 row_shr:1 row_mask:0xf bank_mask:0xf
	s_delay_alu instid0(VALU_DEP_1) | instskip(NEXT) | instid1(VALU_DEP_1)
	v_cndmask_b32_e64 v55, v55, 0, s10
	v_add_nc_u32_e32 v54, v55, v54
	s_delay_alu instid0(VALU_DEP_1) | instskip(NEXT) | instid1(VALU_DEP_1)
	v_mov_b32_dpp v55, v54 row_shr:2 row_mask:0xf bank_mask:0xf
	v_cndmask_b32_e64 v55, 0, v55, s11
	s_delay_alu instid0(VALU_DEP_1)
	v_add_nc_u32_e32 v54, v54, v55
	ds_store_b32 v20, v54
.LBB14_24:                              ;   in Loop: Header=BB14_4 Depth=2
	s_or_b32 exec_lo, exec_lo, s12
	v_mov_b32_e32 v54, 0
	s_waitcnt lgkmcnt(0)
	s_barrier
	buffer_gl0_inv
	s_and_saveexec_b32 s12, s7
	s_cbranch_execz .LBB14_26
; %bb.25:                               ;   in Loop: Header=BB14_4 Depth=2
	ds_load_b32 v54, v21
.LBB14_26:                              ;   in Loop: Header=BB14_4 Depth=2
	s_or_b32 exec_lo, exec_lo, s12
	s_waitcnt lgkmcnt(0)
	v_add_nc_u32_e32 v3, v54, v3
	s_cmp_gt_u32 s16, 23
	ds_bpermute_b32 v3, v18, v3
	s_waitcnt lgkmcnt(0)
	v_cndmask_b32_e64 v3, v3, v54, s8
	s_delay_alu instid0(VALU_DEP_1) | instskip(NEXT) | instid1(VALU_DEP_1)
	v_cndmask_b32_e64 v3, v3, 0, s9
	v_add_nc_u32_e32 v4, v3, v4
	s_delay_alu instid0(VALU_DEP_1) | instskip(NEXT) | instid1(VALU_DEP_1)
	v_add_nc_u32_e32 v5, v4, v5
	v_add_nc_u32_e32 v6, v5, v6
	s_delay_alu instid0(VALU_DEP_1) | instskip(NEXT) | instid1(VALU_DEP_1)
	v_add_nc_u32_e32 v54, v6, v7
	;; [unrolled: 3-line block ×3, first 2 shown]
	v_add_nc_u32_e32 v1, v0, v2
	ds_store_2addr_b64 v13, v[3:4], v[5:6] offset0:2 offset1:3
	ds_store_2addr_b64 v16, v[54:55], v[0:1] offset0:2 offset1:3
	s_waitcnt lgkmcnt(0)
	s_barrier
	buffer_gl0_inv
	ds_load_b32 v0, v32
	ds_load_b32 v1, v35
	ds_load_b32 v2, v38
	ds_load_b32 v3, v41
	ds_load_b32 v4, v44
	ds_load_b32 v5, v47
	ds_load_b32 v6, v50
	ds_load_b32 v7, v53
	s_waitcnt lgkmcnt(7)
	v_add_nc_u32_e32 v41, v0, v31
	s_waitcnt lgkmcnt(6)
	v_add3_u32 v38, v34, v33, v1
	s_waitcnt lgkmcnt(5)
	v_add3_u32 v36, v37, v36, v2
	;; [unrolled: 2-line block ×7, first 2 shown]
	s_cbranch_scc0 .LBB14_3
; %bb.27:                               ;   in Loop: Header=BB14_2 Depth=1
                                        ; implicit-def: $vgpr7
                                        ; implicit-def: $vgpr5
                                        ; implicit-def: $vgpr3
                                        ; implicit-def: $vgpr1
                                        ; implicit-def: $sgpr16
	s_branch .LBB14_1
.LBB14_28:
	v_lshlrev_b32_e32 v0, 2, v8
	s_add_u32 s0, s18, s14
	s_addc_u32 s1, s19, s15
	s_clause 0x7
	global_store_b32 v0, v2, s[0:1]
	global_store_b32 v0, v3, s[0:1] offset:512
	global_store_b32 v0, v4, s[0:1] offset:1024
	;; [unrolled: 1-line block ×7, first 2 shown]
	s_nop 0
	s_sendmsg sendmsg(MSG_DEALLOC_VGPRS)
	s_endpgm
	.section	.rodata,"a",@progbits
	.p2align	6, 0x0
	.amdhsa_kernel _Z16sort_keys_kernelI22helper_blocked_blockediLj128ELj8ELj10EEvPKT0_PS1_
		.amdhsa_group_segment_fixed_size 4112
		.amdhsa_private_segment_fixed_size 0
		.amdhsa_kernarg_size 272
		.amdhsa_user_sgpr_count 15
		.amdhsa_user_sgpr_dispatch_ptr 0
		.amdhsa_user_sgpr_queue_ptr 0
		.amdhsa_user_sgpr_kernarg_segment_ptr 1
		.amdhsa_user_sgpr_dispatch_id 0
		.amdhsa_user_sgpr_private_segment_size 0
		.amdhsa_wavefront_size32 1
		.amdhsa_uses_dynamic_stack 0
		.amdhsa_enable_private_segment 0
		.amdhsa_system_sgpr_workgroup_id_x 1
		.amdhsa_system_sgpr_workgroup_id_y 0
		.amdhsa_system_sgpr_workgroup_id_z 0
		.amdhsa_system_sgpr_workgroup_info 0
		.amdhsa_system_vgpr_workitem_id 2
		.amdhsa_next_free_vgpr 56
		.amdhsa_next_free_sgpr 20
		.amdhsa_reserve_vcc 1
		.amdhsa_float_round_mode_32 0
		.amdhsa_float_round_mode_16_64 0
		.amdhsa_float_denorm_mode_32 3
		.amdhsa_float_denorm_mode_16_64 3
		.amdhsa_dx10_clamp 1
		.amdhsa_ieee_mode 1
		.amdhsa_fp16_overflow 0
		.amdhsa_workgroup_processor_mode 1
		.amdhsa_memory_ordered 1
		.amdhsa_forward_progress 0
		.amdhsa_shared_vgpr_count 0
		.amdhsa_exception_fp_ieee_invalid_op 0
		.amdhsa_exception_fp_denorm_src 0
		.amdhsa_exception_fp_ieee_div_zero 0
		.amdhsa_exception_fp_ieee_overflow 0
		.amdhsa_exception_fp_ieee_underflow 0
		.amdhsa_exception_fp_ieee_inexact 0
		.amdhsa_exception_int_div_zero 0
	.end_amdhsa_kernel
	.section	.text._Z16sort_keys_kernelI22helper_blocked_blockediLj128ELj8ELj10EEvPKT0_PS1_,"axG",@progbits,_Z16sort_keys_kernelI22helper_blocked_blockediLj128ELj8ELj10EEvPKT0_PS1_,comdat
.Lfunc_end14:
	.size	_Z16sort_keys_kernelI22helper_blocked_blockediLj128ELj8ELj10EEvPKT0_PS1_, .Lfunc_end14-_Z16sort_keys_kernelI22helper_blocked_blockediLj128ELj8ELj10EEvPKT0_PS1_
                                        ; -- End function
	.section	.AMDGPU.csdata,"",@progbits
; Kernel info:
; codeLenInByte = 4464
; NumSgprs: 22
; NumVgprs: 56
; ScratchSize: 0
; MemoryBound: 0
; FloatMode: 240
; IeeeMode: 1
; LDSByteSize: 4112 bytes/workgroup (compile time only)
; SGPRBlocks: 2
; VGPRBlocks: 6
; NumSGPRsForWavesPerEU: 22
; NumVGPRsForWavesPerEU: 56
; Occupancy: 16
; WaveLimiterHint : 1
; COMPUTE_PGM_RSRC2:SCRATCH_EN: 0
; COMPUTE_PGM_RSRC2:USER_SGPR: 15
; COMPUTE_PGM_RSRC2:TRAP_HANDLER: 0
; COMPUTE_PGM_RSRC2:TGID_X_EN: 1
; COMPUTE_PGM_RSRC2:TGID_Y_EN: 0
; COMPUTE_PGM_RSRC2:TGID_Z_EN: 0
; COMPUTE_PGM_RSRC2:TIDIG_COMP_CNT: 2
	.section	.text._Z17sort_pairs_kernelI22helper_blocked_blockediLj128ELj8ELj10EEvPKT0_PS1_,"axG",@progbits,_Z17sort_pairs_kernelI22helper_blocked_blockediLj128ELj8ELj10EEvPKT0_PS1_,comdat
	.protected	_Z17sort_pairs_kernelI22helper_blocked_blockediLj128ELj8ELj10EEvPKT0_PS1_ ; -- Begin function _Z17sort_pairs_kernelI22helper_blocked_blockediLj128ELj8ELj10EEvPKT0_PS1_
	.globl	_Z17sort_pairs_kernelI22helper_blocked_blockediLj128ELj8ELj10EEvPKT0_PS1_
	.p2align	8
	.type	_Z17sort_pairs_kernelI22helper_blocked_blockediLj128ELj8ELj10EEvPKT0_PS1_,@function
_Z17sort_pairs_kernelI22helper_blocked_blockediLj128ELj8ELj10EEvPKT0_PS1_: ; @_Z17sort_pairs_kernelI22helper_blocked_blockediLj128ELj8ELj10EEvPKT0_PS1_
; %bb.0:
	s_clause 0x1
	s_load_b128 s[16:19], s[0:1], 0x0
	s_load_b32 s11, s[0:1], 0x1c
	v_and_b32_e32 v8, 0x3ff, v0
	s_mov_b32 s13, 0
	s_lshl_b32 s12, s15, 10
	v_bfe_u32 v2, v0, 10, 10
	s_lshl_b64 s[14:15], s[12:13], 2
	v_lshlrev_b32_e32 v1, 2, v8
	s_mov_b32 s12, s13
	v_bfe_u32 v0, v0, 20, 10
	v_dual_mov_b32 v11, s12 :: v_dual_mov_b32 v12, s13
	s_waitcnt lgkmcnt(0)
	s_add_u32 s0, s16, s14
	s_addc_u32 s1, s17, s15
	s_clause 0x7
	global_load_b32 v15, v1, s[0:1]
	global_load_b32 v16, v1, s[0:1] offset:512
	global_load_b32 v17, v1, s[0:1] offset:1024
	;; [unrolled: 1-line block ×7, first 2 shown]
	v_mbcnt_lo_u32_b32 v1, -1, 0
	s_mov_b32 s1, s13
	s_mov_b32 s0, s13
	v_mov_b32_e32 v10, s1
	s_lshr_b32 s12, s11, 16
	v_add_nc_u32_e32 v5, -1, v1
	v_and_b32_e32 v4, 16, v1
	v_and_b32_e32 v3, 15, v1
	v_dual_mov_b32 v9, s0 :: v_dual_and_b32 v6, 3, v1
	v_lshlrev_b32_e32 v7, 3, v8
	v_and_b32_e32 v23, 0x60, v8
	v_cmp_gt_i32_e32 vcc_lo, 0, v5
	v_mad_u32_u24 v2, v0, s12, v2
	v_lshlrev_b32_e32 v21, 5, v8
	v_cmp_eq_u32_e64 s5, 0, v4
	v_lshrrev_b32_e32 v4, 3, v8
	s_and_b32 s11, s11, 0xffff
	v_cmp_eq_u32_e64 s0, 0, v1
	v_cmp_eq_u32_e64 s1, 0, v3
	v_cmp_lt_u32_e64 s2, 1, v3
	v_cmp_lt_u32_e64 s3, 3, v3
	;; [unrolled: 1-line block ×3, first 2 shown]
	v_dual_cndmask_b32 v3, v5, v1 :: v_dual_and_b32 v24, 12, v4
	v_cmp_eq_u32_e64 s9, 0, v6
	v_cmp_lt_u32_e64 s10, 1, v6
	v_or_b32_e32 v5, v1, v23
	v_and_or_b32 v6, 0x300, v7, v1
	v_mad_u64_u32 v[0:1], null, v2, s11, v[8:9]
	v_mul_u32_u24_e32 v30, 28, v8
	v_or_b32_e32 v7, 31, v23
	v_mad_i32_i24 v25, 0xffffffe4, v8, v21
	v_cmp_gt_u32_e64 s6, 4, v8
	v_cmp_lt_u32_e64 s7, 31, v8
	v_cmp_eq_u32_e64 s8, 0, v8
	v_or_b32_e32 v22, 16, v21
	v_lshlrev_b32_e32 v23, 2, v3
	v_lshlrev_b32_e32 v26, 5, v5
	;; [unrolled: 1-line block ×3, first 2 shown]
	v_cmp_eq_u32_e64 s11, v7, v8
	v_add_nc_u32_e32 v28, -4, v24
	v_lshrrev_b32_e32 v29, 5, v0
	v_add_nc_u32_e32 v30, v25, v30
	s_waitcnt vmcnt(7)
	v_add_nc_u32_e32 v4, 1, v15
	s_waitcnt vmcnt(6)
	;; [unrolled: 2-line block ×8, first 2 shown]
	v_add_nc_u32_e32 v3, 1, v13
	s_branch .LBB15_2
.LBB15_1:                               ;   in Loop: Header=BB15_2 Depth=1
	v_lshlrev_b32_e32 v0, 2, v59
	v_lshlrev_b32_e32 v3, 2, v52
	v_lshlrev_b32_e32 v1, 2, v58
	v_lshlrev_b32_e32 v4, 2, v50
	v_lshlrev_b32_e32 v2, 2, v55
	v_lshlrev_b32_e32 v5, 2, v49
	v_lshlrev_b32_e32 v6, 2, v48
	v_lshlrev_b32_e32 v7, 2, v47
	s_barrier
	buffer_gl0_inv
	ds_store_b32 v0, v33
	ds_store_b32 v1, v46
	;; [unrolled: 1-line block ×8, first 2 shown]
	s_waitcnt lgkmcnt(0)
	s_barrier
	buffer_gl0_inv
	ds_load_2addr_b64 v[15:18], v30 offset1:1
	ds_load_2addr_b64 v[31:34], v30 offset0:2 offset1:3
	s_waitcnt lgkmcnt(0)
	s_barrier
	buffer_gl0_inv
	ds_store_b32 v0, v44
	ds_store_b32 v1, v43
	;; [unrolled: 1-line block ×8, first 2 shown]
	s_waitcnt lgkmcnt(0)
	s_barrier
	buffer_gl0_inv
	ds_load_2addr_b64 v[4:7], v30 offset1:1
	ds_load_2addr_b64 v[0:3], v30 offset0:2 offset1:3
	s_add_i32 s13, s13, 1
	s_delay_alu instid0(SALU_CYCLE_1)
	s_cmp_eq_u32 s13, 10
	v_xor_b32_e32 v15, 0x80000000, v15
	v_xor_b32_e32 v16, 0x80000000, v16
	;; [unrolled: 1-line block ×8, first 2 shown]
	s_cbranch_scc1 .LBB15_28
.LBB15_2:                               ; =>This Loop Header: Depth=1
                                        ;     Child Loop BB15_4 Depth 2
	v_xor_b32_e32 v15, 0x80000000, v15
	v_xor_b32_e32 v16, 0x80000000, v16
	;; [unrolled: 1-line block ×8, first 2 shown]
	ds_store_2addr_b64 v26, v[15:16], v[17:18] offset1:1
	ds_store_2addr_b64 v26, v[19:20], v[31:32] offset0:2 offset1:3
	; wave barrier
	ds_load_2addr_b32 v[13:14], v27 offset1:32
	ds_load_2addr_b32 v[15:16], v27 offset0:64 offset1:96
	ds_load_2addr_b32 v[17:18], v27 offset0:128 offset1:160
	;; [unrolled: 1-line block ×3, first 2 shown]
	; wave barrier
	s_waitcnt lgkmcnt(7)
	ds_store_2addr_b64 v26, v[4:5], v[6:7] offset1:1
	s_waitcnt lgkmcnt(7)
	ds_store_2addr_b64 v26, v[0:1], v[2:3] offset0:2 offset1:3
	; wave barrier
	ds_load_2addr_b32 v[0:1], v27 offset1:32
	ds_load_2addr_b32 v[2:3], v27 offset0:64 offset1:96
	ds_load_2addr_b32 v[4:5], v27 offset0:128 offset1:160
	ds_load_2addr_b32 v[6:7], v27 offset0:192 offset1:224
	s_mov_b32 s16, 0
	s_waitcnt lgkmcnt(0)
	s_barrier
	s_branch .LBB15_4
.LBB15_3:                               ;   in Loop: Header=BB15_4 Depth=2
	v_lshlrev_b32_e32 v0, 2, v59
	v_lshlrev_b32_e32 v3, 2, v52
	;; [unrolled: 1-line block ×8, first 2 shown]
	s_barrier
	buffer_gl0_inv
	ds_store_b32 v0, v33
	ds_store_b32 v1, v46
	;; [unrolled: 1-line block ×8, first 2 shown]
	s_waitcnt lgkmcnt(0)
	s_barrier
	buffer_gl0_inv
	ds_load_2addr_b32 v[13:14], v27 offset1:32
	ds_load_2addr_b32 v[15:16], v27 offset0:64 offset1:96
	ds_load_2addr_b32 v[17:18], v27 offset0:128 offset1:160
	;; [unrolled: 1-line block ×3, first 2 shown]
	s_waitcnt lgkmcnt(0)
	s_barrier
	buffer_gl0_inv
	ds_store_b32 v0, v44
	ds_store_b32 v1, v43
	;; [unrolled: 1-line block ×8, first 2 shown]
	s_waitcnt lgkmcnt(0)
	s_barrier
	buffer_gl0_inv
	ds_load_2addr_b32 v[0:1], v27 offset1:32
	ds_load_2addr_b32 v[2:3], v27 offset0:64 offset1:96
	ds_load_2addr_b32 v[4:5], v27 offset0:128 offset1:160
	;; [unrolled: 1-line block ×3, first 2 shown]
	s_add_i32 s16, s16, 8
	s_waitcnt lgkmcnt(0)
	s_barrier
	s_cbranch_execz .LBB15_1
.LBB15_4:                               ;   Parent Loop BB15_2 Depth=1
                                        ; =>  This Inner Loop Header: Depth=2
	v_dual_mov_b32 v33, v13 :: v_dual_mov_b32 v32, v19
	v_dual_mov_b32 v31, v20 :: v_dual_mov_b32 v34, v18
	buffer_gl0_inv
	v_bfe_u32 v13, v33, s16, 1
	v_lshrrev_b32_e32 v18, s16, v33
	v_mov_b32_e32 v35, v17
	ds_store_2addr_b64 v21, v[11:12], v[9:10] offset0:2 offset1:3
	ds_store_2addr_b64 v22, v[11:12], v[9:10] offset0:2 offset1:3
	s_waitcnt lgkmcnt(0)
	v_add_co_u32 v13, s12, v13, -1
	v_lshlrev_b32_e32 v20, 29, v18
	v_cndmask_b32_e64 v17, 0, 1, s12
	v_dual_mov_b32 v46, v14 :: v_dual_lshlrev_b32 v19, 30, v18
	v_dual_mov_b32 v41, v16 :: v_dual_lshlrev_b32 v36, 28, v18
	s_delay_alu instid0(VALU_DEP_3) | instskip(NEXT) | instid1(VALU_DEP_3)
	v_cmp_ne_u32_e32 vcc_lo, 0, v17
	v_not_b32_e32 v17, v19
	v_cmp_gt_i32_e64 s12, 0, v19
	v_not_b32_e32 v19, v20
	v_lshlrev_b32_e32 v37, 27, v18
	v_xor_b32_e32 v13, vcc_lo, v13
	v_ashrrev_i32_e32 v17, 31, v17
	v_cmp_gt_i32_e32 vcc_lo, 0, v20
	v_not_b32_e32 v20, v36
	v_ashrrev_i32_e32 v19, 31, v19
	v_and_b32_e32 v13, exec_lo, v13
	v_xor_b32_e32 v17, s12, v17
	v_dual_mov_b32 v45, v15 :: v_dual_lshlrev_b32 v38, 26, v18
	v_cmp_gt_i32_e64 s12, 0, v36
	v_not_b32_e32 v36, v37
	v_ashrrev_i32_e32 v20, 31, v20
	v_xor_b32_e32 v19, vcc_lo, v19
	v_dual_mov_b32 v40, v3 :: v_dual_and_b32 v13, v13, v17
	v_cmp_gt_i32_e32 vcc_lo, 0, v37
	v_not_b32_e32 v17, v38
	v_ashrrev_i32_e32 v36, 31, v36
	v_xor_b32_e32 v20, s12, v20
	v_dual_mov_b32 v42, v2 :: v_dual_and_b32 v13, v13, v19
	v_dual_mov_b32 v44, v0 :: v_dual_lshlrev_b32 v19, 25, v18
	v_cmp_gt_i32_e64 s12, 0, v38
	v_ashrrev_i32_e32 v17, 31, v17
	v_xor_b32_e32 v36, vcc_lo, v36
	v_and_b32_e32 v13, v13, v20
	v_not_b32_e32 v20, v19
	v_dual_mov_b32 v37, v6 :: v_dual_lshlrev_b32 v18, 24, v18
	v_cmp_gt_i32_e32 vcc_lo, 0, v19
	v_xor_b32_e32 v17, s12, v17
	v_and_b32_e32 v13, v13, v36
	v_ashrrev_i32_e32 v19, 31, v20
	v_not_b32_e32 v16, v18
	v_dual_mov_b32 v36, v7 :: v_dual_mov_b32 v39, v4
	s_delay_alu instid0(VALU_DEP_4) | instskip(NEXT) | instid1(VALU_DEP_4)
	v_and_b32_e32 v13, v13, v17
	v_xor_b32_e32 v15, vcc_lo, v19
	v_cmp_gt_i32_e32 vcc_lo, 0, v18
	v_ashrrev_i32_e32 v16, 31, v16
	v_bfe_u32 v0, v33, s16, 8
	v_mov_b32_e32 v43, v1
	v_and_b32_e32 v6, v13, v15
	v_mov_b32_e32 v38, v5
	v_xor_b32_e32 v7, vcc_lo, v16
	v_lshl_add_u32 v0, v0, 2, v29
	s_barrier
	buffer_gl0_inv
	v_and_b32_e32 v2, v6, v7
	v_lshl_add_u32 v14, v0, 2, 16
	; wave barrier
	s_delay_alu instid0(VALU_DEP_2) | instskip(SKIP_1) | instid1(VALU_DEP_2)
	v_mbcnt_lo_u32_b32 v13, v2, 0
	v_cmp_ne_u32_e64 s12, 0, v2
	v_cmp_eq_u32_e32 vcc_lo, 0, v13
	s_delay_alu instid0(VALU_DEP_2) | instskip(NEXT) | instid1(SALU_CYCLE_1)
	s_and_b32 s17, s12, vcc_lo
	s_and_saveexec_b32 s12, s17
	s_cbranch_execz .LBB15_6
; %bb.5:                                ;   in Loop: Header=BB15_4 Depth=2
	v_bcnt_u32_b32 v0, v2, 0
	ds_store_b32 v14, v0
.LBB15_6:                               ;   in Loop: Header=BB15_4 Depth=2
	s_or_b32 exec_lo, exec_lo, s12
	v_bfe_u32 v0, v46, s16, 1
	v_lshrrev_b32_e32 v1, s16, v46
	; wave barrier
	s_delay_alu instid0(VALU_DEP_2) | instskip(NEXT) | instid1(VALU_DEP_1)
	v_add_co_u32 v0, s12, v0, -1
	v_cndmask_b32_e64 v2, 0, 1, s12
	s_delay_alu instid0(VALU_DEP_3)
	v_lshlrev_b32_e32 v3, 30, v1
	v_lshlrev_b32_e32 v4, 29, v1
	;; [unrolled: 1-line block ×4, first 2 shown]
	v_cmp_ne_u32_e32 vcc_lo, 0, v2
	v_not_b32_e32 v2, v3
	v_cmp_gt_i32_e64 s12, 0, v3
	v_not_b32_e32 v3, v4
	v_lshlrev_b32_e32 v7, 26, v1
	v_xor_b32_e32 v0, vcc_lo, v0
	v_ashrrev_i32_e32 v2, 31, v2
	v_cmp_gt_i32_e32 vcc_lo, 0, v4
	v_not_b32_e32 v4, v5
	v_ashrrev_i32_e32 v3, 31, v3
	v_and_b32_e32 v0, exec_lo, v0
	v_xor_b32_e32 v2, s12, v2
	v_cmp_gt_i32_e64 s12, 0, v5
	v_not_b32_e32 v5, v6
	v_ashrrev_i32_e32 v4, 31, v4
	v_xor_b32_e32 v3, vcc_lo, v3
	v_and_b32_e32 v0, v0, v2
	v_cmp_gt_i32_e32 vcc_lo, 0, v6
	v_not_b32_e32 v2, v7
	v_ashrrev_i32_e32 v5, 31, v5
	v_xor_b32_e32 v4, s12, v4
	v_and_b32_e32 v0, v0, v3
	v_lshlrev_b32_e32 v3, 25, v1
	v_cmp_gt_i32_e64 s12, 0, v7
	v_ashrrev_i32_e32 v2, 31, v2
	v_xor_b32_e32 v5, vcc_lo, v5
	v_and_b32_e32 v0, v0, v4
	v_not_b32_e32 v6, v3
	v_lshlrev_b32_e32 v1, 24, v1
	v_bfe_u32 v4, v46, s16, 8
	v_xor_b32_e32 v2, s12, v2
	v_and_b32_e32 v0, v0, v5
	v_cmp_gt_i32_e32 vcc_lo, 0, v3
	v_ashrrev_i32_e32 v3, 31, v6
	v_not_b32_e32 v5, v1
	v_lshlrev_b32_e32 v4, 2, v4
	v_and_b32_e32 v0, v0, v2
	s_delay_alu instid0(VALU_DEP_4) | instskip(SKIP_3) | instid1(VALU_DEP_4)
	v_xor_b32_e32 v2, vcc_lo, v3
	v_cmp_gt_i32_e32 vcc_lo, 0, v1
	v_ashrrev_i32_e32 v1, 31, v5
	v_add_lshl_u32 v3, v4, v29, 2
	v_and_b32_e32 v0, v0, v2
	s_delay_alu instid0(VALU_DEP_3) | instskip(SKIP_3) | instid1(VALU_DEP_1)
	v_xor_b32_e32 v1, vcc_lo, v1
	ds_load_b32 v15, v3 offset:16
	v_add_nc_u32_e32 v17, 16, v3
	; wave barrier
	v_and_b32_e32 v0, v0, v1
	v_mbcnt_lo_u32_b32 v16, v0, 0
	v_cmp_ne_u32_e64 s12, 0, v0
	s_delay_alu instid0(VALU_DEP_2) | instskip(NEXT) | instid1(VALU_DEP_2)
	v_cmp_eq_u32_e32 vcc_lo, 0, v16
	s_and_b32 s17, s12, vcc_lo
	s_delay_alu instid0(SALU_CYCLE_1)
	s_and_saveexec_b32 s12, s17
	s_cbranch_execz .LBB15_8
; %bb.7:                                ;   in Loop: Header=BB15_4 Depth=2
	s_waitcnt lgkmcnt(0)
	v_bcnt_u32_b32 v0, v0, v15
	ds_store_b32 v17, v0
.LBB15_8:                               ;   in Loop: Header=BB15_4 Depth=2
	s_or_b32 exec_lo, exec_lo, s12
	v_bfe_u32 v0, v45, s16, 1
	v_lshrrev_b32_e32 v1, s16, v45
	; wave barrier
	s_delay_alu instid0(VALU_DEP_2) | instskip(NEXT) | instid1(VALU_DEP_1)
	v_add_co_u32 v0, s12, v0, -1
	v_cndmask_b32_e64 v2, 0, 1, s12
	s_delay_alu instid0(VALU_DEP_3)
	v_lshlrev_b32_e32 v3, 30, v1
	v_lshlrev_b32_e32 v4, 29, v1
	;; [unrolled: 1-line block ×4, first 2 shown]
	v_cmp_ne_u32_e32 vcc_lo, 0, v2
	v_not_b32_e32 v2, v3
	v_cmp_gt_i32_e64 s12, 0, v3
	v_not_b32_e32 v3, v4
	v_lshlrev_b32_e32 v7, 26, v1
	v_xor_b32_e32 v0, vcc_lo, v0
	v_ashrrev_i32_e32 v2, 31, v2
	v_cmp_gt_i32_e32 vcc_lo, 0, v4
	v_not_b32_e32 v4, v5
	v_ashrrev_i32_e32 v3, 31, v3
	v_and_b32_e32 v0, exec_lo, v0
	v_xor_b32_e32 v2, s12, v2
	v_cmp_gt_i32_e64 s12, 0, v5
	v_not_b32_e32 v5, v6
	v_ashrrev_i32_e32 v4, 31, v4
	v_xor_b32_e32 v3, vcc_lo, v3
	v_and_b32_e32 v0, v0, v2
	v_cmp_gt_i32_e32 vcc_lo, 0, v6
	v_not_b32_e32 v2, v7
	v_ashrrev_i32_e32 v5, 31, v5
	v_xor_b32_e32 v4, s12, v4
	v_and_b32_e32 v0, v0, v3
	v_lshlrev_b32_e32 v3, 25, v1
	v_cmp_gt_i32_e64 s12, 0, v7
	v_ashrrev_i32_e32 v2, 31, v2
	v_xor_b32_e32 v5, vcc_lo, v5
	v_and_b32_e32 v0, v0, v4
	v_not_b32_e32 v6, v3
	v_lshlrev_b32_e32 v1, 24, v1
	v_bfe_u32 v4, v45, s16, 8
	v_xor_b32_e32 v2, s12, v2
	v_and_b32_e32 v0, v0, v5
	v_cmp_gt_i32_e32 vcc_lo, 0, v3
	v_ashrrev_i32_e32 v3, 31, v6
	v_not_b32_e32 v5, v1
	v_lshlrev_b32_e32 v4, 2, v4
	v_and_b32_e32 v0, v0, v2
	s_delay_alu instid0(VALU_DEP_4) | instskip(SKIP_3) | instid1(VALU_DEP_4)
	v_xor_b32_e32 v2, vcc_lo, v3
	v_cmp_gt_i32_e32 vcc_lo, 0, v1
	v_ashrrev_i32_e32 v1, 31, v5
	v_add_lshl_u32 v3, v4, v29, 2
	v_and_b32_e32 v0, v0, v2
	s_delay_alu instid0(VALU_DEP_3) | instskip(SKIP_3) | instid1(VALU_DEP_1)
	v_xor_b32_e32 v1, vcc_lo, v1
	ds_load_b32 v18, v3 offset:16
	v_add_nc_u32_e32 v20, 16, v3
	; wave barrier
	v_and_b32_e32 v0, v0, v1
	v_mbcnt_lo_u32_b32 v19, v0, 0
	v_cmp_ne_u32_e64 s12, 0, v0
	s_delay_alu instid0(VALU_DEP_2) | instskip(NEXT) | instid1(VALU_DEP_2)
	v_cmp_eq_u32_e32 vcc_lo, 0, v19
	s_and_b32 s17, s12, vcc_lo
	s_delay_alu instid0(SALU_CYCLE_1)
	s_and_saveexec_b32 s12, s17
	s_cbranch_execz .LBB15_10
; %bb.9:                                ;   in Loop: Header=BB15_4 Depth=2
	s_waitcnt lgkmcnt(0)
	v_bcnt_u32_b32 v0, v0, v18
	ds_store_b32 v20, v0
.LBB15_10:                              ;   in Loop: Header=BB15_4 Depth=2
	s_or_b32 exec_lo, exec_lo, s12
	v_bfe_u32 v0, v41, s16, 1
	v_lshrrev_b32_e32 v1, s16, v41
	; wave barrier
	s_delay_alu instid0(VALU_DEP_2) | instskip(NEXT) | instid1(VALU_DEP_1)
	v_add_co_u32 v0, s12, v0, -1
	v_cndmask_b32_e64 v2, 0, 1, s12
	s_delay_alu instid0(VALU_DEP_3)
	v_lshlrev_b32_e32 v3, 30, v1
	v_lshlrev_b32_e32 v4, 29, v1
	v_lshlrev_b32_e32 v5, 28, v1
	v_lshlrev_b32_e32 v6, 27, v1
	v_cmp_ne_u32_e32 vcc_lo, 0, v2
	v_not_b32_e32 v2, v3
	v_cmp_gt_i32_e64 s12, 0, v3
	v_not_b32_e32 v3, v4
	v_lshlrev_b32_e32 v7, 26, v1
	v_xor_b32_e32 v0, vcc_lo, v0
	v_ashrrev_i32_e32 v2, 31, v2
	v_cmp_gt_i32_e32 vcc_lo, 0, v4
	v_not_b32_e32 v4, v5
	v_ashrrev_i32_e32 v3, 31, v3
	v_and_b32_e32 v0, exec_lo, v0
	v_xor_b32_e32 v2, s12, v2
	v_cmp_gt_i32_e64 s12, 0, v5
	v_not_b32_e32 v5, v6
	v_ashrrev_i32_e32 v4, 31, v4
	v_xor_b32_e32 v3, vcc_lo, v3
	v_and_b32_e32 v0, v0, v2
	v_cmp_gt_i32_e32 vcc_lo, 0, v6
	v_not_b32_e32 v2, v7
	v_ashrrev_i32_e32 v5, 31, v5
	v_xor_b32_e32 v4, s12, v4
	v_and_b32_e32 v0, v0, v3
	v_lshlrev_b32_e32 v3, 25, v1
	v_cmp_gt_i32_e64 s12, 0, v7
	v_ashrrev_i32_e32 v2, 31, v2
	v_xor_b32_e32 v5, vcc_lo, v5
	v_and_b32_e32 v0, v0, v4
	v_not_b32_e32 v6, v3
	v_lshlrev_b32_e32 v1, 24, v1
	v_bfe_u32 v4, v41, s16, 8
	v_xor_b32_e32 v2, s12, v2
	v_and_b32_e32 v0, v0, v5
	v_cmp_gt_i32_e32 vcc_lo, 0, v3
	v_ashrrev_i32_e32 v3, 31, v6
	v_not_b32_e32 v5, v1
	v_lshlrev_b32_e32 v4, 2, v4
	v_and_b32_e32 v0, v0, v2
	s_delay_alu instid0(VALU_DEP_4) | instskip(SKIP_3) | instid1(VALU_DEP_4)
	v_xor_b32_e32 v2, vcc_lo, v3
	v_cmp_gt_i32_e32 vcc_lo, 0, v1
	v_ashrrev_i32_e32 v1, 31, v5
	v_add_lshl_u32 v3, v4, v29, 2
	v_and_b32_e32 v0, v0, v2
	s_delay_alu instid0(VALU_DEP_3) | instskip(SKIP_3) | instid1(VALU_DEP_1)
	v_xor_b32_e32 v1, vcc_lo, v1
	ds_load_b32 v47, v3 offset:16
	v_add_nc_u32_e32 v49, 16, v3
	; wave barrier
	v_and_b32_e32 v0, v0, v1
	v_mbcnt_lo_u32_b32 v48, v0, 0
	v_cmp_ne_u32_e64 s12, 0, v0
	s_delay_alu instid0(VALU_DEP_2) | instskip(NEXT) | instid1(VALU_DEP_2)
	v_cmp_eq_u32_e32 vcc_lo, 0, v48
	s_and_b32 s17, s12, vcc_lo
	s_delay_alu instid0(SALU_CYCLE_1)
	s_and_saveexec_b32 s12, s17
	s_cbranch_execz .LBB15_12
; %bb.11:                               ;   in Loop: Header=BB15_4 Depth=2
	s_waitcnt lgkmcnt(0)
	v_bcnt_u32_b32 v0, v0, v47
	ds_store_b32 v49, v0
.LBB15_12:                              ;   in Loop: Header=BB15_4 Depth=2
	s_or_b32 exec_lo, exec_lo, s12
	v_bfe_u32 v0, v35, s16, 1
	v_lshrrev_b32_e32 v1, s16, v35
	; wave barrier
	s_delay_alu instid0(VALU_DEP_2) | instskip(NEXT) | instid1(VALU_DEP_1)
	v_add_co_u32 v0, s12, v0, -1
	v_cndmask_b32_e64 v2, 0, 1, s12
	s_delay_alu instid0(VALU_DEP_3)
	v_lshlrev_b32_e32 v3, 30, v1
	v_lshlrev_b32_e32 v4, 29, v1
	;; [unrolled: 1-line block ×4, first 2 shown]
	v_cmp_ne_u32_e32 vcc_lo, 0, v2
	v_not_b32_e32 v2, v3
	v_cmp_gt_i32_e64 s12, 0, v3
	v_not_b32_e32 v3, v4
	v_lshlrev_b32_e32 v7, 26, v1
	v_xor_b32_e32 v0, vcc_lo, v0
	v_ashrrev_i32_e32 v2, 31, v2
	v_cmp_gt_i32_e32 vcc_lo, 0, v4
	v_not_b32_e32 v4, v5
	v_ashrrev_i32_e32 v3, 31, v3
	v_and_b32_e32 v0, exec_lo, v0
	v_xor_b32_e32 v2, s12, v2
	v_cmp_gt_i32_e64 s12, 0, v5
	v_not_b32_e32 v5, v6
	v_ashrrev_i32_e32 v4, 31, v4
	v_xor_b32_e32 v3, vcc_lo, v3
	v_and_b32_e32 v0, v0, v2
	v_cmp_gt_i32_e32 vcc_lo, 0, v6
	v_not_b32_e32 v2, v7
	v_ashrrev_i32_e32 v5, 31, v5
	v_xor_b32_e32 v4, s12, v4
	v_and_b32_e32 v0, v0, v3
	v_lshlrev_b32_e32 v3, 25, v1
	v_cmp_gt_i32_e64 s12, 0, v7
	v_ashrrev_i32_e32 v2, 31, v2
	v_xor_b32_e32 v5, vcc_lo, v5
	v_and_b32_e32 v0, v0, v4
	v_not_b32_e32 v6, v3
	v_lshlrev_b32_e32 v1, 24, v1
	v_bfe_u32 v4, v35, s16, 8
	v_xor_b32_e32 v2, s12, v2
	v_and_b32_e32 v0, v0, v5
	v_cmp_gt_i32_e32 vcc_lo, 0, v3
	v_ashrrev_i32_e32 v3, 31, v6
	v_not_b32_e32 v5, v1
	v_lshlrev_b32_e32 v4, 2, v4
	v_and_b32_e32 v0, v0, v2
	s_delay_alu instid0(VALU_DEP_4) | instskip(SKIP_3) | instid1(VALU_DEP_4)
	v_xor_b32_e32 v2, vcc_lo, v3
	v_cmp_gt_i32_e32 vcc_lo, 0, v1
	v_ashrrev_i32_e32 v1, 31, v5
	v_add_lshl_u32 v3, v4, v29, 2
	v_and_b32_e32 v0, v0, v2
	s_delay_alu instid0(VALU_DEP_3) | instskip(SKIP_3) | instid1(VALU_DEP_1)
	v_xor_b32_e32 v1, vcc_lo, v1
	ds_load_b32 v50, v3 offset:16
	v_add_nc_u32_e32 v52, 16, v3
	; wave barrier
	v_and_b32_e32 v0, v0, v1
	v_mbcnt_lo_u32_b32 v51, v0, 0
	v_cmp_ne_u32_e64 s12, 0, v0
	s_delay_alu instid0(VALU_DEP_2) | instskip(NEXT) | instid1(VALU_DEP_2)
	v_cmp_eq_u32_e32 vcc_lo, 0, v51
	s_and_b32 s17, s12, vcc_lo
	s_delay_alu instid0(SALU_CYCLE_1)
	s_and_saveexec_b32 s12, s17
	s_cbranch_execz .LBB15_14
; %bb.13:                               ;   in Loop: Header=BB15_4 Depth=2
	s_waitcnt lgkmcnt(0)
	v_bcnt_u32_b32 v0, v0, v50
	ds_store_b32 v52, v0
.LBB15_14:                              ;   in Loop: Header=BB15_4 Depth=2
	s_or_b32 exec_lo, exec_lo, s12
	v_bfe_u32 v0, v34, s16, 1
	v_lshrrev_b32_e32 v1, s16, v34
	; wave barrier
	s_delay_alu instid0(VALU_DEP_2) | instskip(NEXT) | instid1(VALU_DEP_1)
	v_add_co_u32 v0, s12, v0, -1
	v_cndmask_b32_e64 v2, 0, 1, s12
	s_delay_alu instid0(VALU_DEP_3)
	v_lshlrev_b32_e32 v3, 30, v1
	v_lshlrev_b32_e32 v4, 29, v1
	;; [unrolled: 1-line block ×4, first 2 shown]
	v_cmp_ne_u32_e32 vcc_lo, 0, v2
	v_not_b32_e32 v2, v3
	v_cmp_gt_i32_e64 s12, 0, v3
	v_not_b32_e32 v3, v4
	v_lshlrev_b32_e32 v7, 26, v1
	v_xor_b32_e32 v0, vcc_lo, v0
	v_ashrrev_i32_e32 v2, 31, v2
	v_cmp_gt_i32_e32 vcc_lo, 0, v4
	v_not_b32_e32 v4, v5
	v_ashrrev_i32_e32 v3, 31, v3
	v_and_b32_e32 v0, exec_lo, v0
	v_xor_b32_e32 v2, s12, v2
	v_cmp_gt_i32_e64 s12, 0, v5
	v_not_b32_e32 v5, v6
	v_ashrrev_i32_e32 v4, 31, v4
	v_xor_b32_e32 v3, vcc_lo, v3
	v_and_b32_e32 v0, v0, v2
	v_cmp_gt_i32_e32 vcc_lo, 0, v6
	v_not_b32_e32 v2, v7
	v_ashrrev_i32_e32 v5, 31, v5
	v_xor_b32_e32 v4, s12, v4
	v_and_b32_e32 v0, v0, v3
	v_lshlrev_b32_e32 v3, 25, v1
	v_cmp_gt_i32_e64 s12, 0, v7
	v_ashrrev_i32_e32 v2, 31, v2
	v_xor_b32_e32 v5, vcc_lo, v5
	v_and_b32_e32 v0, v0, v4
	v_not_b32_e32 v6, v3
	v_lshlrev_b32_e32 v1, 24, v1
	v_bfe_u32 v4, v34, s16, 8
	v_xor_b32_e32 v2, s12, v2
	v_and_b32_e32 v0, v0, v5
	v_cmp_gt_i32_e32 vcc_lo, 0, v3
	v_ashrrev_i32_e32 v3, 31, v6
	v_not_b32_e32 v5, v1
	v_lshlrev_b32_e32 v4, 2, v4
	v_and_b32_e32 v0, v0, v2
	s_delay_alu instid0(VALU_DEP_4) | instskip(SKIP_3) | instid1(VALU_DEP_4)
	v_xor_b32_e32 v2, vcc_lo, v3
	v_cmp_gt_i32_e32 vcc_lo, 0, v1
	v_ashrrev_i32_e32 v1, 31, v5
	v_add_lshl_u32 v3, v4, v29, 2
	v_and_b32_e32 v0, v0, v2
	s_delay_alu instid0(VALU_DEP_3) | instskip(SKIP_3) | instid1(VALU_DEP_1)
	v_xor_b32_e32 v1, vcc_lo, v1
	ds_load_b32 v53, v3 offset:16
	v_add_nc_u32_e32 v55, 16, v3
	; wave barrier
	v_and_b32_e32 v0, v0, v1
	v_mbcnt_lo_u32_b32 v54, v0, 0
	v_cmp_ne_u32_e64 s12, 0, v0
	s_delay_alu instid0(VALU_DEP_2) | instskip(NEXT) | instid1(VALU_DEP_2)
	v_cmp_eq_u32_e32 vcc_lo, 0, v54
	s_and_b32 s17, s12, vcc_lo
	s_delay_alu instid0(SALU_CYCLE_1)
	s_and_saveexec_b32 s12, s17
	s_cbranch_execz .LBB15_16
; %bb.15:                               ;   in Loop: Header=BB15_4 Depth=2
	s_waitcnt lgkmcnt(0)
	v_bcnt_u32_b32 v0, v0, v53
	ds_store_b32 v55, v0
.LBB15_16:                              ;   in Loop: Header=BB15_4 Depth=2
	s_or_b32 exec_lo, exec_lo, s12
	v_bfe_u32 v0, v32, s16, 1
	v_lshrrev_b32_e32 v1, s16, v32
	; wave barrier
	s_delay_alu instid0(VALU_DEP_2) | instskip(NEXT) | instid1(VALU_DEP_1)
	v_add_co_u32 v0, s12, v0, -1
	v_cndmask_b32_e64 v2, 0, 1, s12
	s_delay_alu instid0(VALU_DEP_3)
	v_lshlrev_b32_e32 v3, 30, v1
	v_lshlrev_b32_e32 v4, 29, v1
	;; [unrolled: 1-line block ×4, first 2 shown]
	v_cmp_ne_u32_e32 vcc_lo, 0, v2
	v_not_b32_e32 v2, v3
	v_cmp_gt_i32_e64 s12, 0, v3
	v_not_b32_e32 v3, v4
	v_lshlrev_b32_e32 v7, 26, v1
	v_xor_b32_e32 v0, vcc_lo, v0
	v_ashrrev_i32_e32 v2, 31, v2
	v_cmp_gt_i32_e32 vcc_lo, 0, v4
	v_not_b32_e32 v4, v5
	v_ashrrev_i32_e32 v3, 31, v3
	v_and_b32_e32 v0, exec_lo, v0
	v_xor_b32_e32 v2, s12, v2
	v_cmp_gt_i32_e64 s12, 0, v5
	v_not_b32_e32 v5, v6
	v_ashrrev_i32_e32 v4, 31, v4
	v_xor_b32_e32 v3, vcc_lo, v3
	v_and_b32_e32 v0, v0, v2
	v_cmp_gt_i32_e32 vcc_lo, 0, v6
	v_not_b32_e32 v2, v7
	v_ashrrev_i32_e32 v5, 31, v5
	v_xor_b32_e32 v4, s12, v4
	v_and_b32_e32 v0, v0, v3
	v_lshlrev_b32_e32 v3, 25, v1
	v_cmp_gt_i32_e64 s12, 0, v7
	v_ashrrev_i32_e32 v2, 31, v2
	v_xor_b32_e32 v5, vcc_lo, v5
	v_and_b32_e32 v0, v0, v4
	v_not_b32_e32 v6, v3
	v_lshlrev_b32_e32 v1, 24, v1
	v_bfe_u32 v4, v32, s16, 8
	v_xor_b32_e32 v2, s12, v2
	v_and_b32_e32 v0, v0, v5
	v_cmp_gt_i32_e32 vcc_lo, 0, v3
	v_ashrrev_i32_e32 v3, 31, v6
	v_not_b32_e32 v5, v1
	v_lshlrev_b32_e32 v4, 2, v4
	v_and_b32_e32 v0, v0, v2
	s_delay_alu instid0(VALU_DEP_4) | instskip(SKIP_3) | instid1(VALU_DEP_4)
	v_xor_b32_e32 v2, vcc_lo, v3
	v_cmp_gt_i32_e32 vcc_lo, 0, v1
	v_ashrrev_i32_e32 v1, 31, v5
	v_add_lshl_u32 v3, v4, v29, 2
	v_and_b32_e32 v0, v0, v2
	s_delay_alu instid0(VALU_DEP_3) | instskip(SKIP_3) | instid1(VALU_DEP_1)
	v_xor_b32_e32 v1, vcc_lo, v1
	ds_load_b32 v56, v3 offset:16
	v_add_nc_u32_e32 v58, 16, v3
	; wave barrier
	v_and_b32_e32 v0, v0, v1
	v_mbcnt_lo_u32_b32 v57, v0, 0
	v_cmp_ne_u32_e64 s12, 0, v0
	s_delay_alu instid0(VALU_DEP_2) | instskip(NEXT) | instid1(VALU_DEP_2)
	v_cmp_eq_u32_e32 vcc_lo, 0, v57
	s_and_b32 s17, s12, vcc_lo
	s_delay_alu instid0(SALU_CYCLE_1)
	s_and_saveexec_b32 s12, s17
	s_cbranch_execz .LBB15_18
; %bb.17:                               ;   in Loop: Header=BB15_4 Depth=2
	s_waitcnt lgkmcnt(0)
	v_bcnt_u32_b32 v0, v0, v56
	ds_store_b32 v58, v0
.LBB15_18:                              ;   in Loop: Header=BB15_4 Depth=2
	s_or_b32 exec_lo, exec_lo, s12
	v_bfe_u32 v0, v31, s16, 1
	v_lshrrev_b32_e32 v1, s16, v31
	; wave barrier
	s_delay_alu instid0(VALU_DEP_2) | instskip(NEXT) | instid1(VALU_DEP_1)
	v_add_co_u32 v0, s12, v0, -1
	v_cndmask_b32_e64 v2, 0, 1, s12
	s_delay_alu instid0(VALU_DEP_3)
	v_lshlrev_b32_e32 v3, 30, v1
	v_lshlrev_b32_e32 v4, 29, v1
	;; [unrolled: 1-line block ×4, first 2 shown]
	v_cmp_ne_u32_e32 vcc_lo, 0, v2
	v_not_b32_e32 v2, v3
	v_cmp_gt_i32_e64 s12, 0, v3
	v_not_b32_e32 v3, v4
	v_lshlrev_b32_e32 v7, 26, v1
	v_xor_b32_e32 v0, vcc_lo, v0
	v_ashrrev_i32_e32 v2, 31, v2
	v_cmp_gt_i32_e32 vcc_lo, 0, v4
	v_not_b32_e32 v4, v5
	v_ashrrev_i32_e32 v3, 31, v3
	v_and_b32_e32 v0, exec_lo, v0
	v_xor_b32_e32 v2, s12, v2
	v_cmp_gt_i32_e64 s12, 0, v5
	v_not_b32_e32 v5, v6
	v_ashrrev_i32_e32 v4, 31, v4
	v_xor_b32_e32 v3, vcc_lo, v3
	v_and_b32_e32 v0, v0, v2
	v_cmp_gt_i32_e32 vcc_lo, 0, v6
	v_not_b32_e32 v2, v7
	v_ashrrev_i32_e32 v5, 31, v5
	v_xor_b32_e32 v4, s12, v4
	v_and_b32_e32 v0, v0, v3
	v_lshlrev_b32_e32 v3, 25, v1
	v_cmp_gt_i32_e64 s12, 0, v7
	v_ashrrev_i32_e32 v2, 31, v2
	v_xor_b32_e32 v5, vcc_lo, v5
	v_and_b32_e32 v0, v0, v4
	v_not_b32_e32 v6, v3
	v_lshlrev_b32_e32 v1, 24, v1
	v_bfe_u32 v4, v31, s16, 8
	v_xor_b32_e32 v2, s12, v2
	v_and_b32_e32 v0, v0, v5
	v_cmp_gt_i32_e32 vcc_lo, 0, v3
	v_ashrrev_i32_e32 v3, 31, v6
	v_not_b32_e32 v5, v1
	v_lshlrev_b32_e32 v4, 2, v4
	v_and_b32_e32 v0, v0, v2
	s_delay_alu instid0(VALU_DEP_4) | instskip(SKIP_3) | instid1(VALU_DEP_4)
	v_xor_b32_e32 v2, vcc_lo, v3
	v_cmp_gt_i32_e32 vcc_lo, 0, v1
	v_ashrrev_i32_e32 v1, 31, v5
	v_add_lshl_u32 v3, v4, v29, 2
	v_and_b32_e32 v0, v0, v2
	s_delay_alu instid0(VALU_DEP_3) | instskip(SKIP_3) | instid1(VALU_DEP_1)
	v_xor_b32_e32 v1, vcc_lo, v1
	ds_load_b32 v60, v3 offset:16
	v_add_nc_u32_e32 v59, 16, v3
	; wave barrier
	v_and_b32_e32 v0, v0, v1
	v_mbcnt_lo_u32_b32 v61, v0, 0
	v_cmp_ne_u32_e64 s12, 0, v0
	s_delay_alu instid0(VALU_DEP_2) | instskip(NEXT) | instid1(VALU_DEP_2)
	v_cmp_eq_u32_e32 vcc_lo, 0, v61
	s_and_b32 s17, s12, vcc_lo
	s_delay_alu instid0(SALU_CYCLE_1)
	s_and_saveexec_b32 s12, s17
	s_cbranch_execz .LBB15_20
; %bb.19:                               ;   in Loop: Header=BB15_4 Depth=2
	s_waitcnt lgkmcnt(0)
	v_bcnt_u32_b32 v0, v0, v60
	ds_store_b32 v59, v0
.LBB15_20:                              ;   in Loop: Header=BB15_4 Depth=2
	s_or_b32 exec_lo, exec_lo, s12
	; wave barrier
	s_waitcnt lgkmcnt(0)
	s_barrier
	buffer_gl0_inv
	ds_load_2addr_b64 v[4:7], v21 offset0:2 offset1:3
	ds_load_2addr_b64 v[0:3], v22 offset0:2 offset1:3
	s_waitcnt lgkmcnt(1)
	v_add_nc_u32_e32 v62, v5, v4
	s_delay_alu instid0(VALU_DEP_1) | instskip(SKIP_1) | instid1(VALU_DEP_1)
	v_add3_u32 v62, v62, v6, v7
	s_waitcnt lgkmcnt(0)
	v_add3_u32 v62, v62, v0, v1
	s_delay_alu instid0(VALU_DEP_1) | instskip(NEXT) | instid1(VALU_DEP_1)
	v_add3_u32 v3, v62, v2, v3
	v_mov_b32_dpp v62, v3 row_shr:1 row_mask:0xf bank_mask:0xf
	s_delay_alu instid0(VALU_DEP_1) | instskip(NEXT) | instid1(VALU_DEP_1)
	v_cndmask_b32_e64 v62, v62, 0, s1
	v_add_nc_u32_e32 v3, v62, v3
	s_delay_alu instid0(VALU_DEP_1) | instskip(NEXT) | instid1(VALU_DEP_1)
	v_mov_b32_dpp v62, v3 row_shr:2 row_mask:0xf bank_mask:0xf
	v_cndmask_b32_e64 v62, 0, v62, s2
	s_delay_alu instid0(VALU_DEP_1) | instskip(NEXT) | instid1(VALU_DEP_1)
	v_add_nc_u32_e32 v3, v3, v62
	v_mov_b32_dpp v62, v3 row_shr:4 row_mask:0xf bank_mask:0xf
	s_delay_alu instid0(VALU_DEP_1) | instskip(NEXT) | instid1(VALU_DEP_1)
	v_cndmask_b32_e64 v62, 0, v62, s3
	v_add_nc_u32_e32 v3, v3, v62
	s_delay_alu instid0(VALU_DEP_1) | instskip(NEXT) | instid1(VALU_DEP_1)
	v_mov_b32_dpp v62, v3 row_shr:8 row_mask:0xf bank_mask:0xf
	v_cndmask_b32_e64 v62, 0, v62, s4
	s_delay_alu instid0(VALU_DEP_1) | instskip(SKIP_3) | instid1(VALU_DEP_1)
	v_add_nc_u32_e32 v3, v3, v62
	ds_swizzle_b32 v62, v3 offset:swizzle(BROADCAST,32,15)
	s_waitcnt lgkmcnt(0)
	v_cndmask_b32_e64 v62, v62, 0, s5
	v_add_nc_u32_e32 v3, v3, v62
	s_and_saveexec_b32 s12, s11
	s_cbranch_execz .LBB15_22
; %bb.21:                               ;   in Loop: Header=BB15_4 Depth=2
	ds_store_b32 v24, v3
.LBB15_22:                              ;   in Loop: Header=BB15_4 Depth=2
	s_or_b32 exec_lo, exec_lo, s12
	s_waitcnt lgkmcnt(0)
	s_barrier
	buffer_gl0_inv
	s_and_saveexec_b32 s12, s6
	s_cbranch_execz .LBB15_24
; %bb.23:                               ;   in Loop: Header=BB15_4 Depth=2
	ds_load_b32 v62, v25
	s_waitcnt lgkmcnt(0)
	v_mov_b32_dpp v63, v62 row_shr:1 row_mask:0xf bank_mask:0xf
	s_delay_alu instid0(VALU_DEP_1) | instskip(NEXT) | instid1(VALU_DEP_1)
	v_cndmask_b32_e64 v63, v63, 0, s9
	v_add_nc_u32_e32 v62, v63, v62
	s_delay_alu instid0(VALU_DEP_1) | instskip(NEXT) | instid1(VALU_DEP_1)
	v_mov_b32_dpp v63, v62 row_shr:2 row_mask:0xf bank_mask:0xf
	v_cndmask_b32_e64 v63, 0, v63, s10
	s_delay_alu instid0(VALU_DEP_1)
	v_add_nc_u32_e32 v62, v62, v63
	ds_store_b32 v25, v62
.LBB15_24:                              ;   in Loop: Header=BB15_4 Depth=2
	s_or_b32 exec_lo, exec_lo, s12
	v_mov_b32_e32 v62, 0
	s_waitcnt lgkmcnt(0)
	s_barrier
	buffer_gl0_inv
	s_and_saveexec_b32 s12, s7
	s_cbranch_execz .LBB15_26
; %bb.25:                               ;   in Loop: Header=BB15_4 Depth=2
	ds_load_b32 v62, v28
.LBB15_26:                              ;   in Loop: Header=BB15_4 Depth=2
	s_or_b32 exec_lo, exec_lo, s12
	s_waitcnt lgkmcnt(0)
	v_add_nc_u32_e32 v3, v62, v3
	s_cmp_gt_u32 s16, 23
	ds_bpermute_b32 v3, v23, v3
	s_waitcnt lgkmcnt(0)
	v_cndmask_b32_e64 v3, v3, v62, s0
	s_delay_alu instid0(VALU_DEP_1) | instskip(NEXT) | instid1(VALU_DEP_1)
	v_cndmask_b32_e64 v3, v3, 0, s8
	v_add_nc_u32_e32 v4, v3, v4
	s_delay_alu instid0(VALU_DEP_1) | instskip(NEXT) | instid1(VALU_DEP_1)
	v_add_nc_u32_e32 v5, v4, v5
	v_add_nc_u32_e32 v6, v5, v6
	s_delay_alu instid0(VALU_DEP_1) | instskip(NEXT) | instid1(VALU_DEP_1)
	v_add_nc_u32_e32 v62, v6, v7
	;; [unrolled: 3-line block ×3, first 2 shown]
	v_add_nc_u32_e32 v1, v0, v2
	ds_store_2addr_b64 v21, v[3:4], v[5:6] offset0:2 offset1:3
	ds_store_2addr_b64 v22, v[62:63], v[0:1] offset0:2 offset1:3
	s_waitcnt lgkmcnt(0)
	s_barrier
	buffer_gl0_inv
	ds_load_b32 v0, v14
	ds_load_b32 v1, v17
	;; [unrolled: 1-line block ×8, first 2 shown]
	s_waitcnt lgkmcnt(7)
	v_add_nc_u32_e32 v59, v0, v13
	s_waitcnt lgkmcnt(6)
	v_add3_u32 v58, v16, v15, v1
	s_waitcnt lgkmcnt(5)
	v_add3_u32 v55, v19, v18, v2
	;; [unrolled: 2-line block ×7, first 2 shown]
	s_cbranch_scc0 .LBB15_3
; %bb.27:                               ;   in Loop: Header=BB15_2 Depth=1
                                        ; implicit-def: $vgpr20
                                        ; implicit-def: $vgpr18
                                        ; implicit-def: $vgpr16
                                        ; implicit-def: $vgpr14
                                        ; implicit-def: $vgpr7
                                        ; implicit-def: $vgpr5
                                        ; implicit-def: $vgpr3
                                        ; implicit-def: $vgpr1
                                        ; implicit-def: $sgpr16
	s_branch .LBB15_1
.LBB15_28:
	s_waitcnt lgkmcnt(1)
	v_add_nc_u32_e32 v4, v15, v4
	v_lshlrev_b32_e32 v8, 2, v8
	v_add_nc_u32_e32 v5, v16, v5
	v_add_nc_u32_e32 v6, v17, v6
	s_add_u32 s0, s18, s14
	v_add_nc_u32_e32 v7, v18, v7
	s_addc_u32 s1, s19, s15
	s_waitcnt lgkmcnt(0)
	v_add_nc_u32_e32 v0, v19, v0
	v_add_nc_u32_e32 v1, v20, v1
	;; [unrolled: 1-line block ×4, first 2 shown]
	s_clause 0x7
	global_store_b32 v8, v4, s[0:1]
	global_store_b32 v8, v5, s[0:1] offset:512
	global_store_b32 v8, v6, s[0:1] offset:1024
	;; [unrolled: 1-line block ×7, first 2 shown]
	s_nop 0
	s_sendmsg sendmsg(MSG_DEALLOC_VGPRS)
	s_endpgm
	.section	.rodata,"a",@progbits
	.p2align	6, 0x0
	.amdhsa_kernel _Z17sort_pairs_kernelI22helper_blocked_blockediLj128ELj8ELj10EEvPKT0_PS1_
		.amdhsa_group_segment_fixed_size 4112
		.amdhsa_private_segment_fixed_size 0
		.amdhsa_kernarg_size 272
		.amdhsa_user_sgpr_count 15
		.amdhsa_user_sgpr_dispatch_ptr 0
		.amdhsa_user_sgpr_queue_ptr 0
		.amdhsa_user_sgpr_kernarg_segment_ptr 1
		.amdhsa_user_sgpr_dispatch_id 0
		.amdhsa_user_sgpr_private_segment_size 0
		.amdhsa_wavefront_size32 1
		.amdhsa_uses_dynamic_stack 0
		.amdhsa_enable_private_segment 0
		.amdhsa_system_sgpr_workgroup_id_x 1
		.amdhsa_system_sgpr_workgroup_id_y 0
		.amdhsa_system_sgpr_workgroup_id_z 0
		.amdhsa_system_sgpr_workgroup_info 0
		.amdhsa_system_vgpr_workitem_id 2
		.amdhsa_next_free_vgpr 64
		.amdhsa_next_free_sgpr 20
		.amdhsa_reserve_vcc 1
		.amdhsa_float_round_mode_32 0
		.amdhsa_float_round_mode_16_64 0
		.amdhsa_float_denorm_mode_32 3
		.amdhsa_float_denorm_mode_16_64 3
		.amdhsa_dx10_clamp 1
		.amdhsa_ieee_mode 1
		.amdhsa_fp16_overflow 0
		.amdhsa_workgroup_processor_mode 1
		.amdhsa_memory_ordered 1
		.amdhsa_forward_progress 0
		.amdhsa_shared_vgpr_count 0
		.amdhsa_exception_fp_ieee_invalid_op 0
		.amdhsa_exception_fp_denorm_src 0
		.amdhsa_exception_fp_ieee_div_zero 0
		.amdhsa_exception_fp_ieee_overflow 0
		.amdhsa_exception_fp_ieee_underflow 0
		.amdhsa_exception_fp_ieee_inexact 0
		.amdhsa_exception_int_div_zero 0
	.end_amdhsa_kernel
	.section	.text._Z17sort_pairs_kernelI22helper_blocked_blockediLj128ELj8ELj10EEvPKT0_PS1_,"axG",@progbits,_Z17sort_pairs_kernelI22helper_blocked_blockediLj128ELj8ELj10EEvPKT0_PS1_,comdat
.Lfunc_end15:
	.size	_Z17sort_pairs_kernelI22helper_blocked_blockediLj128ELj8ELj10EEvPKT0_PS1_, .Lfunc_end15-_Z17sort_pairs_kernelI22helper_blocked_blockediLj128ELj8ELj10EEvPKT0_PS1_
                                        ; -- End function
	.section	.AMDGPU.csdata,"",@progbits
; Kernel info:
; codeLenInByte = 4812
; NumSgprs: 22
; NumVgprs: 64
; ScratchSize: 0
; MemoryBound: 0
; FloatMode: 240
; IeeeMode: 1
; LDSByteSize: 4112 bytes/workgroup (compile time only)
; SGPRBlocks: 2
; VGPRBlocks: 7
; NumSGPRsForWavesPerEU: 22
; NumVGPRsForWavesPerEU: 64
; Occupancy: 16
; WaveLimiterHint : 1
; COMPUTE_PGM_RSRC2:SCRATCH_EN: 0
; COMPUTE_PGM_RSRC2:USER_SGPR: 15
; COMPUTE_PGM_RSRC2:TRAP_HANDLER: 0
; COMPUTE_PGM_RSRC2:TGID_X_EN: 1
; COMPUTE_PGM_RSRC2:TGID_Y_EN: 0
; COMPUTE_PGM_RSRC2:TGID_Z_EN: 0
; COMPUTE_PGM_RSRC2:TIDIG_COMP_CNT: 2
	.section	.text._Z16sort_keys_kernelI22helper_blocked_blockediLj192ELj1ELj10EEvPKT0_PS1_,"axG",@progbits,_Z16sort_keys_kernelI22helper_blocked_blockediLj192ELj1ELj10EEvPKT0_PS1_,comdat
	.protected	_Z16sort_keys_kernelI22helper_blocked_blockediLj192ELj1ELj10EEvPKT0_PS1_ ; -- Begin function _Z16sort_keys_kernelI22helper_blocked_blockediLj192ELj1ELj10EEvPKT0_PS1_
	.globl	_Z16sort_keys_kernelI22helper_blocked_blockediLj192ELj1ELj10EEvPKT0_PS1_
	.p2align	8
	.type	_Z16sort_keys_kernelI22helper_blocked_blockediLj192ELj1ELj10EEvPKT0_PS1_,@function
_Z16sort_keys_kernelI22helper_blocked_blockediLj192ELj1ELj10EEvPKT0_PS1_: ; @_Z16sort_keys_kernelI22helper_blocked_blockediLj192ELj1ELj10EEvPKT0_PS1_
; %bb.0:
	s_clause 0x1
	s_load_b128 s[16:19], s[0:1], 0x0
	s_load_b32 s11, s[0:1], 0x1c
	s_mov_b32 s23, 0
	s_mul_i32 s22, s15, 0xc0
	v_mbcnt_lo_u32_b32 v3, -1, 0
	s_lshl_b64 s[20:21], s[22:23], 2
	s_mov_b32 s22, s23
	s_mov_b32 s15, 10
	s_delay_alu instid0(VALU_DEP_1) | instskip(SKIP_3) | instid1(VALU_DEP_4)
	v_dual_mov_b32 v11, s22 :: v_dual_and_b32 v4, 15, v3
	v_add_nc_u32_e32 v6, -1, v3
	v_and_b32_e32 v7, 7, v3
	v_dual_mov_b32 v12, s23 :: v_dual_and_b32 v5, 16, v3
	v_cmp_lt_u32_e64 s2, 3, v4
	v_cmp_lt_u32_e64 s3, 7, v4
	v_cmp_gt_i32_e64 s7, 0, v6
	v_cmp_eq_u32_e64 s8, 0, v7
	v_cmp_lt_u32_e64 s9, 1, v7
	v_cmp_lt_u32_e64 s10, 3, v7
	s_waitcnt lgkmcnt(0)
	s_add_u32 s0, s16, s20
	s_addc_u32 s1, s17, s21
	s_mov_b32 s16, s23
	s_mov_b32 s17, s23
	v_dual_mov_b32 v9, s16 :: v_dual_and_b32 v8, 0x3ff, v0
	v_mov_b32_e32 v10, s17
	s_lshr_b32 s12, s11, 16
	v_cmp_eq_u32_e64 s4, 0, v5
	s_delay_alu instid0(VALU_DEP_3)
	v_lshlrev_b32_e32 v1, 2, v8
	v_cndmask_b32_e64 v5, v6, v3, s7
	v_lshrrev_b32_e32 v6, 3, v8
	s_and_b32 s11, s11, 0xffff
	v_cmp_eq_u32_e32 vcc_lo, 0, v3
	global_load_b32 v2, v1, s[0:1]
	v_bfe_u32 v1, v0, 10, 10
	v_bfe_u32 v0, v0, 20, 10
	v_cmp_eq_u32_e64 s0, 0, v4
	v_cmp_lt_u32_e64 s1, 1, v4
	v_and_b32_e32 v4, 0xe0, v8
	v_lshlrev_b32_e32 v13, 5, v8
	v_mad_u32_u24 v7, v0, s12, v1
	v_mul_i32_i24_e32 v20, 0xffffffe4, v8
	v_and_b32_e32 v14, 28, v6
	v_min_u32_e32 v15, 0xa0, v4
	v_cmp_gt_u32_e64 s5, 6, v8
	v_mad_u64_u32 v[0:1], null, v7, s11, v[8:9]
	v_or_b32_e32 v1, v3, v4
	s_delay_alu instid0(VALU_DEP_4)
	v_or_b32_e32 v3, 31, v15
	v_cmp_lt_u32_e64 s6, 31, v8
	v_cmp_eq_u32_e64 s7, 0, v8
	v_or_b32_e32 v15, 24, v13
	v_lshlrev_b32_e32 v16, 2, v5
	v_add_nc_u32_e32 v17, -4, v14
	v_lshlrev_b32_e32 v18, 2, v1
	v_cmp_eq_u32_e64 s11, v3, v8
	v_lshrrev_b32_e32 v19, 5, v0
	v_add_nc_u32_e32 v20, v13, v20
	s_waitcnt vmcnt(0)
	v_xor_b32_e32 v21, 0x80000000, v2
	s_branch .LBB16_2
.LBB16_1:                               ;   in Loop: Header=BB16_2 Depth=1
	s_or_b32 exec_lo, exec_lo, s12
	s_waitcnt lgkmcnt(0)
	v_add_nc_u32_e32 v3, v24, v3
	s_add_i32 s15, s15, -1
	s_delay_alu instid0(SALU_CYCLE_1) | instskip(SKIP_3) | instid1(VALU_DEP_1)
	s_cmp_eq_u32 s15, 0
	ds_bpermute_b32 v3, v16, v3
	s_waitcnt lgkmcnt(0)
	v_cndmask_b32_e32 v3, v3, v24, vcc_lo
	v_cndmask_b32_e64 v3, v3, 0, s7
	s_delay_alu instid0(VALU_DEP_1) | instskip(NEXT) | instid1(VALU_DEP_1)
	v_add_nc_u32_e32 v4, v3, v4
	v_add_nc_u32_e32 v5, v4, v5
	s_delay_alu instid0(VALU_DEP_1) | instskip(NEXT) | instid1(VALU_DEP_1)
	v_add_nc_u32_e32 v6, v5, v6
	v_add_nc_u32_e32 v24, v6, v7
	;; [unrolled: 3-line block ×3, first 2 shown]
	s_delay_alu instid0(VALU_DEP_1)
	v_add_nc_u32_e32 v1, v0, v2
	ds_store_2addr_b64 v13, v[3:4], v[5:6] offset0:3 offset1:4
	ds_store_2addr_b64 v15, v[24:25], v[0:1] offset0:2 offset1:3
	s_waitcnt lgkmcnt(0)
	s_barrier
	buffer_gl0_inv
	ds_load_b32 v0, v23
	v_lshlrev_b32_e32 v1, 2, v22
	s_waitcnt lgkmcnt(0)
	s_barrier
	buffer_gl0_inv
	v_lshl_add_u32 v0, v0, 2, v1
	ds_store_b32 v0, v21
	s_waitcnt lgkmcnt(0)
	s_barrier
	buffer_gl0_inv
	ds_load_b32 v21, v20
	s_cbranch_scc1 .LBB16_34
.LBB16_2:                               ; =>This Inner Loop Header: Depth=1
	s_waitcnt lgkmcnt(0)
	s_delay_alu instid0(VALU_DEP_1)
	v_and_b32_e32 v0, 1, v21
	v_lshlrev_b32_e32 v1, 30, v21
	v_lshlrev_b32_e32 v2, 29, v21
	;; [unrolled: 1-line block ×4, first 2 shown]
	v_add_co_u32 v0, s12, v0, -1
	s_delay_alu instid0(VALU_DEP_1)
	v_cndmask_b32_e64 v3, 0, 1, s12
	v_not_b32_e32 v7, v1
	v_cmp_gt_i32_e64 s13, 0, v1
	v_not_b32_e32 v1, v2
	v_lshlrev_b32_e32 v6, 26, v21
	v_cmp_ne_u32_e64 s12, 0, v3
	v_ashrrev_i32_e32 v7, 31, v7
	v_lshlrev_b32_e32 v3, 25, v21
	v_ashrrev_i32_e32 v1, 31, v1
	v_cmp_gt_i32_e64 s14, 0, v5
	v_xor_b32_e32 v0, s12, v0
	v_cmp_gt_i32_e64 s12, 0, v2
	v_not_b32_e32 v2, v4
	v_xor_b32_e32 v7, s13, v7
	v_cmp_gt_i32_e64 s13, 0, v4
	v_and_b32_e32 v0, exec_lo, v0
	v_xor_b32_e32 v1, s12, v1
	v_ashrrev_i32_e32 v2, 31, v2
	v_not_b32_e32 v4, v5
	v_not_b32_e32 v5, v6
	v_and_b32_e32 v0, v0, v7
	v_cmp_gt_i32_e64 s12, 0, v6
	v_xor_b32_e32 v2, s13, v2
	v_not_b32_e32 v6, v3
	ds_store_2addr_b64 v13, v[11:12], v[9:10] offset0:3 offset1:4
	ds_store_2addr_b64 v15, v[11:12], v[9:10] offset0:2 offset1:3
	v_and_b32_e32 v0, v0, v1
	v_ashrrev_i32_e32 v1, 31, v4
	v_ashrrev_i32_e32 v4, 31, v5
	v_lshlrev_b32_e32 v5, 24, v21
	s_waitcnt lgkmcnt(0)
	v_and_b32_e32 v0, v0, v2
	v_xor_b32_e32 v1, s14, v1
	v_xor_b32_e32 v2, s12, v4
	v_cmp_gt_i32_e64 s12, 0, v3
	v_not_b32_e32 v3, v5
	v_ashrrev_i32_e32 v4, 31, v6
	v_and_b32_e32 v0, v0, v1
	v_cmp_gt_i32_e64 s13, 0, v5
	s_barrier
	v_ashrrev_i32_e32 v1, 31, v3
	v_xor_b32_e32 v3, s12, v4
	v_and_b32_e32 v0, v0, v2
	buffer_gl0_inv
	v_xor_b32_e32 v1, s13, v1
	; wave barrier
	v_and_b32_e32 v0, v0, v3
	s_delay_alu instid0(VALU_DEP_1) | instskip(SKIP_1) | instid1(VALU_DEP_2)
	v_and_b32_e32 v0, v0, v1
	v_and_b32_e32 v1, 0xff, v21
	v_mbcnt_lo_u32_b32 v22, v0, 0
	s_delay_alu instid0(VALU_DEP_2) | instskip(SKIP_1) | instid1(VALU_DEP_3)
	v_mad_u32_u24 v1, v1, 6, v19
	v_cmp_ne_u32_e64 s13, 0, v0
	v_cmp_eq_u32_e64 s12, 0, v22
	s_delay_alu instid0(VALU_DEP_3) | instskip(NEXT) | instid1(VALU_DEP_2)
	v_lshl_add_u32 v23, v1, 2, 24
	s_and_b32 s13, s13, s12
	s_delay_alu instid0(SALU_CYCLE_1)
	s_and_saveexec_b32 s12, s13
	s_cbranch_execz .LBB16_4
; %bb.3:                                ;   in Loop: Header=BB16_2 Depth=1
	v_bcnt_u32_b32 v0, v0, 0
	ds_store_b32 v23, v0
.LBB16_4:                               ;   in Loop: Header=BB16_2 Depth=1
	s_or_b32 exec_lo, exec_lo, s12
	; wave barrier
	s_waitcnt lgkmcnt(0)
	s_barrier
	buffer_gl0_inv
	ds_load_2addr_b64 v[4:7], v13 offset0:3 offset1:4
	ds_load_2addr_b64 v[0:3], v15 offset0:2 offset1:3
	s_waitcnt lgkmcnt(1)
	v_add_nc_u32_e32 v24, v5, v4
	s_delay_alu instid0(VALU_DEP_1) | instskip(SKIP_1) | instid1(VALU_DEP_1)
	v_add3_u32 v24, v24, v6, v7
	s_waitcnt lgkmcnt(0)
	v_add3_u32 v24, v24, v0, v1
	s_delay_alu instid0(VALU_DEP_1) | instskip(NEXT) | instid1(VALU_DEP_1)
	v_add3_u32 v3, v24, v2, v3
	v_mov_b32_dpp v24, v3 row_shr:1 row_mask:0xf bank_mask:0xf
	s_delay_alu instid0(VALU_DEP_1) | instskip(NEXT) | instid1(VALU_DEP_1)
	v_cndmask_b32_e64 v24, v24, 0, s0
	v_add_nc_u32_e32 v3, v24, v3
	s_delay_alu instid0(VALU_DEP_1) | instskip(NEXT) | instid1(VALU_DEP_1)
	v_mov_b32_dpp v24, v3 row_shr:2 row_mask:0xf bank_mask:0xf
	v_cndmask_b32_e64 v24, 0, v24, s1
	s_delay_alu instid0(VALU_DEP_1) | instskip(NEXT) | instid1(VALU_DEP_1)
	v_add_nc_u32_e32 v3, v3, v24
	v_mov_b32_dpp v24, v3 row_shr:4 row_mask:0xf bank_mask:0xf
	s_delay_alu instid0(VALU_DEP_1) | instskip(NEXT) | instid1(VALU_DEP_1)
	v_cndmask_b32_e64 v24, 0, v24, s2
	v_add_nc_u32_e32 v3, v3, v24
	s_delay_alu instid0(VALU_DEP_1) | instskip(NEXT) | instid1(VALU_DEP_1)
	v_mov_b32_dpp v24, v3 row_shr:8 row_mask:0xf bank_mask:0xf
	v_cndmask_b32_e64 v24, 0, v24, s3
	s_delay_alu instid0(VALU_DEP_1) | instskip(SKIP_3) | instid1(VALU_DEP_1)
	v_add_nc_u32_e32 v3, v3, v24
	ds_swizzle_b32 v24, v3 offset:swizzle(BROADCAST,32,15)
	s_waitcnt lgkmcnt(0)
	v_cndmask_b32_e64 v24, v24, 0, s4
	v_add_nc_u32_e32 v3, v3, v24
	s_and_saveexec_b32 s12, s11
	s_cbranch_execz .LBB16_6
; %bb.5:                                ;   in Loop: Header=BB16_2 Depth=1
	ds_store_b32 v14, v3
.LBB16_6:                               ;   in Loop: Header=BB16_2 Depth=1
	s_or_b32 exec_lo, exec_lo, s12
	s_waitcnt lgkmcnt(0)
	s_barrier
	buffer_gl0_inv
	s_and_saveexec_b32 s12, s5
	s_cbranch_execz .LBB16_8
; %bb.7:                                ;   in Loop: Header=BB16_2 Depth=1
	ds_load_b32 v24, v20
	s_waitcnt lgkmcnt(0)
	v_mov_b32_dpp v25, v24 row_shr:1 row_mask:0xf bank_mask:0xf
	s_delay_alu instid0(VALU_DEP_1) | instskip(NEXT) | instid1(VALU_DEP_1)
	v_cndmask_b32_e64 v25, v25, 0, s8
	v_add_nc_u32_e32 v24, v25, v24
	s_delay_alu instid0(VALU_DEP_1) | instskip(NEXT) | instid1(VALU_DEP_1)
	v_mov_b32_dpp v25, v24 row_shr:2 row_mask:0xf bank_mask:0xf
	v_cndmask_b32_e64 v25, 0, v25, s9
	s_delay_alu instid0(VALU_DEP_1) | instskip(NEXT) | instid1(VALU_DEP_1)
	v_add_nc_u32_e32 v24, v24, v25
	v_mov_b32_dpp v25, v24 row_shr:4 row_mask:0xf bank_mask:0xf
	s_delay_alu instid0(VALU_DEP_1) | instskip(NEXT) | instid1(VALU_DEP_1)
	v_cndmask_b32_e64 v25, 0, v25, s10
	v_add_nc_u32_e32 v24, v24, v25
	ds_store_b32 v20, v24
.LBB16_8:                               ;   in Loop: Header=BB16_2 Depth=1
	s_or_b32 exec_lo, exec_lo, s12
	v_mov_b32_e32 v24, 0
	s_waitcnt lgkmcnt(0)
	s_barrier
	buffer_gl0_inv
	s_and_saveexec_b32 s12, s6
	s_cbranch_execz .LBB16_10
; %bb.9:                                ;   in Loop: Header=BB16_2 Depth=1
	ds_load_b32 v24, v17
.LBB16_10:                              ;   in Loop: Header=BB16_2 Depth=1
	s_or_b32 exec_lo, exec_lo, s12
	s_waitcnt lgkmcnt(0)
	v_add_nc_u32_e32 v3, v24, v3
	ds_bpermute_b32 v3, v16, v3
	s_waitcnt lgkmcnt(0)
	v_cndmask_b32_e32 v3, v3, v24, vcc_lo
	s_delay_alu instid0(VALU_DEP_1) | instskip(NEXT) | instid1(VALU_DEP_1)
	v_cndmask_b32_e64 v3, v3, 0, s7
	v_add_nc_u32_e32 v4, v3, v4
	s_delay_alu instid0(VALU_DEP_1) | instskip(NEXT) | instid1(VALU_DEP_1)
	v_add_nc_u32_e32 v5, v4, v5
	v_add_nc_u32_e32 v6, v5, v6
	s_delay_alu instid0(VALU_DEP_1) | instskip(NEXT) | instid1(VALU_DEP_1)
	v_add_nc_u32_e32 v24, v6, v7
	;; [unrolled: 3-line block ×3, first 2 shown]
	v_add_nc_u32_e32 v1, v0, v2
	ds_store_2addr_b64 v13, v[3:4], v[5:6] offset0:3 offset1:4
	ds_store_2addr_b64 v15, v[24:25], v[0:1] offset0:2 offset1:3
	s_waitcnt lgkmcnt(0)
	s_barrier
	buffer_gl0_inv
	ds_load_b32 v0, v23
	v_lshlrev_b32_e32 v1, 2, v22
	s_waitcnt lgkmcnt(0)
	s_barrier
	buffer_gl0_inv
	v_lshl_add_u32 v0, v0, 2, v1
	ds_store_b32 v0, v21
	s_waitcnt lgkmcnt(0)
	s_barrier
	buffer_gl0_inv
	ds_load_b32 v21, v18
	s_waitcnt lgkmcnt(0)
	s_barrier
	buffer_gl0_inv
	ds_store_2addr_b64 v13, v[11:12], v[9:10] offset0:3 offset1:4
	ds_store_2addr_b64 v15, v[11:12], v[9:10] offset0:2 offset1:3
	s_waitcnt lgkmcnt(0)
	s_barrier
	buffer_gl0_inv
	; wave barrier
	v_bfe_u32 v0, v21, 8, 1
	v_lshrrev_b32_e32 v1, 8, v21
	s_delay_alu instid0(VALU_DEP_2) | instskip(NEXT) | instid1(VALU_DEP_1)
	v_add_co_u32 v0, s12, v0, -1
	v_cndmask_b32_e64 v2, 0, 1, s12
	s_delay_alu instid0(VALU_DEP_3)
	v_lshlrev_b32_e32 v3, 30, v1
	v_lshlrev_b32_e32 v4, 29, v1
	;; [unrolled: 1-line block ×4, first 2 shown]
	v_cmp_ne_u32_e64 s12, 0, v2
	v_not_b32_e32 v2, v3
	v_cmp_gt_i32_e64 s13, 0, v3
	v_not_b32_e32 v3, v4
	v_lshlrev_b32_e32 v7, 26, v1
	v_xor_b32_e32 v0, s12, v0
	v_ashrrev_i32_e32 v2, 31, v2
	v_cmp_gt_i32_e64 s12, 0, v4
	v_not_b32_e32 v4, v5
	v_ashrrev_i32_e32 v3, 31, v3
	v_and_b32_e32 v0, exec_lo, v0
	v_xor_b32_e32 v2, s13, v2
	v_cmp_gt_i32_e64 s13, 0, v5
	v_not_b32_e32 v5, v6
	v_ashrrev_i32_e32 v4, 31, v4
	v_xor_b32_e32 v3, s12, v3
	v_and_b32_e32 v0, v0, v2
	v_lshlrev_b32_e32 v22, 25, v1
	v_cmp_gt_i32_e64 s12, 0, v6
	v_not_b32_e32 v2, v7
	v_ashrrev_i32_e32 v5, 31, v5
	v_xor_b32_e32 v4, s13, v4
	v_and_b32_e32 v0, v0, v3
	v_lshlrev_b32_e32 v1, 24, v1
	v_cmp_gt_i32_e64 s13, 0, v7
	v_not_b32_e32 v3, v22
	v_ashrrev_i32_e32 v2, 31, v2
	v_xor_b32_e32 v5, s12, v5
	v_and_b32_e32 v0, v0, v4
	v_cmp_gt_i32_e64 s12, 0, v22
	v_not_b32_e32 v4, v1
	v_ashrrev_i32_e32 v3, 31, v3
	v_xor_b32_e32 v2, s13, v2
	v_and_b32_e32 v0, v0, v5
	v_cmp_gt_i32_e64 s13, 0, v1
	v_ashrrev_i32_e32 v1, 31, v4
	v_xor_b32_e32 v3, s12, v3
	s_delay_alu instid0(VALU_DEP_4) | instskip(NEXT) | instid1(VALU_DEP_3)
	v_and_b32_e32 v0, v0, v2
	v_xor_b32_e32 v1, s13, v1
	s_delay_alu instid0(VALU_DEP_2) | instskip(NEXT) | instid1(VALU_DEP_1)
	v_and_b32_e32 v0, v0, v3
	v_and_b32_e32 v0, v0, v1
	v_bfe_u32 v1, v21, 8, 8
	s_delay_alu instid0(VALU_DEP_2) | instskip(NEXT) | instid1(VALU_DEP_2)
	v_mbcnt_lo_u32_b32 v22, v0, 0
	v_mad_u32_u24 v1, v1, 6, v19
	v_cmp_ne_u32_e64 s13, 0, v0
	s_delay_alu instid0(VALU_DEP_3) | instskip(NEXT) | instid1(VALU_DEP_3)
	v_cmp_eq_u32_e64 s12, 0, v22
	v_lshl_add_u32 v23, v1, 2, 24
	s_delay_alu instid0(VALU_DEP_2) | instskip(NEXT) | instid1(SALU_CYCLE_1)
	s_and_b32 s13, s13, s12
	s_and_saveexec_b32 s12, s13
	s_cbranch_execz .LBB16_12
; %bb.11:                               ;   in Loop: Header=BB16_2 Depth=1
	v_bcnt_u32_b32 v0, v0, 0
	ds_store_b32 v23, v0
.LBB16_12:                              ;   in Loop: Header=BB16_2 Depth=1
	s_or_b32 exec_lo, exec_lo, s12
	; wave barrier
	s_waitcnt lgkmcnt(0)
	s_barrier
	buffer_gl0_inv
	ds_load_2addr_b64 v[4:7], v13 offset0:3 offset1:4
	ds_load_2addr_b64 v[0:3], v15 offset0:2 offset1:3
	s_waitcnt lgkmcnt(1)
	v_add_nc_u32_e32 v24, v5, v4
	s_delay_alu instid0(VALU_DEP_1) | instskip(SKIP_1) | instid1(VALU_DEP_1)
	v_add3_u32 v24, v24, v6, v7
	s_waitcnt lgkmcnt(0)
	v_add3_u32 v24, v24, v0, v1
	s_delay_alu instid0(VALU_DEP_1) | instskip(NEXT) | instid1(VALU_DEP_1)
	v_add3_u32 v3, v24, v2, v3
	v_mov_b32_dpp v24, v3 row_shr:1 row_mask:0xf bank_mask:0xf
	s_delay_alu instid0(VALU_DEP_1) | instskip(NEXT) | instid1(VALU_DEP_1)
	v_cndmask_b32_e64 v24, v24, 0, s0
	v_add_nc_u32_e32 v3, v24, v3
	s_delay_alu instid0(VALU_DEP_1) | instskip(NEXT) | instid1(VALU_DEP_1)
	v_mov_b32_dpp v24, v3 row_shr:2 row_mask:0xf bank_mask:0xf
	v_cndmask_b32_e64 v24, 0, v24, s1
	s_delay_alu instid0(VALU_DEP_1) | instskip(NEXT) | instid1(VALU_DEP_1)
	v_add_nc_u32_e32 v3, v3, v24
	v_mov_b32_dpp v24, v3 row_shr:4 row_mask:0xf bank_mask:0xf
	s_delay_alu instid0(VALU_DEP_1) | instskip(NEXT) | instid1(VALU_DEP_1)
	v_cndmask_b32_e64 v24, 0, v24, s2
	v_add_nc_u32_e32 v3, v3, v24
	s_delay_alu instid0(VALU_DEP_1) | instskip(NEXT) | instid1(VALU_DEP_1)
	v_mov_b32_dpp v24, v3 row_shr:8 row_mask:0xf bank_mask:0xf
	v_cndmask_b32_e64 v24, 0, v24, s3
	s_delay_alu instid0(VALU_DEP_1) | instskip(SKIP_3) | instid1(VALU_DEP_1)
	v_add_nc_u32_e32 v3, v3, v24
	ds_swizzle_b32 v24, v3 offset:swizzle(BROADCAST,32,15)
	s_waitcnt lgkmcnt(0)
	v_cndmask_b32_e64 v24, v24, 0, s4
	v_add_nc_u32_e32 v3, v3, v24
	s_and_saveexec_b32 s12, s11
	s_cbranch_execz .LBB16_14
; %bb.13:                               ;   in Loop: Header=BB16_2 Depth=1
	ds_store_b32 v14, v3
.LBB16_14:                              ;   in Loop: Header=BB16_2 Depth=1
	s_or_b32 exec_lo, exec_lo, s12
	s_waitcnt lgkmcnt(0)
	s_barrier
	buffer_gl0_inv
	s_and_saveexec_b32 s12, s5
	s_cbranch_execz .LBB16_16
; %bb.15:                               ;   in Loop: Header=BB16_2 Depth=1
	ds_load_b32 v24, v20
	s_waitcnt lgkmcnt(0)
	v_mov_b32_dpp v25, v24 row_shr:1 row_mask:0xf bank_mask:0xf
	s_delay_alu instid0(VALU_DEP_1) | instskip(NEXT) | instid1(VALU_DEP_1)
	v_cndmask_b32_e64 v25, v25, 0, s8
	v_add_nc_u32_e32 v24, v25, v24
	s_delay_alu instid0(VALU_DEP_1) | instskip(NEXT) | instid1(VALU_DEP_1)
	v_mov_b32_dpp v25, v24 row_shr:2 row_mask:0xf bank_mask:0xf
	v_cndmask_b32_e64 v25, 0, v25, s9
	s_delay_alu instid0(VALU_DEP_1) | instskip(NEXT) | instid1(VALU_DEP_1)
	v_add_nc_u32_e32 v24, v24, v25
	v_mov_b32_dpp v25, v24 row_shr:4 row_mask:0xf bank_mask:0xf
	s_delay_alu instid0(VALU_DEP_1) | instskip(NEXT) | instid1(VALU_DEP_1)
	v_cndmask_b32_e64 v25, 0, v25, s10
	v_add_nc_u32_e32 v24, v24, v25
	ds_store_b32 v20, v24
.LBB16_16:                              ;   in Loop: Header=BB16_2 Depth=1
	s_or_b32 exec_lo, exec_lo, s12
	v_mov_b32_e32 v24, 0
	s_waitcnt lgkmcnt(0)
	s_barrier
	buffer_gl0_inv
	s_and_saveexec_b32 s12, s6
	s_cbranch_execz .LBB16_18
; %bb.17:                               ;   in Loop: Header=BB16_2 Depth=1
	ds_load_b32 v24, v17
.LBB16_18:                              ;   in Loop: Header=BB16_2 Depth=1
	s_or_b32 exec_lo, exec_lo, s12
	s_waitcnt lgkmcnt(0)
	v_add_nc_u32_e32 v3, v24, v3
	ds_bpermute_b32 v3, v16, v3
	s_waitcnt lgkmcnt(0)
	v_cndmask_b32_e32 v3, v3, v24, vcc_lo
	s_delay_alu instid0(VALU_DEP_1) | instskip(NEXT) | instid1(VALU_DEP_1)
	v_cndmask_b32_e64 v3, v3, 0, s7
	v_add_nc_u32_e32 v4, v3, v4
	s_delay_alu instid0(VALU_DEP_1) | instskip(NEXT) | instid1(VALU_DEP_1)
	v_add_nc_u32_e32 v5, v4, v5
	v_add_nc_u32_e32 v6, v5, v6
	s_delay_alu instid0(VALU_DEP_1) | instskip(NEXT) | instid1(VALU_DEP_1)
	v_add_nc_u32_e32 v24, v6, v7
	;; [unrolled: 3-line block ×3, first 2 shown]
	v_add_nc_u32_e32 v1, v0, v2
	ds_store_2addr_b64 v13, v[3:4], v[5:6] offset0:3 offset1:4
	ds_store_2addr_b64 v15, v[24:25], v[0:1] offset0:2 offset1:3
	s_waitcnt lgkmcnt(0)
	s_barrier
	buffer_gl0_inv
	ds_load_b32 v0, v23
	v_lshlrev_b32_e32 v1, 2, v22
	s_waitcnt lgkmcnt(0)
	s_barrier
	buffer_gl0_inv
	v_lshl_add_u32 v0, v0, 2, v1
	ds_store_b32 v0, v21
	s_waitcnt lgkmcnt(0)
	s_barrier
	buffer_gl0_inv
	ds_load_b32 v21, v18
	s_waitcnt lgkmcnt(0)
	s_barrier
	buffer_gl0_inv
	v_bfe_u32 v0, v21, 16, 1
	v_lshrrev_b32_e32 v1, 16, v21
	s_delay_alu instid0(VALU_DEP_2) | instskip(NEXT) | instid1(VALU_DEP_1)
	v_add_co_u32 v0, s12, v0, -1
	v_cndmask_b32_e64 v2, 0, 1, s12
	s_delay_alu instid0(VALU_DEP_3)
	v_lshlrev_b32_e32 v3, 30, v1
	v_lshlrev_b32_e32 v4, 29, v1
	v_lshlrev_b32_e32 v5, 28, v1
	v_lshlrev_b32_e32 v6, 27, v1
	v_cmp_ne_u32_e64 s12, 0, v2
	v_not_b32_e32 v2, v3
	v_cmp_gt_i32_e64 s13, 0, v3
	v_not_b32_e32 v3, v4
	v_lshlrev_b32_e32 v7, 26, v1
	v_xor_b32_e32 v0, s12, v0
	v_ashrrev_i32_e32 v2, 31, v2
	v_cmp_gt_i32_e64 s12, 0, v4
	v_not_b32_e32 v4, v5
	v_ashrrev_i32_e32 v3, 31, v3
	v_and_b32_e32 v0, exec_lo, v0
	v_xor_b32_e32 v2, s13, v2
	v_cmp_gt_i32_e64 s13, 0, v5
	v_not_b32_e32 v5, v6
	v_ashrrev_i32_e32 v4, 31, v4
	v_xor_b32_e32 v3, s12, v3
	v_and_b32_e32 v0, v0, v2
	v_lshlrev_b32_e32 v22, 25, v1
	v_cmp_gt_i32_e64 s12, 0, v6
	v_not_b32_e32 v2, v7
	v_ashrrev_i32_e32 v5, 31, v5
	v_xor_b32_e32 v4, s13, v4
	v_and_b32_e32 v0, v0, v3
	v_lshlrev_b32_e32 v1, 24, v1
	v_cmp_gt_i32_e64 s13, 0, v7
	v_not_b32_e32 v3, v22
	v_ashrrev_i32_e32 v2, 31, v2
	v_xor_b32_e32 v5, s12, v5
	v_and_b32_e32 v0, v0, v4
	v_cmp_gt_i32_e64 s12, 0, v22
	v_not_b32_e32 v4, v1
	v_ashrrev_i32_e32 v3, 31, v3
	v_xor_b32_e32 v2, s13, v2
	v_and_b32_e32 v0, v0, v5
	v_cmp_gt_i32_e64 s13, 0, v1
	v_ashrrev_i32_e32 v1, 31, v4
	v_xor_b32_e32 v3, s12, v3
	s_delay_alu instid0(VALU_DEP_4) | instskip(NEXT) | instid1(VALU_DEP_3)
	v_and_b32_e32 v0, v0, v2
	v_xor_b32_e32 v5, s13, v1
	v_dual_mov_b32 v1, s22 :: v_dual_mov_b32 v2, s23
	s_delay_alu instid0(VALU_DEP_3)
	v_dual_mov_b32 v3, s16 :: v_dual_and_b32 v0, v0, v3
	v_mov_b32_e32 v4, s17
	ds_store_2addr_b64 v13, v[1:2], v[3:4] offset0:3 offset1:4
	ds_store_2addr_b64 v15, v[1:2], v[3:4] offset0:2 offset1:3
	v_and_b32_e32 v0, v0, v5
	v_bfe_u32 v5, v21, 16, 8
	s_waitcnt lgkmcnt(0)
	s_barrier
	buffer_gl0_inv
	v_mbcnt_lo_u32_b32 v22, v0, 0
	v_mad_u32_u24 v1, v5, 6, v19
	v_cmp_ne_u32_e64 s13, 0, v0
	; wave barrier
	s_delay_alu instid0(VALU_DEP_3) | instskip(NEXT) | instid1(VALU_DEP_3)
	v_cmp_eq_u32_e64 s12, 0, v22
	v_lshl_add_u32 v23, v1, 2, 24
	s_delay_alu instid0(VALU_DEP_2) | instskip(NEXT) | instid1(SALU_CYCLE_1)
	s_and_b32 s13, s13, s12
	s_and_saveexec_b32 s12, s13
	s_cbranch_execz .LBB16_20
; %bb.19:                               ;   in Loop: Header=BB16_2 Depth=1
	v_bcnt_u32_b32 v0, v0, 0
	ds_store_b32 v23, v0
.LBB16_20:                              ;   in Loop: Header=BB16_2 Depth=1
	s_or_b32 exec_lo, exec_lo, s12
	; wave barrier
	s_waitcnt lgkmcnt(0)
	s_barrier
	buffer_gl0_inv
	ds_load_2addr_b64 v[4:7], v13 offset0:3 offset1:4
	ds_load_2addr_b64 v[0:3], v15 offset0:2 offset1:3
	s_waitcnt lgkmcnt(1)
	v_add_nc_u32_e32 v24, v5, v4
	s_delay_alu instid0(VALU_DEP_1) | instskip(SKIP_1) | instid1(VALU_DEP_1)
	v_add3_u32 v24, v24, v6, v7
	s_waitcnt lgkmcnt(0)
	v_add3_u32 v24, v24, v0, v1
	s_delay_alu instid0(VALU_DEP_1) | instskip(NEXT) | instid1(VALU_DEP_1)
	v_add3_u32 v3, v24, v2, v3
	v_mov_b32_dpp v24, v3 row_shr:1 row_mask:0xf bank_mask:0xf
	s_delay_alu instid0(VALU_DEP_1) | instskip(NEXT) | instid1(VALU_DEP_1)
	v_cndmask_b32_e64 v24, v24, 0, s0
	v_add_nc_u32_e32 v3, v24, v3
	s_delay_alu instid0(VALU_DEP_1) | instskip(NEXT) | instid1(VALU_DEP_1)
	v_mov_b32_dpp v24, v3 row_shr:2 row_mask:0xf bank_mask:0xf
	v_cndmask_b32_e64 v24, 0, v24, s1
	s_delay_alu instid0(VALU_DEP_1) | instskip(NEXT) | instid1(VALU_DEP_1)
	v_add_nc_u32_e32 v3, v3, v24
	v_mov_b32_dpp v24, v3 row_shr:4 row_mask:0xf bank_mask:0xf
	s_delay_alu instid0(VALU_DEP_1) | instskip(NEXT) | instid1(VALU_DEP_1)
	v_cndmask_b32_e64 v24, 0, v24, s2
	v_add_nc_u32_e32 v3, v3, v24
	s_delay_alu instid0(VALU_DEP_1) | instskip(NEXT) | instid1(VALU_DEP_1)
	v_mov_b32_dpp v24, v3 row_shr:8 row_mask:0xf bank_mask:0xf
	v_cndmask_b32_e64 v24, 0, v24, s3
	s_delay_alu instid0(VALU_DEP_1) | instskip(SKIP_3) | instid1(VALU_DEP_1)
	v_add_nc_u32_e32 v3, v3, v24
	ds_swizzle_b32 v24, v3 offset:swizzle(BROADCAST,32,15)
	s_waitcnt lgkmcnt(0)
	v_cndmask_b32_e64 v24, v24, 0, s4
	v_add_nc_u32_e32 v3, v3, v24
	s_and_saveexec_b32 s12, s11
	s_cbranch_execz .LBB16_22
; %bb.21:                               ;   in Loop: Header=BB16_2 Depth=1
	ds_store_b32 v14, v3
.LBB16_22:                              ;   in Loop: Header=BB16_2 Depth=1
	s_or_b32 exec_lo, exec_lo, s12
	s_waitcnt lgkmcnt(0)
	s_barrier
	buffer_gl0_inv
	s_and_saveexec_b32 s12, s5
	s_cbranch_execz .LBB16_24
; %bb.23:                               ;   in Loop: Header=BB16_2 Depth=1
	ds_load_b32 v24, v20
	s_waitcnt lgkmcnt(0)
	v_mov_b32_dpp v25, v24 row_shr:1 row_mask:0xf bank_mask:0xf
	s_delay_alu instid0(VALU_DEP_1) | instskip(NEXT) | instid1(VALU_DEP_1)
	v_cndmask_b32_e64 v25, v25, 0, s8
	v_add_nc_u32_e32 v24, v25, v24
	s_delay_alu instid0(VALU_DEP_1) | instskip(NEXT) | instid1(VALU_DEP_1)
	v_mov_b32_dpp v25, v24 row_shr:2 row_mask:0xf bank_mask:0xf
	v_cndmask_b32_e64 v25, 0, v25, s9
	s_delay_alu instid0(VALU_DEP_1) | instskip(NEXT) | instid1(VALU_DEP_1)
	v_add_nc_u32_e32 v24, v24, v25
	v_mov_b32_dpp v25, v24 row_shr:4 row_mask:0xf bank_mask:0xf
	s_delay_alu instid0(VALU_DEP_1) | instskip(NEXT) | instid1(VALU_DEP_1)
	v_cndmask_b32_e64 v25, 0, v25, s10
	v_add_nc_u32_e32 v24, v24, v25
	ds_store_b32 v20, v24
.LBB16_24:                              ;   in Loop: Header=BB16_2 Depth=1
	s_or_b32 exec_lo, exec_lo, s12
	v_mov_b32_e32 v24, 0
	s_waitcnt lgkmcnt(0)
	s_barrier
	buffer_gl0_inv
	s_and_saveexec_b32 s12, s6
	s_cbranch_execz .LBB16_26
; %bb.25:                               ;   in Loop: Header=BB16_2 Depth=1
	ds_load_b32 v24, v17
.LBB16_26:                              ;   in Loop: Header=BB16_2 Depth=1
	s_or_b32 exec_lo, exec_lo, s12
	s_waitcnt lgkmcnt(0)
	v_add_nc_u32_e32 v3, v24, v3
	ds_bpermute_b32 v3, v16, v3
	s_waitcnt lgkmcnt(0)
	v_cndmask_b32_e32 v3, v3, v24, vcc_lo
	s_delay_alu instid0(VALU_DEP_1) | instskip(NEXT) | instid1(VALU_DEP_1)
	v_cndmask_b32_e64 v3, v3, 0, s7
	v_add_nc_u32_e32 v4, v3, v4
	s_delay_alu instid0(VALU_DEP_1) | instskip(NEXT) | instid1(VALU_DEP_1)
	v_add_nc_u32_e32 v5, v4, v5
	v_add_nc_u32_e32 v6, v5, v6
	s_delay_alu instid0(VALU_DEP_1) | instskip(NEXT) | instid1(VALU_DEP_1)
	v_add_nc_u32_e32 v24, v6, v7
	;; [unrolled: 3-line block ×3, first 2 shown]
	v_add_nc_u32_e32 v1, v0, v2
	ds_store_2addr_b64 v13, v[3:4], v[5:6] offset0:3 offset1:4
	ds_store_2addr_b64 v15, v[24:25], v[0:1] offset0:2 offset1:3
	s_waitcnt lgkmcnt(0)
	s_barrier
	buffer_gl0_inv
	ds_load_b32 v0, v23
	v_lshlrev_b32_e32 v1, 2, v22
	s_waitcnt lgkmcnt(0)
	s_barrier
	buffer_gl0_inv
	v_lshl_add_u32 v0, v0, 2, v1
	ds_store_b32 v0, v21
	s_waitcnt lgkmcnt(0)
	s_barrier
	buffer_gl0_inv
	ds_load_b32 v21, v18
	s_waitcnt lgkmcnt(0)
	s_barrier
	buffer_gl0_inv
	v_bfe_u32 v0, v21, 24, 1
	v_lshrrev_b32_e32 v5, 24, v21
	s_delay_alu instid0(VALU_DEP_2) | instskip(NEXT) | instid1(VALU_DEP_1)
	v_add_co_u32 v0, s12, v0, -1
	v_cndmask_b32_e64 v1, 0, 1, s12
	s_delay_alu instid0(VALU_DEP_3)
	v_lshlrev_b32_e32 v2, 30, v5
	v_lshlrev_b32_e32 v3, 29, v5
	;; [unrolled: 1-line block ×4, first 2 shown]
	v_cmp_ne_u32_e64 s12, 0, v1
	v_not_b32_e32 v1, v2
	v_cmp_gt_i32_e64 s13, 0, v2
	v_not_b32_e32 v2, v3
	v_lshlrev_b32_e32 v7, 26, v5
	v_xor_b32_e32 v0, s12, v0
	v_ashrrev_i32_e32 v1, 31, v1
	v_cmp_gt_i32_e64 s12, 0, v3
	v_not_b32_e32 v3, v4
	v_ashrrev_i32_e32 v2, 31, v2
	v_and_b32_e32 v0, exec_lo, v0
	v_xor_b32_e32 v1, s13, v1
	v_cmp_gt_i32_e64 s13, 0, v4
	v_not_b32_e32 v4, v6
	v_ashrrev_i32_e32 v3, 31, v3
	v_xor_b32_e32 v2, s12, v2
	v_and_b32_e32 v0, v0, v1
	v_lshlrev_b32_e32 v22, 25, v5
	v_cmp_gt_i32_e64 s12, 0, v6
	v_not_b32_e32 v1, v7
	v_ashrrev_i32_e32 v4, 31, v4
	v_xor_b32_e32 v3, s13, v3
	v_and_b32_e32 v0, v0, v2
	v_cmp_gt_i32_e64 s13, 0, v7
	v_not_b32_e32 v2, v22
	v_ashrrev_i32_e32 v1, 31, v1
	v_xor_b32_e32 v4, s12, v4
	v_and_b32_e32 v0, v0, v3
	v_not_b32_e32 v3, v21
	v_cmp_gt_i32_e64 s12, 0, v22
	v_ashrrev_i32_e32 v2, 31, v2
	v_xor_b32_e32 v1, s13, v1
	v_and_b32_e32 v0, v0, v4
	v_cmp_gt_i32_e64 s13, 0, v21
	v_ashrrev_i32_e32 v3, 31, v3
	v_xor_b32_e32 v2, s12, v2
	s_delay_alu instid0(VALU_DEP_4) | instskip(NEXT) | instid1(VALU_DEP_3)
	v_and_b32_e32 v0, v0, v1
	v_xor_b32_e32 v3, s13, v3
	s_delay_alu instid0(VALU_DEP_2) | instskip(SKIP_1) | instid1(VALU_DEP_2)
	v_dual_mov_b32 v1, s22 :: v_dual_and_b32 v0, v0, v2
	v_mov_b32_e32 v2, s23
	v_dual_mov_b32 v3, s16 :: v_dual_and_b32 v0, v0, v3
	v_mov_b32_e32 v4, s17
	ds_store_2addr_b64 v13, v[1:2], v[3:4] offset0:3 offset1:4
	ds_store_2addr_b64 v15, v[1:2], v[3:4] offset0:2 offset1:3
	v_mbcnt_lo_u32_b32 v22, v0, 0
	v_mad_u32_u24 v1, v5, 6, v19
	v_cmp_ne_u32_e64 s13, 0, v0
	s_waitcnt lgkmcnt(0)
	s_barrier
	v_cmp_eq_u32_e64 s12, 0, v22
	v_lshl_add_u32 v23, v1, 2, 24
	buffer_gl0_inv
	; wave barrier
	s_and_b32 s13, s13, s12
	s_delay_alu instid0(SALU_CYCLE_1)
	s_and_saveexec_b32 s12, s13
	s_cbranch_execz .LBB16_28
; %bb.27:                               ;   in Loop: Header=BB16_2 Depth=1
	v_bcnt_u32_b32 v0, v0, 0
	ds_store_b32 v23, v0
.LBB16_28:                              ;   in Loop: Header=BB16_2 Depth=1
	s_or_b32 exec_lo, exec_lo, s12
	; wave barrier
	s_waitcnt lgkmcnt(0)
	s_barrier
	buffer_gl0_inv
	ds_load_2addr_b64 v[4:7], v13 offset0:3 offset1:4
	ds_load_2addr_b64 v[0:3], v15 offset0:2 offset1:3
	s_waitcnt lgkmcnt(1)
	v_add_nc_u32_e32 v24, v5, v4
	s_delay_alu instid0(VALU_DEP_1) | instskip(SKIP_1) | instid1(VALU_DEP_1)
	v_add3_u32 v24, v24, v6, v7
	s_waitcnt lgkmcnt(0)
	v_add3_u32 v24, v24, v0, v1
	s_delay_alu instid0(VALU_DEP_1) | instskip(NEXT) | instid1(VALU_DEP_1)
	v_add3_u32 v3, v24, v2, v3
	v_mov_b32_dpp v24, v3 row_shr:1 row_mask:0xf bank_mask:0xf
	s_delay_alu instid0(VALU_DEP_1) | instskip(NEXT) | instid1(VALU_DEP_1)
	v_cndmask_b32_e64 v24, v24, 0, s0
	v_add_nc_u32_e32 v3, v24, v3
	s_delay_alu instid0(VALU_DEP_1) | instskip(NEXT) | instid1(VALU_DEP_1)
	v_mov_b32_dpp v24, v3 row_shr:2 row_mask:0xf bank_mask:0xf
	v_cndmask_b32_e64 v24, 0, v24, s1
	s_delay_alu instid0(VALU_DEP_1) | instskip(NEXT) | instid1(VALU_DEP_1)
	v_add_nc_u32_e32 v3, v3, v24
	v_mov_b32_dpp v24, v3 row_shr:4 row_mask:0xf bank_mask:0xf
	s_delay_alu instid0(VALU_DEP_1) | instskip(NEXT) | instid1(VALU_DEP_1)
	v_cndmask_b32_e64 v24, 0, v24, s2
	v_add_nc_u32_e32 v3, v3, v24
	s_delay_alu instid0(VALU_DEP_1) | instskip(NEXT) | instid1(VALU_DEP_1)
	v_mov_b32_dpp v24, v3 row_shr:8 row_mask:0xf bank_mask:0xf
	v_cndmask_b32_e64 v24, 0, v24, s3
	s_delay_alu instid0(VALU_DEP_1) | instskip(SKIP_3) | instid1(VALU_DEP_1)
	v_add_nc_u32_e32 v3, v3, v24
	ds_swizzle_b32 v24, v3 offset:swizzle(BROADCAST,32,15)
	s_waitcnt lgkmcnt(0)
	v_cndmask_b32_e64 v24, v24, 0, s4
	v_add_nc_u32_e32 v3, v3, v24
	s_and_saveexec_b32 s12, s11
	s_cbranch_execz .LBB16_30
; %bb.29:                               ;   in Loop: Header=BB16_2 Depth=1
	ds_store_b32 v14, v3
.LBB16_30:                              ;   in Loop: Header=BB16_2 Depth=1
	s_or_b32 exec_lo, exec_lo, s12
	s_waitcnt lgkmcnt(0)
	s_barrier
	buffer_gl0_inv
	s_and_saveexec_b32 s12, s5
	s_cbranch_execz .LBB16_32
; %bb.31:                               ;   in Loop: Header=BB16_2 Depth=1
	ds_load_b32 v24, v20
	s_waitcnt lgkmcnt(0)
	v_mov_b32_dpp v25, v24 row_shr:1 row_mask:0xf bank_mask:0xf
	s_delay_alu instid0(VALU_DEP_1) | instskip(NEXT) | instid1(VALU_DEP_1)
	v_cndmask_b32_e64 v25, v25, 0, s8
	v_add_nc_u32_e32 v24, v25, v24
	s_delay_alu instid0(VALU_DEP_1) | instskip(NEXT) | instid1(VALU_DEP_1)
	v_mov_b32_dpp v25, v24 row_shr:2 row_mask:0xf bank_mask:0xf
	v_cndmask_b32_e64 v25, 0, v25, s9
	s_delay_alu instid0(VALU_DEP_1) | instskip(NEXT) | instid1(VALU_DEP_1)
	v_add_nc_u32_e32 v24, v24, v25
	v_mov_b32_dpp v25, v24 row_shr:4 row_mask:0xf bank_mask:0xf
	s_delay_alu instid0(VALU_DEP_1) | instskip(NEXT) | instid1(VALU_DEP_1)
	v_cndmask_b32_e64 v25, 0, v25, s10
	v_add_nc_u32_e32 v24, v24, v25
	ds_store_b32 v20, v24
.LBB16_32:                              ;   in Loop: Header=BB16_2 Depth=1
	s_or_b32 exec_lo, exec_lo, s12
	v_mov_b32_e32 v24, 0
	s_waitcnt lgkmcnt(0)
	s_barrier
	buffer_gl0_inv
	s_and_saveexec_b32 s12, s6
	s_cbranch_execz .LBB16_1
; %bb.33:                               ;   in Loop: Header=BB16_2 Depth=1
	ds_load_b32 v24, v17
	s_branch .LBB16_1
.LBB16_34:
	s_waitcnt lgkmcnt(0)
	v_xor_b32_e32 v0, 0x80000000, v21
	v_lshlrev_b32_e32 v1, 2, v8
	s_add_u32 s0, s18, s20
	s_addc_u32 s1, s19, s21
	global_store_b32 v1, v0, s[0:1]
	s_nop 0
	s_sendmsg sendmsg(MSG_DEALLOC_VGPRS)
	s_endpgm
	.section	.rodata,"a",@progbits
	.p2align	6, 0x0
	.amdhsa_kernel _Z16sort_keys_kernelI22helper_blocked_blockediLj192ELj1ELj10EEvPKT0_PS1_
		.amdhsa_group_segment_fixed_size 6176
		.amdhsa_private_segment_fixed_size 0
		.amdhsa_kernarg_size 272
		.amdhsa_user_sgpr_count 15
		.amdhsa_user_sgpr_dispatch_ptr 0
		.amdhsa_user_sgpr_queue_ptr 0
		.amdhsa_user_sgpr_kernarg_segment_ptr 1
		.amdhsa_user_sgpr_dispatch_id 0
		.amdhsa_user_sgpr_private_segment_size 0
		.amdhsa_wavefront_size32 1
		.amdhsa_uses_dynamic_stack 0
		.amdhsa_enable_private_segment 0
		.amdhsa_system_sgpr_workgroup_id_x 1
		.amdhsa_system_sgpr_workgroup_id_y 0
		.amdhsa_system_sgpr_workgroup_id_z 0
		.amdhsa_system_sgpr_workgroup_info 0
		.amdhsa_system_vgpr_workitem_id 2
		.amdhsa_next_free_vgpr 26
		.amdhsa_next_free_sgpr 24
		.amdhsa_reserve_vcc 1
		.amdhsa_float_round_mode_32 0
		.amdhsa_float_round_mode_16_64 0
		.amdhsa_float_denorm_mode_32 3
		.amdhsa_float_denorm_mode_16_64 3
		.amdhsa_dx10_clamp 1
		.amdhsa_ieee_mode 1
		.amdhsa_fp16_overflow 0
		.amdhsa_workgroup_processor_mode 1
		.amdhsa_memory_ordered 1
		.amdhsa_forward_progress 0
		.amdhsa_shared_vgpr_count 0
		.amdhsa_exception_fp_ieee_invalid_op 0
		.amdhsa_exception_fp_denorm_src 0
		.amdhsa_exception_fp_ieee_div_zero 0
		.amdhsa_exception_fp_ieee_overflow 0
		.amdhsa_exception_fp_ieee_underflow 0
		.amdhsa_exception_fp_ieee_inexact 0
		.amdhsa_exception_int_div_zero 0
	.end_amdhsa_kernel
	.section	.text._Z16sort_keys_kernelI22helper_blocked_blockediLj192ELj1ELj10EEvPKT0_PS1_,"axG",@progbits,_Z16sort_keys_kernelI22helper_blocked_blockediLj192ELj1ELj10EEvPKT0_PS1_,comdat
.Lfunc_end16:
	.size	_Z16sort_keys_kernelI22helper_blocked_blockediLj192ELj1ELj10EEvPKT0_PS1_, .Lfunc_end16-_Z16sort_keys_kernelI22helper_blocked_blockediLj192ELj1ELj10EEvPKT0_PS1_
                                        ; -- End function
	.section	.AMDGPU.csdata,"",@progbits
; Kernel info:
; codeLenInByte = 4268
; NumSgprs: 26
; NumVgprs: 26
; ScratchSize: 0
; MemoryBound: 0
; FloatMode: 240
; IeeeMode: 1
; LDSByteSize: 6176 bytes/workgroup (compile time only)
; SGPRBlocks: 3
; VGPRBlocks: 3
; NumSGPRsForWavesPerEU: 26
; NumVGPRsForWavesPerEU: 26
; Occupancy: 15
; WaveLimiterHint : 0
; COMPUTE_PGM_RSRC2:SCRATCH_EN: 0
; COMPUTE_PGM_RSRC2:USER_SGPR: 15
; COMPUTE_PGM_RSRC2:TRAP_HANDLER: 0
; COMPUTE_PGM_RSRC2:TGID_X_EN: 1
; COMPUTE_PGM_RSRC2:TGID_Y_EN: 0
; COMPUTE_PGM_RSRC2:TGID_Z_EN: 0
; COMPUTE_PGM_RSRC2:TIDIG_COMP_CNT: 2
	.section	.text._Z17sort_pairs_kernelI22helper_blocked_blockediLj192ELj1ELj10EEvPKT0_PS1_,"axG",@progbits,_Z17sort_pairs_kernelI22helper_blocked_blockediLj192ELj1ELj10EEvPKT0_PS1_,comdat
	.protected	_Z17sort_pairs_kernelI22helper_blocked_blockediLj192ELj1ELj10EEvPKT0_PS1_ ; -- Begin function _Z17sort_pairs_kernelI22helper_blocked_blockediLj192ELj1ELj10EEvPKT0_PS1_
	.globl	_Z17sort_pairs_kernelI22helper_blocked_blockediLj192ELj1ELj10EEvPKT0_PS1_
	.p2align	8
	.type	_Z17sort_pairs_kernelI22helper_blocked_blockediLj192ELj1ELj10EEvPKT0_PS1_,@function
_Z17sort_pairs_kernelI22helper_blocked_blockediLj192ELj1ELj10EEvPKT0_PS1_: ; @_Z17sort_pairs_kernelI22helper_blocked_blockediLj192ELj1ELj10EEvPKT0_PS1_
; %bb.0:
	s_clause 0x1
	s_load_b128 s[16:19], s[0:1], 0x0
	s_load_b32 s11, s[0:1], 0x1c
	s_mov_b32 s23, 0
	s_mul_i32 s22, s15, 0xc0
	v_mbcnt_lo_u32_b32 v3, -1, 0
	s_lshl_b64 s[20:21], s[22:23], 2
	s_mov_b32 s22, s23
	s_mov_b32 s15, 10
	s_delay_alu instid0(VALU_DEP_1) | instskip(SKIP_3) | instid1(VALU_DEP_4)
	v_dual_mov_b32 v11, s22 :: v_dual_and_b32 v4, 15, v3
	v_add_nc_u32_e32 v6, -1, v3
	v_and_b32_e32 v7, 7, v3
	v_dual_mov_b32 v12, s23 :: v_dual_and_b32 v5, 16, v3
	v_cmp_lt_u32_e64 s2, 3, v4
	v_cmp_lt_u32_e64 s3, 7, v4
	v_cmp_gt_i32_e64 s7, 0, v6
	v_cmp_eq_u32_e64 s8, 0, v7
	v_cmp_lt_u32_e64 s9, 1, v7
	v_cmp_lt_u32_e64 s10, 3, v7
	s_waitcnt lgkmcnt(0)
	s_add_u32 s0, s16, s20
	s_addc_u32 s1, s17, s21
	s_mov_b32 s16, s23
	s_mov_b32 s17, s23
	v_dual_mov_b32 v9, s16 :: v_dual_and_b32 v8, 0x3ff, v0
	v_mov_b32_e32 v10, s17
	s_lshr_b32 s12, s11, 16
	v_cmp_eq_u32_e64 s4, 0, v5
	s_delay_alu instid0(VALU_DEP_3)
	v_lshlrev_b32_e32 v1, 2, v8
	v_cndmask_b32_e64 v5, v6, v3, s7
	v_lshrrev_b32_e32 v6, 3, v8
	s_and_b32 s11, s11, 0xffff
	v_cmp_eq_u32_e32 vcc_lo, 0, v3
	global_load_b32 v2, v1, s[0:1]
	v_bfe_u32 v1, v0, 10, 10
	v_bfe_u32 v0, v0, 20, 10
	v_cmp_eq_u32_e64 s0, 0, v4
	v_cmp_lt_u32_e64 s1, 1, v4
	v_and_b32_e32 v4, 0xe0, v8
	v_lshlrev_b32_e32 v13, 5, v8
	v_mad_u32_u24 v7, v0, s12, v1
	v_mul_i32_i24_e32 v20, 0xffffffe4, v8
	v_and_b32_e32 v14, 28, v6
	v_min_u32_e32 v15, 0xa0, v4
	v_cmp_gt_u32_e64 s5, 6, v8
	v_mad_u64_u32 v[0:1], null, v7, s11, v[8:9]
	v_or_b32_e32 v1, v3, v4
	s_delay_alu instid0(VALU_DEP_4)
	v_or_b32_e32 v3, 31, v15
	v_cmp_lt_u32_e64 s6, 31, v8
	v_cmp_eq_u32_e64 s7, 0, v8
	v_or_b32_e32 v15, 24, v13
	v_lshlrev_b32_e32 v16, 2, v5
	v_add_nc_u32_e32 v17, -4, v14
	v_lshlrev_b32_e32 v18, 2, v1
	v_cmp_eq_u32_e64 s11, v3, v8
	v_lshrrev_b32_e32 v19, 5, v0
	v_add_nc_u32_e32 v20, v13, v20
	s_waitcnt vmcnt(0)
	v_add_nc_u32_e32 v21, 1, v2
	v_xor_b32_e32 v22, 0x80000000, v2
	s_branch .LBB17_2
.LBB17_1:                               ;   in Loop: Header=BB17_2 Depth=1
	s_or_b32 exec_lo, exec_lo, s12
	s_waitcnt lgkmcnt(0)
	v_add_nc_u32_e32 v3, v25, v3
	s_add_i32 s15, s15, -1
	s_delay_alu instid0(SALU_CYCLE_1) | instskip(SKIP_3) | instid1(VALU_DEP_1)
	s_cmp_lg_u32 s15, 0
	ds_bpermute_b32 v3, v16, v3
	s_waitcnt lgkmcnt(0)
	v_cndmask_b32_e32 v3, v3, v25, vcc_lo
	v_cndmask_b32_e64 v3, v3, 0, s7
	s_delay_alu instid0(VALU_DEP_1) | instskip(NEXT) | instid1(VALU_DEP_1)
	v_add_nc_u32_e32 v4, v3, v4
	v_add_nc_u32_e32 v5, v4, v5
	s_delay_alu instid0(VALU_DEP_1) | instskip(NEXT) | instid1(VALU_DEP_1)
	v_add_nc_u32_e32 v6, v5, v6
	v_add_nc_u32_e32 v25, v6, v7
	;; [unrolled: 3-line block ×3, first 2 shown]
	s_delay_alu instid0(VALU_DEP_1)
	v_add_nc_u32_e32 v1, v0, v2
	ds_store_2addr_b64 v13, v[3:4], v[5:6] offset0:3 offset1:4
	ds_store_2addr_b64 v15, v[25:26], v[0:1] offset0:2 offset1:3
	s_waitcnt lgkmcnt(0)
	s_barrier
	buffer_gl0_inv
	ds_load_b32 v0, v24
	v_lshlrev_b32_e32 v1, 2, v22
	s_waitcnt lgkmcnt(0)
	s_barrier
	buffer_gl0_inv
	v_lshl_add_u32 v0, v0, 2, v1
	ds_store_b32 v0, v21
	s_waitcnt lgkmcnt(0)
	s_barrier
	buffer_gl0_inv
	ds_load_b32 v22, v20
	s_waitcnt lgkmcnt(0)
	s_barrier
	buffer_gl0_inv
	ds_store_b32 v0, v23
	s_waitcnt lgkmcnt(0)
	s_barrier
	buffer_gl0_inv
	ds_load_b32 v21, v20
	s_cbranch_scc0 .LBB17_34
.LBB17_2:                               ; =>This Inner Loop Header: Depth=1
	s_delay_alu instid0(VALU_DEP_1)
	v_and_b32_e32 v0, 1, v22
	v_lshlrev_b32_e32 v1, 30, v22
	v_lshlrev_b32_e32 v2, 29, v22
	;; [unrolled: 1-line block ×4, first 2 shown]
	v_add_co_u32 v0, s12, v0, -1
	s_delay_alu instid0(VALU_DEP_1)
	v_cndmask_b32_e64 v3, 0, 1, s12
	v_not_b32_e32 v7, v1
	v_cmp_gt_i32_e64 s13, 0, v1
	v_not_b32_e32 v1, v2
	v_lshlrev_b32_e32 v6, 26, v22
	v_cmp_ne_u32_e64 s12, 0, v3
	v_ashrrev_i32_e32 v7, 31, v7
	v_lshlrev_b32_e32 v3, 25, v22
	v_ashrrev_i32_e32 v1, 31, v1
	v_cmp_gt_i32_e64 s14, 0, v5
	v_xor_b32_e32 v0, s12, v0
	v_cmp_gt_i32_e64 s12, 0, v2
	v_not_b32_e32 v2, v4
	v_xor_b32_e32 v7, s13, v7
	v_cmp_gt_i32_e64 s13, 0, v4
	v_and_b32_e32 v0, exec_lo, v0
	v_xor_b32_e32 v1, s12, v1
	v_ashrrev_i32_e32 v2, 31, v2
	v_not_b32_e32 v4, v5
	v_not_b32_e32 v5, v6
	v_and_b32_e32 v0, v0, v7
	v_cmp_gt_i32_e64 s12, 0, v6
	v_xor_b32_e32 v2, s13, v2
	v_not_b32_e32 v6, v3
	ds_store_2addr_b64 v13, v[11:12], v[9:10] offset0:3 offset1:4
	ds_store_2addr_b64 v15, v[11:12], v[9:10] offset0:2 offset1:3
	v_and_b32_e32 v0, v0, v1
	v_ashrrev_i32_e32 v1, 31, v4
	v_ashrrev_i32_e32 v4, 31, v5
	v_lshlrev_b32_e32 v5, 24, v22
	s_waitcnt lgkmcnt(0)
	v_and_b32_e32 v0, v0, v2
	v_xor_b32_e32 v1, s14, v1
	v_xor_b32_e32 v2, s12, v4
	v_cmp_gt_i32_e64 s12, 0, v3
	v_not_b32_e32 v3, v5
	v_ashrrev_i32_e32 v4, 31, v6
	v_and_b32_e32 v0, v0, v1
	v_cmp_gt_i32_e64 s13, 0, v5
	s_barrier
	v_ashrrev_i32_e32 v1, 31, v3
	v_xor_b32_e32 v3, s12, v4
	v_and_b32_e32 v0, v0, v2
	buffer_gl0_inv
	v_xor_b32_e32 v1, s13, v1
	; wave barrier
	v_and_b32_e32 v0, v0, v3
	s_delay_alu instid0(VALU_DEP_1) | instskip(SKIP_1) | instid1(VALU_DEP_2)
	v_and_b32_e32 v0, v0, v1
	v_and_b32_e32 v1, 0xff, v22
	v_mbcnt_lo_u32_b32 v23, v0, 0
	s_delay_alu instid0(VALU_DEP_2) | instskip(SKIP_1) | instid1(VALU_DEP_3)
	v_mad_u32_u24 v1, v1, 6, v19
	v_cmp_ne_u32_e64 s13, 0, v0
	v_cmp_eq_u32_e64 s12, 0, v23
	s_delay_alu instid0(VALU_DEP_3) | instskip(NEXT) | instid1(VALU_DEP_2)
	v_lshl_add_u32 v24, v1, 2, 24
	s_and_b32 s13, s13, s12
	s_delay_alu instid0(SALU_CYCLE_1)
	s_and_saveexec_b32 s12, s13
	s_cbranch_execz .LBB17_4
; %bb.3:                                ;   in Loop: Header=BB17_2 Depth=1
	v_bcnt_u32_b32 v0, v0, 0
	ds_store_b32 v24, v0
.LBB17_4:                               ;   in Loop: Header=BB17_2 Depth=1
	s_or_b32 exec_lo, exec_lo, s12
	; wave barrier
	s_waitcnt lgkmcnt(0)
	s_barrier
	buffer_gl0_inv
	ds_load_2addr_b64 v[4:7], v13 offset0:3 offset1:4
	ds_load_2addr_b64 v[0:3], v15 offset0:2 offset1:3
	s_waitcnt lgkmcnt(1)
	v_add_nc_u32_e32 v25, v5, v4
	s_delay_alu instid0(VALU_DEP_1) | instskip(SKIP_1) | instid1(VALU_DEP_1)
	v_add3_u32 v25, v25, v6, v7
	s_waitcnt lgkmcnt(0)
	v_add3_u32 v25, v25, v0, v1
	s_delay_alu instid0(VALU_DEP_1) | instskip(NEXT) | instid1(VALU_DEP_1)
	v_add3_u32 v3, v25, v2, v3
	v_mov_b32_dpp v25, v3 row_shr:1 row_mask:0xf bank_mask:0xf
	s_delay_alu instid0(VALU_DEP_1) | instskip(NEXT) | instid1(VALU_DEP_1)
	v_cndmask_b32_e64 v25, v25, 0, s0
	v_add_nc_u32_e32 v3, v25, v3
	s_delay_alu instid0(VALU_DEP_1) | instskip(NEXT) | instid1(VALU_DEP_1)
	v_mov_b32_dpp v25, v3 row_shr:2 row_mask:0xf bank_mask:0xf
	v_cndmask_b32_e64 v25, 0, v25, s1
	s_delay_alu instid0(VALU_DEP_1) | instskip(NEXT) | instid1(VALU_DEP_1)
	v_add_nc_u32_e32 v3, v3, v25
	v_mov_b32_dpp v25, v3 row_shr:4 row_mask:0xf bank_mask:0xf
	s_delay_alu instid0(VALU_DEP_1) | instskip(NEXT) | instid1(VALU_DEP_1)
	v_cndmask_b32_e64 v25, 0, v25, s2
	v_add_nc_u32_e32 v3, v3, v25
	s_delay_alu instid0(VALU_DEP_1) | instskip(NEXT) | instid1(VALU_DEP_1)
	v_mov_b32_dpp v25, v3 row_shr:8 row_mask:0xf bank_mask:0xf
	v_cndmask_b32_e64 v25, 0, v25, s3
	s_delay_alu instid0(VALU_DEP_1) | instskip(SKIP_3) | instid1(VALU_DEP_1)
	v_add_nc_u32_e32 v3, v3, v25
	ds_swizzle_b32 v25, v3 offset:swizzle(BROADCAST,32,15)
	s_waitcnt lgkmcnt(0)
	v_cndmask_b32_e64 v25, v25, 0, s4
	v_add_nc_u32_e32 v3, v3, v25
	s_and_saveexec_b32 s12, s11
	s_cbranch_execz .LBB17_6
; %bb.5:                                ;   in Loop: Header=BB17_2 Depth=1
	ds_store_b32 v14, v3
.LBB17_6:                               ;   in Loop: Header=BB17_2 Depth=1
	s_or_b32 exec_lo, exec_lo, s12
	s_waitcnt lgkmcnt(0)
	s_barrier
	buffer_gl0_inv
	s_and_saveexec_b32 s12, s5
	s_cbranch_execz .LBB17_8
; %bb.7:                                ;   in Loop: Header=BB17_2 Depth=1
	ds_load_b32 v25, v20
	s_waitcnt lgkmcnt(0)
	v_mov_b32_dpp v26, v25 row_shr:1 row_mask:0xf bank_mask:0xf
	s_delay_alu instid0(VALU_DEP_1) | instskip(NEXT) | instid1(VALU_DEP_1)
	v_cndmask_b32_e64 v26, v26, 0, s8
	v_add_nc_u32_e32 v25, v26, v25
	s_delay_alu instid0(VALU_DEP_1) | instskip(NEXT) | instid1(VALU_DEP_1)
	v_mov_b32_dpp v26, v25 row_shr:2 row_mask:0xf bank_mask:0xf
	v_cndmask_b32_e64 v26, 0, v26, s9
	s_delay_alu instid0(VALU_DEP_1) | instskip(NEXT) | instid1(VALU_DEP_1)
	v_add_nc_u32_e32 v25, v25, v26
	v_mov_b32_dpp v26, v25 row_shr:4 row_mask:0xf bank_mask:0xf
	s_delay_alu instid0(VALU_DEP_1) | instskip(NEXT) | instid1(VALU_DEP_1)
	v_cndmask_b32_e64 v26, 0, v26, s10
	v_add_nc_u32_e32 v25, v25, v26
	ds_store_b32 v20, v25
.LBB17_8:                               ;   in Loop: Header=BB17_2 Depth=1
	s_or_b32 exec_lo, exec_lo, s12
	v_mov_b32_e32 v25, 0
	s_waitcnt lgkmcnt(0)
	s_barrier
	buffer_gl0_inv
	s_and_saveexec_b32 s12, s6
	s_cbranch_execz .LBB17_10
; %bb.9:                                ;   in Loop: Header=BB17_2 Depth=1
	ds_load_b32 v25, v17
.LBB17_10:                              ;   in Loop: Header=BB17_2 Depth=1
	s_or_b32 exec_lo, exec_lo, s12
	s_waitcnt lgkmcnt(0)
	v_add_nc_u32_e32 v3, v25, v3
	ds_bpermute_b32 v3, v16, v3
	s_waitcnt lgkmcnt(0)
	v_cndmask_b32_e32 v3, v3, v25, vcc_lo
	s_delay_alu instid0(VALU_DEP_1) | instskip(NEXT) | instid1(VALU_DEP_1)
	v_cndmask_b32_e64 v3, v3, 0, s7
	v_add_nc_u32_e32 v4, v3, v4
	s_delay_alu instid0(VALU_DEP_1) | instskip(NEXT) | instid1(VALU_DEP_1)
	v_add_nc_u32_e32 v5, v4, v5
	v_add_nc_u32_e32 v6, v5, v6
	s_delay_alu instid0(VALU_DEP_1) | instskip(NEXT) | instid1(VALU_DEP_1)
	v_add_nc_u32_e32 v25, v6, v7
	;; [unrolled: 3-line block ×3, first 2 shown]
	v_add_nc_u32_e32 v1, v0, v2
	ds_store_2addr_b64 v13, v[3:4], v[5:6] offset0:3 offset1:4
	ds_store_2addr_b64 v15, v[25:26], v[0:1] offset0:2 offset1:3
	s_waitcnt lgkmcnt(0)
	s_barrier
	buffer_gl0_inv
	ds_load_b32 v0, v24
	v_lshlrev_b32_e32 v1, 2, v23
	s_waitcnt lgkmcnt(0)
	s_barrier
	buffer_gl0_inv
	v_lshl_add_u32 v0, v0, 2, v1
	ds_store_b32 v0, v22
	s_waitcnt lgkmcnt(0)
	s_barrier
	buffer_gl0_inv
	ds_load_b32 v23, v18
	s_waitcnt lgkmcnt(0)
	s_barrier
	buffer_gl0_inv
	ds_store_b32 v0, v21
	s_waitcnt lgkmcnt(0)
	s_barrier
	buffer_gl0_inv
	v_bfe_u32 v1, v23, 8, 1
	v_lshrrev_b32_e32 v2, 8, v23
	s_delay_alu instid0(VALU_DEP_2) | instskip(NEXT) | instid1(VALU_DEP_1)
	v_add_co_u32 v1, s12, v1, -1
	v_cndmask_b32_e64 v3, 0, 1, s12
	s_delay_alu instid0(VALU_DEP_3)
	v_lshlrev_b32_e32 v4, 30, v2
	v_lshlrev_b32_e32 v5, 29, v2
	;; [unrolled: 1-line block ×4, first 2 shown]
	v_cmp_ne_u32_e64 s12, 0, v3
	v_not_b32_e32 v3, v4
	v_cmp_gt_i32_e64 s13, 0, v4
	v_not_b32_e32 v4, v5
	v_lshlrev_b32_e32 v22, 26, v2
	v_xor_b32_e32 v1, s12, v1
	v_ashrrev_i32_e32 v3, 31, v3
	v_cmp_gt_i32_e64 s12, 0, v5
	v_not_b32_e32 v5, v6
	v_ashrrev_i32_e32 v4, 31, v4
	v_and_b32_e32 v1, exec_lo, v1
	v_xor_b32_e32 v3, s13, v3
	v_cmp_gt_i32_e64 s13, 0, v6
	v_not_b32_e32 v6, v7
	v_ashrrev_i32_e32 v5, 31, v5
	v_xor_b32_e32 v4, s12, v4
	v_and_b32_e32 v1, v1, v3
	v_lshlrev_b32_e32 v24, 25, v2
	v_cmp_gt_i32_e64 s12, 0, v7
	v_not_b32_e32 v3, v22
	v_ashrrev_i32_e32 v6, 31, v6
	v_xor_b32_e32 v5, s13, v5
	v_and_b32_e32 v1, v1, v4
	v_lshlrev_b32_e32 v2, 24, v2
	v_cmp_gt_i32_e64 s13, 0, v22
	v_not_b32_e32 v4, v24
	v_ashrrev_i32_e32 v3, 31, v3
	v_xor_b32_e32 v6, s12, v6
	v_and_b32_e32 v1, v1, v5
	v_cmp_gt_i32_e64 s12, 0, v24
	v_not_b32_e32 v5, v2
	v_ashrrev_i32_e32 v4, 31, v4
	v_xor_b32_e32 v3, s13, v3
	v_and_b32_e32 v1, v1, v6
	v_cmp_gt_i32_e64 s13, 0, v2
	v_ashrrev_i32_e32 v2, 31, v5
	v_xor_b32_e32 v4, s12, v4
	ds_load_b32 v22, v18
	v_and_b32_e32 v1, v1, v3
	s_waitcnt lgkmcnt(0)
	v_xor_b32_e32 v0, s13, v2
	s_barrier
	buffer_gl0_inv
	v_and_b32_e32 v1, v1, v4
	ds_store_2addr_b64 v13, v[11:12], v[9:10] offset0:3 offset1:4
	ds_store_2addr_b64 v15, v[11:12], v[9:10] offset0:2 offset1:3
	s_waitcnt lgkmcnt(0)
	s_barrier
	buffer_gl0_inv
	v_and_b32_e32 v0, v1, v0
	v_bfe_u32 v1, v23, 8, 8
	; wave barrier
	s_delay_alu instid0(VALU_DEP_2) | instskip(NEXT) | instid1(VALU_DEP_2)
	v_mbcnt_lo_u32_b32 v21, v0, 0
	v_mad_u32_u24 v1, v1, 6, v19
	v_cmp_ne_u32_e64 s13, 0, v0
	s_delay_alu instid0(VALU_DEP_3) | instskip(NEXT) | instid1(VALU_DEP_3)
	v_cmp_eq_u32_e64 s12, 0, v21
	v_lshl_add_u32 v24, v1, 2, 24
	s_delay_alu instid0(VALU_DEP_2) | instskip(NEXT) | instid1(SALU_CYCLE_1)
	s_and_b32 s13, s13, s12
	s_and_saveexec_b32 s12, s13
	s_cbranch_execz .LBB17_12
; %bb.11:                               ;   in Loop: Header=BB17_2 Depth=1
	v_bcnt_u32_b32 v0, v0, 0
	ds_store_b32 v24, v0
.LBB17_12:                              ;   in Loop: Header=BB17_2 Depth=1
	s_or_b32 exec_lo, exec_lo, s12
	; wave barrier
	s_waitcnt lgkmcnt(0)
	s_barrier
	buffer_gl0_inv
	ds_load_2addr_b64 v[4:7], v13 offset0:3 offset1:4
	ds_load_2addr_b64 v[0:3], v15 offset0:2 offset1:3
	s_waitcnt lgkmcnt(1)
	v_add_nc_u32_e32 v25, v5, v4
	s_delay_alu instid0(VALU_DEP_1) | instskip(SKIP_1) | instid1(VALU_DEP_1)
	v_add3_u32 v25, v25, v6, v7
	s_waitcnt lgkmcnt(0)
	v_add3_u32 v25, v25, v0, v1
	s_delay_alu instid0(VALU_DEP_1) | instskip(NEXT) | instid1(VALU_DEP_1)
	v_add3_u32 v3, v25, v2, v3
	v_mov_b32_dpp v25, v3 row_shr:1 row_mask:0xf bank_mask:0xf
	s_delay_alu instid0(VALU_DEP_1) | instskip(NEXT) | instid1(VALU_DEP_1)
	v_cndmask_b32_e64 v25, v25, 0, s0
	v_add_nc_u32_e32 v3, v25, v3
	s_delay_alu instid0(VALU_DEP_1) | instskip(NEXT) | instid1(VALU_DEP_1)
	v_mov_b32_dpp v25, v3 row_shr:2 row_mask:0xf bank_mask:0xf
	v_cndmask_b32_e64 v25, 0, v25, s1
	s_delay_alu instid0(VALU_DEP_1) | instskip(NEXT) | instid1(VALU_DEP_1)
	v_add_nc_u32_e32 v3, v3, v25
	v_mov_b32_dpp v25, v3 row_shr:4 row_mask:0xf bank_mask:0xf
	s_delay_alu instid0(VALU_DEP_1) | instskip(NEXT) | instid1(VALU_DEP_1)
	v_cndmask_b32_e64 v25, 0, v25, s2
	v_add_nc_u32_e32 v3, v3, v25
	s_delay_alu instid0(VALU_DEP_1) | instskip(NEXT) | instid1(VALU_DEP_1)
	v_mov_b32_dpp v25, v3 row_shr:8 row_mask:0xf bank_mask:0xf
	v_cndmask_b32_e64 v25, 0, v25, s3
	s_delay_alu instid0(VALU_DEP_1) | instskip(SKIP_3) | instid1(VALU_DEP_1)
	v_add_nc_u32_e32 v3, v3, v25
	ds_swizzle_b32 v25, v3 offset:swizzle(BROADCAST,32,15)
	s_waitcnt lgkmcnt(0)
	v_cndmask_b32_e64 v25, v25, 0, s4
	v_add_nc_u32_e32 v3, v3, v25
	s_and_saveexec_b32 s12, s11
	s_cbranch_execz .LBB17_14
; %bb.13:                               ;   in Loop: Header=BB17_2 Depth=1
	ds_store_b32 v14, v3
.LBB17_14:                              ;   in Loop: Header=BB17_2 Depth=1
	s_or_b32 exec_lo, exec_lo, s12
	s_waitcnt lgkmcnt(0)
	s_barrier
	buffer_gl0_inv
	s_and_saveexec_b32 s12, s5
	s_cbranch_execz .LBB17_16
; %bb.15:                               ;   in Loop: Header=BB17_2 Depth=1
	ds_load_b32 v25, v20
	s_waitcnt lgkmcnt(0)
	v_mov_b32_dpp v26, v25 row_shr:1 row_mask:0xf bank_mask:0xf
	s_delay_alu instid0(VALU_DEP_1) | instskip(NEXT) | instid1(VALU_DEP_1)
	v_cndmask_b32_e64 v26, v26, 0, s8
	v_add_nc_u32_e32 v25, v26, v25
	s_delay_alu instid0(VALU_DEP_1) | instskip(NEXT) | instid1(VALU_DEP_1)
	v_mov_b32_dpp v26, v25 row_shr:2 row_mask:0xf bank_mask:0xf
	v_cndmask_b32_e64 v26, 0, v26, s9
	s_delay_alu instid0(VALU_DEP_1) | instskip(NEXT) | instid1(VALU_DEP_1)
	v_add_nc_u32_e32 v25, v25, v26
	v_mov_b32_dpp v26, v25 row_shr:4 row_mask:0xf bank_mask:0xf
	s_delay_alu instid0(VALU_DEP_1) | instskip(NEXT) | instid1(VALU_DEP_1)
	v_cndmask_b32_e64 v26, 0, v26, s10
	v_add_nc_u32_e32 v25, v25, v26
	ds_store_b32 v20, v25
.LBB17_16:                              ;   in Loop: Header=BB17_2 Depth=1
	s_or_b32 exec_lo, exec_lo, s12
	v_mov_b32_e32 v25, 0
	s_waitcnt lgkmcnt(0)
	s_barrier
	buffer_gl0_inv
	s_and_saveexec_b32 s12, s6
	s_cbranch_execz .LBB17_18
; %bb.17:                               ;   in Loop: Header=BB17_2 Depth=1
	ds_load_b32 v25, v17
.LBB17_18:                              ;   in Loop: Header=BB17_2 Depth=1
	s_or_b32 exec_lo, exec_lo, s12
	s_waitcnt lgkmcnt(0)
	v_add_nc_u32_e32 v3, v25, v3
	ds_bpermute_b32 v3, v16, v3
	s_waitcnt lgkmcnt(0)
	v_cndmask_b32_e32 v3, v3, v25, vcc_lo
	s_delay_alu instid0(VALU_DEP_1) | instskip(NEXT) | instid1(VALU_DEP_1)
	v_cndmask_b32_e64 v3, v3, 0, s7
	v_add_nc_u32_e32 v4, v3, v4
	s_delay_alu instid0(VALU_DEP_1) | instskip(NEXT) | instid1(VALU_DEP_1)
	v_add_nc_u32_e32 v5, v4, v5
	v_add_nc_u32_e32 v6, v5, v6
	s_delay_alu instid0(VALU_DEP_1) | instskip(NEXT) | instid1(VALU_DEP_1)
	v_add_nc_u32_e32 v25, v6, v7
	;; [unrolled: 3-line block ×3, first 2 shown]
	v_add_nc_u32_e32 v1, v0, v2
	ds_store_2addr_b64 v13, v[3:4], v[5:6] offset0:3 offset1:4
	ds_store_2addr_b64 v15, v[25:26], v[0:1] offset0:2 offset1:3
	s_waitcnt lgkmcnt(0)
	s_barrier
	buffer_gl0_inv
	ds_load_b32 v0, v24
	v_lshlrev_b32_e32 v1, 2, v21
	s_waitcnt lgkmcnt(0)
	s_barrier
	buffer_gl0_inv
	v_lshl_add_u32 v0, v0, 2, v1
	v_dual_mov_b32 v1, s22 :: v_dual_mov_b32 v2, s23
	ds_store_b32 v0, v23
	s_waitcnt lgkmcnt(0)
	s_barrier
	buffer_gl0_inv
	ds_load_b32 v21, v18
	s_waitcnt lgkmcnt(0)
	s_barrier
	buffer_gl0_inv
	ds_store_b32 v0, v22
	s_waitcnt lgkmcnt(0)
	s_barrier
	buffer_gl0_inv
	ds_load_b32 v22, v18
	s_waitcnt lgkmcnt(0)
	s_barrier
	buffer_gl0_inv
	v_bfe_u32 v3, v21, 16, 1
	v_lshrrev_b32_e32 v4, 16, v21
	s_delay_alu instid0(VALU_DEP_2) | instskip(NEXT) | instid1(VALU_DEP_1)
	v_add_co_u32 v3, s12, v3, -1
	v_cndmask_b32_e64 v5, 0, 1, s12
	s_delay_alu instid0(VALU_DEP_3)
	v_lshlrev_b32_e32 v6, 30, v4
	v_lshlrev_b32_e32 v7, 29, v4
	;; [unrolled: 1-line block ×4, first 2 shown]
	v_cmp_ne_u32_e64 s12, 0, v5
	v_not_b32_e32 v5, v6
	v_cmp_gt_i32_e64 s13, 0, v6
	v_not_b32_e32 v6, v7
	v_lshlrev_b32_e32 v25, 26, v4
	v_xor_b32_e32 v3, s12, v3
	v_ashrrev_i32_e32 v5, 31, v5
	v_cmp_gt_i32_e64 s12, 0, v7
	v_not_b32_e32 v7, v23
	v_ashrrev_i32_e32 v6, 31, v6
	v_and_b32_e32 v3, exec_lo, v3
	v_xor_b32_e32 v5, s13, v5
	v_cmp_gt_i32_e64 s13, 0, v23
	v_not_b32_e32 v23, v24
	v_ashrrev_i32_e32 v7, 31, v7
	v_xor_b32_e32 v6, s12, v6
	v_and_b32_e32 v3, v3, v5
	v_lshlrev_b32_e32 v26, 25, v4
	v_cmp_gt_i32_e64 s12, 0, v24
	v_not_b32_e32 v5, v25
	v_ashrrev_i32_e32 v23, 31, v23
	v_xor_b32_e32 v7, s13, v7
	v_and_b32_e32 v3, v3, v6
	v_lshlrev_b32_e32 v4, 24, v4
	v_cmp_gt_i32_e64 s13, 0, v25
	v_not_b32_e32 v6, v26
	v_ashrrev_i32_e32 v5, 31, v5
	v_xor_b32_e32 v23, s12, v23
	v_and_b32_e32 v3, v3, v7
	v_cmp_gt_i32_e64 s12, 0, v26
	v_not_b32_e32 v7, v4
	v_ashrrev_i32_e32 v6, 31, v6
	v_xor_b32_e32 v5, s13, v5
	v_and_b32_e32 v3, v3, v23
	v_cmp_gt_i32_e64 s13, 0, v4
	v_ashrrev_i32_e32 v4, 31, v7
	v_xor_b32_e32 v6, s12, v6
	s_delay_alu instid0(VALU_DEP_4) | instskip(NEXT) | instid1(VALU_DEP_3)
	v_and_b32_e32 v3, v3, v5
	v_xor_b32_e32 v0, s13, v4
	s_delay_alu instid0(VALU_DEP_2)
	v_and_b32_e32 v5, v3, v6
	v_dual_mov_b32 v3, s16 :: v_dual_mov_b32 v4, s17
	ds_store_2addr_b64 v13, v[1:2], v[3:4] offset0:3 offset1:4
	ds_store_2addr_b64 v15, v[1:2], v[3:4] offset0:2 offset1:3
	v_and_b32_e32 v0, v5, v0
	v_bfe_u32 v5, v21, 16, 8
	s_waitcnt lgkmcnt(0)
	s_barrier
	buffer_gl0_inv
	v_mbcnt_lo_u32_b32 v23, v0, 0
	v_mad_u32_u24 v1, v5, 6, v19
	v_cmp_ne_u32_e64 s13, 0, v0
	; wave barrier
	s_delay_alu instid0(VALU_DEP_3) | instskip(NEXT) | instid1(VALU_DEP_3)
	v_cmp_eq_u32_e64 s12, 0, v23
	v_lshl_add_u32 v24, v1, 2, 24
	s_delay_alu instid0(VALU_DEP_2) | instskip(NEXT) | instid1(SALU_CYCLE_1)
	s_and_b32 s13, s13, s12
	s_and_saveexec_b32 s12, s13
	s_cbranch_execz .LBB17_20
; %bb.19:                               ;   in Loop: Header=BB17_2 Depth=1
	v_bcnt_u32_b32 v0, v0, 0
	ds_store_b32 v24, v0
.LBB17_20:                              ;   in Loop: Header=BB17_2 Depth=1
	s_or_b32 exec_lo, exec_lo, s12
	; wave barrier
	s_waitcnt lgkmcnt(0)
	s_barrier
	buffer_gl0_inv
	ds_load_2addr_b64 v[4:7], v13 offset0:3 offset1:4
	ds_load_2addr_b64 v[0:3], v15 offset0:2 offset1:3
	s_waitcnt lgkmcnt(1)
	v_add_nc_u32_e32 v25, v5, v4
	s_delay_alu instid0(VALU_DEP_1) | instskip(SKIP_1) | instid1(VALU_DEP_1)
	v_add3_u32 v25, v25, v6, v7
	s_waitcnt lgkmcnt(0)
	v_add3_u32 v25, v25, v0, v1
	s_delay_alu instid0(VALU_DEP_1) | instskip(NEXT) | instid1(VALU_DEP_1)
	v_add3_u32 v3, v25, v2, v3
	v_mov_b32_dpp v25, v3 row_shr:1 row_mask:0xf bank_mask:0xf
	s_delay_alu instid0(VALU_DEP_1) | instskip(NEXT) | instid1(VALU_DEP_1)
	v_cndmask_b32_e64 v25, v25, 0, s0
	v_add_nc_u32_e32 v3, v25, v3
	s_delay_alu instid0(VALU_DEP_1) | instskip(NEXT) | instid1(VALU_DEP_1)
	v_mov_b32_dpp v25, v3 row_shr:2 row_mask:0xf bank_mask:0xf
	v_cndmask_b32_e64 v25, 0, v25, s1
	s_delay_alu instid0(VALU_DEP_1) | instskip(NEXT) | instid1(VALU_DEP_1)
	v_add_nc_u32_e32 v3, v3, v25
	v_mov_b32_dpp v25, v3 row_shr:4 row_mask:0xf bank_mask:0xf
	s_delay_alu instid0(VALU_DEP_1) | instskip(NEXT) | instid1(VALU_DEP_1)
	v_cndmask_b32_e64 v25, 0, v25, s2
	v_add_nc_u32_e32 v3, v3, v25
	s_delay_alu instid0(VALU_DEP_1) | instskip(NEXT) | instid1(VALU_DEP_1)
	v_mov_b32_dpp v25, v3 row_shr:8 row_mask:0xf bank_mask:0xf
	v_cndmask_b32_e64 v25, 0, v25, s3
	s_delay_alu instid0(VALU_DEP_1) | instskip(SKIP_3) | instid1(VALU_DEP_1)
	v_add_nc_u32_e32 v3, v3, v25
	ds_swizzle_b32 v25, v3 offset:swizzle(BROADCAST,32,15)
	s_waitcnt lgkmcnt(0)
	v_cndmask_b32_e64 v25, v25, 0, s4
	v_add_nc_u32_e32 v3, v3, v25
	s_and_saveexec_b32 s12, s11
	s_cbranch_execz .LBB17_22
; %bb.21:                               ;   in Loop: Header=BB17_2 Depth=1
	ds_store_b32 v14, v3
.LBB17_22:                              ;   in Loop: Header=BB17_2 Depth=1
	s_or_b32 exec_lo, exec_lo, s12
	s_waitcnt lgkmcnt(0)
	s_barrier
	buffer_gl0_inv
	s_and_saveexec_b32 s12, s5
	s_cbranch_execz .LBB17_24
; %bb.23:                               ;   in Loop: Header=BB17_2 Depth=1
	ds_load_b32 v25, v20
	s_waitcnt lgkmcnt(0)
	v_mov_b32_dpp v26, v25 row_shr:1 row_mask:0xf bank_mask:0xf
	s_delay_alu instid0(VALU_DEP_1) | instskip(NEXT) | instid1(VALU_DEP_1)
	v_cndmask_b32_e64 v26, v26, 0, s8
	v_add_nc_u32_e32 v25, v26, v25
	s_delay_alu instid0(VALU_DEP_1) | instskip(NEXT) | instid1(VALU_DEP_1)
	v_mov_b32_dpp v26, v25 row_shr:2 row_mask:0xf bank_mask:0xf
	v_cndmask_b32_e64 v26, 0, v26, s9
	s_delay_alu instid0(VALU_DEP_1) | instskip(NEXT) | instid1(VALU_DEP_1)
	v_add_nc_u32_e32 v25, v25, v26
	v_mov_b32_dpp v26, v25 row_shr:4 row_mask:0xf bank_mask:0xf
	s_delay_alu instid0(VALU_DEP_1) | instskip(NEXT) | instid1(VALU_DEP_1)
	v_cndmask_b32_e64 v26, 0, v26, s10
	v_add_nc_u32_e32 v25, v25, v26
	ds_store_b32 v20, v25
.LBB17_24:                              ;   in Loop: Header=BB17_2 Depth=1
	s_or_b32 exec_lo, exec_lo, s12
	v_mov_b32_e32 v25, 0
	s_waitcnt lgkmcnt(0)
	s_barrier
	buffer_gl0_inv
	s_and_saveexec_b32 s12, s6
	s_cbranch_execz .LBB17_26
; %bb.25:                               ;   in Loop: Header=BB17_2 Depth=1
	ds_load_b32 v25, v17
.LBB17_26:                              ;   in Loop: Header=BB17_2 Depth=1
	s_or_b32 exec_lo, exec_lo, s12
	s_waitcnt lgkmcnt(0)
	v_add_nc_u32_e32 v3, v25, v3
	ds_bpermute_b32 v3, v16, v3
	s_waitcnt lgkmcnt(0)
	v_cndmask_b32_e32 v3, v3, v25, vcc_lo
	s_delay_alu instid0(VALU_DEP_1) | instskip(NEXT) | instid1(VALU_DEP_1)
	v_cndmask_b32_e64 v3, v3, 0, s7
	v_add_nc_u32_e32 v4, v3, v4
	s_delay_alu instid0(VALU_DEP_1) | instskip(NEXT) | instid1(VALU_DEP_1)
	v_add_nc_u32_e32 v5, v4, v5
	v_add_nc_u32_e32 v6, v5, v6
	s_delay_alu instid0(VALU_DEP_1) | instskip(NEXT) | instid1(VALU_DEP_1)
	v_add_nc_u32_e32 v25, v6, v7
	;; [unrolled: 3-line block ×3, first 2 shown]
	v_add_nc_u32_e32 v1, v0, v2
	ds_store_2addr_b64 v13, v[3:4], v[5:6] offset0:3 offset1:4
	ds_store_2addr_b64 v15, v[25:26], v[0:1] offset0:2 offset1:3
	s_waitcnt lgkmcnt(0)
	s_barrier
	buffer_gl0_inv
	ds_load_b32 v0, v24
	v_lshlrev_b32_e32 v1, 2, v23
	s_waitcnt lgkmcnt(0)
	s_barrier
	buffer_gl0_inv
	v_lshl_add_u32 v0, v0, 2, v1
	ds_store_b32 v0, v21
	s_waitcnt lgkmcnt(0)
	s_barrier
	buffer_gl0_inv
	ds_load_b32 v21, v18
	s_waitcnt lgkmcnt(0)
	s_barrier
	buffer_gl0_inv
	ds_store_b32 v0, v22
	s_waitcnt lgkmcnt(0)
	s_barrier
	buffer_gl0_inv
	v_bfe_u32 v1, v21, 24, 1
	v_lshrrev_b32_e32 v5, 24, v21
	s_delay_alu instid0(VALU_DEP_2) | instskip(NEXT) | instid1(VALU_DEP_1)
	v_add_co_u32 v1, s12, v1, -1
	v_cndmask_b32_e64 v2, 0, 1, s12
	s_delay_alu instid0(VALU_DEP_3)
	v_lshlrev_b32_e32 v3, 30, v5
	v_lshlrev_b32_e32 v4, 29, v5
	;; [unrolled: 1-line block ×4, first 2 shown]
	v_cmp_ne_u32_e64 s12, 0, v2
	v_not_b32_e32 v2, v3
	v_cmp_gt_i32_e64 s13, 0, v3
	v_not_b32_e32 v3, v4
	v_lshlrev_b32_e32 v23, 26, v5
	v_xor_b32_e32 v1, s12, v1
	v_ashrrev_i32_e32 v2, 31, v2
	v_cmp_gt_i32_e64 s12, 0, v4
	v_not_b32_e32 v4, v6
	v_ashrrev_i32_e32 v3, 31, v3
	v_and_b32_e32 v1, exec_lo, v1
	v_xor_b32_e32 v2, s13, v2
	v_cmp_gt_i32_e64 s13, 0, v6
	v_not_b32_e32 v6, v7
	v_ashrrev_i32_e32 v4, 31, v4
	v_xor_b32_e32 v3, s12, v3
	v_and_b32_e32 v1, v1, v2
	v_lshlrev_b32_e32 v24, 25, v5
	v_cmp_gt_i32_e64 s12, 0, v7
	v_not_b32_e32 v2, v23
	v_ashrrev_i32_e32 v6, 31, v6
	v_xor_b32_e32 v4, s13, v4
	v_and_b32_e32 v1, v1, v3
	v_cmp_gt_i32_e64 s13, 0, v23
	v_not_b32_e32 v3, v24
	v_ashrrev_i32_e32 v2, 31, v2
	v_xor_b32_e32 v6, s12, v6
	v_and_b32_e32 v1, v1, v4
	v_not_b32_e32 v4, v21
	v_cmp_gt_i32_e64 s12, 0, v24
	v_ashrrev_i32_e32 v3, 31, v3
	v_xor_b32_e32 v2, s13, v2
	v_and_b32_e32 v1, v1, v6
	v_cmp_gt_i32_e64 s13, 0, v21
	v_ashrrev_i32_e32 v4, 31, v4
	v_xor_b32_e32 v3, s12, v3
	ds_load_b32 v23, v18
	v_and_b32_e32 v1, v1, v2
	s_waitcnt lgkmcnt(0)
	v_xor_b32_e32 v0, s13, v4
	s_barrier
	buffer_gl0_inv
	v_and_b32_e32 v3, v1, v3
	v_dual_mov_b32 v1, s22 :: v_dual_mov_b32 v2, s23
	s_delay_alu instid0(VALU_DEP_2)
	v_dual_mov_b32 v3, s16 :: v_dual_and_b32 v0, v3, v0
	v_mov_b32_e32 v4, s17
	ds_store_2addr_b64 v13, v[1:2], v[3:4] offset0:3 offset1:4
	ds_store_2addr_b64 v15, v[1:2], v[3:4] offset0:2 offset1:3
	v_mbcnt_lo_u32_b32 v22, v0, 0
	v_mad_u32_u24 v1, v5, 6, v19
	v_cmp_ne_u32_e64 s13, 0, v0
	s_waitcnt lgkmcnt(0)
	s_barrier
	v_cmp_eq_u32_e64 s12, 0, v22
	v_lshl_add_u32 v24, v1, 2, 24
	buffer_gl0_inv
	; wave barrier
	s_and_b32 s13, s13, s12
	s_delay_alu instid0(SALU_CYCLE_1)
	s_and_saveexec_b32 s12, s13
	s_cbranch_execz .LBB17_28
; %bb.27:                               ;   in Loop: Header=BB17_2 Depth=1
	v_bcnt_u32_b32 v0, v0, 0
	ds_store_b32 v24, v0
.LBB17_28:                              ;   in Loop: Header=BB17_2 Depth=1
	s_or_b32 exec_lo, exec_lo, s12
	; wave barrier
	s_waitcnt lgkmcnt(0)
	s_barrier
	buffer_gl0_inv
	ds_load_2addr_b64 v[4:7], v13 offset0:3 offset1:4
	ds_load_2addr_b64 v[0:3], v15 offset0:2 offset1:3
	s_waitcnt lgkmcnt(1)
	v_add_nc_u32_e32 v25, v5, v4
	s_delay_alu instid0(VALU_DEP_1) | instskip(SKIP_1) | instid1(VALU_DEP_1)
	v_add3_u32 v25, v25, v6, v7
	s_waitcnt lgkmcnt(0)
	v_add3_u32 v25, v25, v0, v1
	s_delay_alu instid0(VALU_DEP_1) | instskip(NEXT) | instid1(VALU_DEP_1)
	v_add3_u32 v3, v25, v2, v3
	v_mov_b32_dpp v25, v3 row_shr:1 row_mask:0xf bank_mask:0xf
	s_delay_alu instid0(VALU_DEP_1) | instskip(NEXT) | instid1(VALU_DEP_1)
	v_cndmask_b32_e64 v25, v25, 0, s0
	v_add_nc_u32_e32 v3, v25, v3
	s_delay_alu instid0(VALU_DEP_1) | instskip(NEXT) | instid1(VALU_DEP_1)
	v_mov_b32_dpp v25, v3 row_shr:2 row_mask:0xf bank_mask:0xf
	v_cndmask_b32_e64 v25, 0, v25, s1
	s_delay_alu instid0(VALU_DEP_1) | instskip(NEXT) | instid1(VALU_DEP_1)
	v_add_nc_u32_e32 v3, v3, v25
	v_mov_b32_dpp v25, v3 row_shr:4 row_mask:0xf bank_mask:0xf
	s_delay_alu instid0(VALU_DEP_1) | instskip(NEXT) | instid1(VALU_DEP_1)
	v_cndmask_b32_e64 v25, 0, v25, s2
	v_add_nc_u32_e32 v3, v3, v25
	s_delay_alu instid0(VALU_DEP_1) | instskip(NEXT) | instid1(VALU_DEP_1)
	v_mov_b32_dpp v25, v3 row_shr:8 row_mask:0xf bank_mask:0xf
	v_cndmask_b32_e64 v25, 0, v25, s3
	s_delay_alu instid0(VALU_DEP_1) | instskip(SKIP_3) | instid1(VALU_DEP_1)
	v_add_nc_u32_e32 v3, v3, v25
	ds_swizzle_b32 v25, v3 offset:swizzle(BROADCAST,32,15)
	s_waitcnt lgkmcnt(0)
	v_cndmask_b32_e64 v25, v25, 0, s4
	v_add_nc_u32_e32 v3, v3, v25
	s_and_saveexec_b32 s12, s11
	s_cbranch_execz .LBB17_30
; %bb.29:                               ;   in Loop: Header=BB17_2 Depth=1
	ds_store_b32 v14, v3
.LBB17_30:                              ;   in Loop: Header=BB17_2 Depth=1
	s_or_b32 exec_lo, exec_lo, s12
	s_waitcnt lgkmcnt(0)
	s_barrier
	buffer_gl0_inv
	s_and_saveexec_b32 s12, s5
	s_cbranch_execz .LBB17_32
; %bb.31:                               ;   in Loop: Header=BB17_2 Depth=1
	ds_load_b32 v25, v20
	s_waitcnt lgkmcnt(0)
	v_mov_b32_dpp v26, v25 row_shr:1 row_mask:0xf bank_mask:0xf
	s_delay_alu instid0(VALU_DEP_1) | instskip(NEXT) | instid1(VALU_DEP_1)
	v_cndmask_b32_e64 v26, v26, 0, s8
	v_add_nc_u32_e32 v25, v26, v25
	s_delay_alu instid0(VALU_DEP_1) | instskip(NEXT) | instid1(VALU_DEP_1)
	v_mov_b32_dpp v26, v25 row_shr:2 row_mask:0xf bank_mask:0xf
	v_cndmask_b32_e64 v26, 0, v26, s9
	s_delay_alu instid0(VALU_DEP_1) | instskip(NEXT) | instid1(VALU_DEP_1)
	v_add_nc_u32_e32 v25, v25, v26
	v_mov_b32_dpp v26, v25 row_shr:4 row_mask:0xf bank_mask:0xf
	s_delay_alu instid0(VALU_DEP_1) | instskip(NEXT) | instid1(VALU_DEP_1)
	v_cndmask_b32_e64 v26, 0, v26, s10
	v_add_nc_u32_e32 v25, v25, v26
	ds_store_b32 v20, v25
.LBB17_32:                              ;   in Loop: Header=BB17_2 Depth=1
	s_or_b32 exec_lo, exec_lo, s12
	v_mov_b32_e32 v25, 0
	s_waitcnt lgkmcnt(0)
	s_barrier
	buffer_gl0_inv
	s_and_saveexec_b32 s12, s6
	s_cbranch_execz .LBB17_1
; %bb.33:                               ;   in Loop: Header=BB17_2 Depth=1
	ds_load_b32 v25, v17
	s_branch .LBB17_1
.LBB17_34:
	s_waitcnt lgkmcnt(0)
	v_add3_u32 v0, v21, v22, 0x80000000
	v_lshlrev_b32_e32 v1, 2, v8
	s_add_u32 s0, s18, s20
	s_addc_u32 s1, s19, s21
	global_store_b32 v1, v0, s[0:1]
	s_nop 0
	s_sendmsg sendmsg(MSG_DEALLOC_VGPRS)
	s_endpgm
	.section	.rodata,"a",@progbits
	.p2align	6, 0x0
	.amdhsa_kernel _Z17sort_pairs_kernelI22helper_blocked_blockediLj192ELj1ELj10EEvPKT0_PS1_
		.amdhsa_group_segment_fixed_size 6176
		.amdhsa_private_segment_fixed_size 0
		.amdhsa_kernarg_size 272
		.amdhsa_user_sgpr_count 15
		.amdhsa_user_sgpr_dispatch_ptr 0
		.amdhsa_user_sgpr_queue_ptr 0
		.amdhsa_user_sgpr_kernarg_segment_ptr 1
		.amdhsa_user_sgpr_dispatch_id 0
		.amdhsa_user_sgpr_private_segment_size 0
		.amdhsa_wavefront_size32 1
		.amdhsa_uses_dynamic_stack 0
		.amdhsa_enable_private_segment 0
		.amdhsa_system_sgpr_workgroup_id_x 1
		.amdhsa_system_sgpr_workgroup_id_y 0
		.amdhsa_system_sgpr_workgroup_id_z 0
		.amdhsa_system_sgpr_workgroup_info 0
		.amdhsa_system_vgpr_workitem_id 2
		.amdhsa_next_free_vgpr 27
		.amdhsa_next_free_sgpr 24
		.amdhsa_reserve_vcc 1
		.amdhsa_float_round_mode_32 0
		.amdhsa_float_round_mode_16_64 0
		.amdhsa_float_denorm_mode_32 3
		.amdhsa_float_denorm_mode_16_64 3
		.amdhsa_dx10_clamp 1
		.amdhsa_ieee_mode 1
		.amdhsa_fp16_overflow 0
		.amdhsa_workgroup_processor_mode 1
		.amdhsa_memory_ordered 1
		.amdhsa_forward_progress 0
		.amdhsa_shared_vgpr_count 0
		.amdhsa_exception_fp_ieee_invalid_op 0
		.amdhsa_exception_fp_denorm_src 0
		.amdhsa_exception_fp_ieee_div_zero 0
		.amdhsa_exception_fp_ieee_overflow 0
		.amdhsa_exception_fp_ieee_underflow 0
		.amdhsa_exception_fp_ieee_inexact 0
		.amdhsa_exception_int_div_zero 0
	.end_amdhsa_kernel
	.section	.text._Z17sort_pairs_kernelI22helper_blocked_blockediLj192ELj1ELj10EEvPKT0_PS1_,"axG",@progbits,_Z17sort_pairs_kernelI22helper_blocked_blockediLj192ELj1ELj10EEvPKT0_PS1_,comdat
.Lfunc_end17:
	.size	_Z17sort_pairs_kernelI22helper_blocked_blockediLj192ELj1ELj10EEvPKT0_PS1_, .Lfunc_end17-_Z17sort_pairs_kernelI22helper_blocked_blockediLj192ELj1ELj10EEvPKT0_PS1_
                                        ; -- End function
	.section	.AMDGPU.csdata,"",@progbits
; Kernel info:
; codeLenInByte = 4452
; NumSgprs: 26
; NumVgprs: 27
; ScratchSize: 0
; MemoryBound: 0
; FloatMode: 240
; IeeeMode: 1
; LDSByteSize: 6176 bytes/workgroup (compile time only)
; SGPRBlocks: 3
; VGPRBlocks: 3
; NumSGPRsForWavesPerEU: 26
; NumVGPRsForWavesPerEU: 27
; Occupancy: 15
; WaveLimiterHint : 0
; COMPUTE_PGM_RSRC2:SCRATCH_EN: 0
; COMPUTE_PGM_RSRC2:USER_SGPR: 15
; COMPUTE_PGM_RSRC2:TRAP_HANDLER: 0
; COMPUTE_PGM_RSRC2:TGID_X_EN: 1
; COMPUTE_PGM_RSRC2:TGID_Y_EN: 0
; COMPUTE_PGM_RSRC2:TGID_Z_EN: 0
; COMPUTE_PGM_RSRC2:TIDIG_COMP_CNT: 2
	.section	.text._Z16sort_keys_kernelI22helper_blocked_blockediLj192ELj3ELj10EEvPKT0_PS1_,"axG",@progbits,_Z16sort_keys_kernelI22helper_blocked_blockediLj192ELj3ELj10EEvPKT0_PS1_,comdat
	.protected	_Z16sort_keys_kernelI22helper_blocked_blockediLj192ELj3ELj10EEvPKT0_PS1_ ; -- Begin function _Z16sort_keys_kernelI22helper_blocked_blockediLj192ELj3ELj10EEvPKT0_PS1_
	.globl	_Z16sort_keys_kernelI22helper_blocked_blockediLj192ELj3ELj10EEvPKT0_PS1_
	.p2align	8
	.type	_Z16sort_keys_kernelI22helper_blocked_blockediLj192ELj3ELj10EEvPKT0_PS1_,@function
_Z16sort_keys_kernelI22helper_blocked_blockediLj192ELj3ELj10EEvPKT0_PS1_: ; @_Z16sort_keys_kernelI22helper_blocked_blockediLj192ELj3ELj10EEvPKT0_PS1_
; %bb.0:
	s_clause 0x1
	s_load_b128 s[16:19], s[0:1], 0x0
	s_load_b32 s2, s[0:1], 0x1c
	s_mov_b32 s21, 0
	s_mul_i32 s20, s15, 0x240
	v_mbcnt_lo_u32_b32 v7, -1, 0
	s_lshl_b64 s[14:15], s[20:21], 2
	s_mov_b32 s20, s21
	v_and_b32_e32 v8, 0x3ff, v0
	v_bfe_u32 v4, v0, 10, 10
	v_bfe_u32 v0, v0, 20, 10
	v_cmp_eq_u32_e64 s8, 0, v7
	s_delay_alu instid0(VALU_DEP_4) | instskip(SKIP_1) | instid1(VALU_DEP_1)
	v_lshlrev_b32_e32 v1, 2, v8
	v_lshrrev_b32_e32 v6, 5, v8
	v_mul_u32_u24_e32 v5, 0x60, v6
	v_lshlrev_b32_e32 v19, 2, v6
	s_waitcnt lgkmcnt(0)
	s_add_u32 s0, s16, s14
	s_addc_u32 s1, s17, s15
	s_mov_b32 s16, s21
	s_clause 0x2
	global_load_b32 v2, v1, s[0:1]
	global_load_b32 v3, v1, s[0:1] offset:768
	global_load_b32 v1, v1, s[0:1] offset:1536
	s_lshr_b32 s0, s2, 16
	v_lshlrev_b32_e32 v9, 2, v5
	v_mad_u32_u24 v0, v0, s0, v4
	s_and_b32 s0, s2, 0xffff
	v_or_b32_e32 v10, v7, v5
	s_mov_b32 s17, s21
	v_mad_u32_u24 v13, v7, 12, v9
	v_mad_u64_u32 v[4:5], null, v0, s0, v[8:9]
	v_add_nc_u32_e32 v9, -1, v7
	v_lshlrev_b32_e32 v15, 2, v10
	v_and_b32_e32 v0, 15, v7
	v_and_b32_e32 v10, 16, v7
	v_add_nc_u32_e32 v21, -4, v19
	v_cmp_gt_i32_e32 vcc_lo, 0, v9
	v_lshrrev_b32_e32 v17, 5, v4
	v_cmp_eq_u32_e64 s0, 0, v0
	v_cmp_lt_u32_e64 s1, 1, v0
	v_cmp_lt_u32_e64 s2, 3, v0
	;; [unrolled: 1-line block ×3, first 2 shown]
	v_cndmask_b32_e32 v0, v9, v7, vcc_lo
	v_cmp_eq_u32_e64 s4, 0, v10
	v_mov_b32_e32 v9, s20
	v_and_b32_e32 v5, 0xe0, v8
	v_dual_mov_b32 v11, s16 :: v_dual_lshlrev_b32 v14, 5, v8
	v_lshlrev_b32_e32 v18, 2, v0
	v_lshlrev_b32_e32 v23, 3, v8
	s_delay_alu instid0(VALU_DEP_4)
	v_min_u32_e32 v4, 0xa0, v5
	v_mul_u32_u24_e32 v0, 3, v5
	v_mad_i32_i24 v20, 0xffffffe4, v8, v14
	v_or_b32_e32 v16, 24, v14
	v_cmp_gt_u32_e64 s6, 6, v8
	v_or_b32_e32 v4, 31, v4
	v_or_b32_e32 v0, v7, v0
	v_cmp_lt_u32_e64 s7, 31, v8
	v_cmp_eq_u32_e64 s9, 0, v8
	v_mov_b32_e32 v10, s21
	v_cmp_eq_u32_e64 s5, v4, v8
	v_and_b32_e32 v4, 7, v7
	v_lshlrev_b32_e32 v22, 2, v0
	v_dual_mov_b32 v12, s17 :: v_dual_add_nc_u32 v23, v20, v23
	s_delay_alu instid0(VALU_DEP_3)
	v_cmp_eq_u32_e64 s10, 0, v4
	v_cmp_lt_u32_e64 s11, 1, v4
	v_cmp_lt_u32_e64 s12, 3, v4
	s_branch .LBB18_2
.LBB18_1:                               ;   in Loop: Header=BB18_2 Depth=1
	v_lshlrev_b32_e32 v0, 2, v5
	v_lshlrev_b32_e32 v1, 2, v4
	;; [unrolled: 1-line block ×3, first 2 shown]
	s_barrier
	buffer_gl0_inv
	ds_store_b32 v0, v24
	ds_store_b32 v1, v26
	;; [unrolled: 1-line block ×3, first 2 shown]
	s_waitcnt lgkmcnt(0)
	s_barrier
	buffer_gl0_inv
	ds_load_2addr_b32 v[0:1], v23 offset1:1
	ds_load_b32 v4, v23 offset:8
	s_add_i32 s21, s21, 1
	s_delay_alu instid0(SALU_CYCLE_1)
	s_cmp_eq_u32 s21, 10
	s_waitcnt lgkmcnt(1)
	v_xor_b32_e32 v2, 0x80000000, v0
	v_xor_b32_e32 v3, 0x80000000, v1
	s_waitcnt lgkmcnt(0)
	v_xor_b32_e32 v1, 0x80000000, v4
	s_cbranch_scc1 .LBB18_18
.LBB18_2:                               ; =>This Loop Header: Depth=1
                                        ;     Child Loop BB18_4 Depth 2
	s_waitcnt vmcnt(2)
	v_xor_b32_e32 v0, 0x80000000, v2
	s_waitcnt vmcnt(1)
	v_xor_b32_e32 v2, 0x80000000, v3
	;; [unrolled: 2-line block ×3, first 2 shown]
	s_mov_b32 s16, 0
	ds_store_2addr_b32 v13, v0, v2 offset1:1
	ds_store_b32 v13, v1 offset:8
	; wave barrier
	ds_load_2addr_b32 v[0:1], v15 offset1:32
	ds_load_b32 v2, v15 offset:256
	s_waitcnt lgkmcnt(0)
	s_barrier
	buffer_gl0_inv
	; wave barrier
	s_barrier
	s_branch .LBB18_4
.LBB18_3:                               ;   in Loop: Header=BB18_4 Depth=2
	v_lshlrev_b32_e32 v0, 2, v5
	v_lshlrev_b32_e32 v1, 2, v4
	s_delay_alu instid0(VALU_DEP_3)
	v_lshlrev_b32_e32 v2, 2, v3
	s_barrier
	buffer_gl0_inv
	ds_store_b32 v0, v24
	ds_store_b32 v1, v26
	;; [unrolled: 1-line block ×3, first 2 shown]
	s_waitcnt lgkmcnt(0)
	s_barrier
	buffer_gl0_inv
	ds_load_2addr_b32 v[0:1], v22 offset1:32
	ds_load_b32 v2, v22 offset:256
	s_add_i32 s16, s16, 8
	s_waitcnt lgkmcnt(0)
	s_barrier
	s_cbranch_execz .LBB18_1
.LBB18_4:                               ;   Parent Loop BB18_2 Depth=1
                                        ; =>  This Inner Loop Header: Depth=2
	v_mov_b32_e32 v24, v0
	buffer_gl0_inv
	ds_store_2addr_b64 v14, v[9:10], v[11:12] offset0:3 offset1:4
	ds_store_2addr_b64 v16, v[9:10], v[11:12] offset0:2 offset1:3
	s_waitcnt lgkmcnt(0)
	s_barrier
	v_lshrrev_b32_e32 v3, s16, v24
	buffer_gl0_inv
	; wave barrier
	v_lshlrev_b32_e32 v5, 30, v3
	v_bfe_u32 v0, v24, s16, 1
	v_lshlrev_b32_e32 v6, 29, v3
	v_lshlrev_b32_e32 v7, 28, v3
	;; [unrolled: 1-line block ×4, first 2 shown]
	v_add_co_u32 v0, s13, v0, -1
	s_delay_alu instid0(VALU_DEP_1) | instskip(SKIP_3) | instid1(VALU_DEP_4)
	v_cndmask_b32_e64 v4, 0, 1, s13
	v_cmp_gt_i32_e64 s13, 0, v5
	v_lshlrev_b32_e32 v27, 25, v3
	v_lshlrev_b32_e32 v3, 24, v3
	v_cmp_ne_u32_e32 vcc_lo, 0, v4
	v_not_b32_e32 v4, v5
	v_not_b32_e32 v5, v6
	v_xor_b32_e32 v0, vcc_lo, v0
	s_delay_alu instid0(VALU_DEP_3)
	v_ashrrev_i32_e32 v4, 31, v4
	v_cmp_gt_i32_e32 vcc_lo, 0, v6
	v_not_b32_e32 v6, v7
	v_ashrrev_i32_e32 v5, 31, v5
	v_and_b32_e32 v0, exec_lo, v0
	v_xor_b32_e32 v4, s13, v4
	v_cmp_gt_i32_e64 s13, 0, v7
	v_not_b32_e32 v7, v25
	v_ashrrev_i32_e32 v6, 31, v6
	v_xor_b32_e32 v5, vcc_lo, v5
	v_and_b32_e32 v0, v0, v4
	v_cmp_gt_i32_e32 vcc_lo, 0, v25
	v_not_b32_e32 v4, v26
	v_ashrrev_i32_e32 v7, 31, v7
	v_xor_b32_e32 v6, s13, v6
	v_and_b32_e32 v0, v0, v5
	v_cmp_gt_i32_e64 s13, 0, v26
	v_mov_b32_e32 v26, v1
	v_not_b32_e32 v5, v27
	v_ashrrev_i32_e32 v4, 31, v4
	v_xor_b32_e32 v7, vcc_lo, v7
	v_and_b32_e32 v0, v0, v6
	v_cmp_gt_i32_e32 vcc_lo, 0, v27
	v_not_b32_e32 v6, v3
	v_ashrrev_i32_e32 v5, 31, v5
	v_xor_b32_e32 v4, s13, v4
	v_and_b32_e32 v0, v0, v7
	v_cmp_gt_i32_e64 s13, 0, v3
	v_ashrrev_i32_e32 v3, 31, v6
	v_xor_b32_e32 v5, vcc_lo, v5
	v_bfe_u32 v1, v24, s16, 8
	v_dual_mov_b32 v25, v2 :: v_dual_and_b32 v0, v0, v4
	s_delay_alu instid0(VALU_DEP_4) | instskip(NEXT) | instid1(VALU_DEP_3)
	v_xor_b32_e32 v3, s13, v3
	v_mad_u32_u24 v1, v1, 6, v17
	s_delay_alu instid0(VALU_DEP_3) | instskip(NEXT) | instid1(VALU_DEP_2)
	v_and_b32_e32 v0, v0, v5
	v_lshl_add_u32 v28, v1, 2, 24
	s_delay_alu instid0(VALU_DEP_2) | instskip(NEXT) | instid1(VALU_DEP_1)
	v_and_b32_e32 v0, v0, v3
	v_mbcnt_lo_u32_b32 v27, v0, 0
	v_cmp_ne_u32_e64 s13, 0, v0
	s_delay_alu instid0(VALU_DEP_2) | instskip(NEXT) | instid1(VALU_DEP_2)
	v_cmp_eq_u32_e32 vcc_lo, 0, v27
	s_and_b32 s17, s13, vcc_lo
	s_delay_alu instid0(SALU_CYCLE_1)
	s_and_saveexec_b32 s13, s17
	s_cbranch_execz .LBB18_6
; %bb.5:                                ;   in Loop: Header=BB18_4 Depth=2
	v_bcnt_u32_b32 v0, v0, 0
	ds_store_b32 v28, v0
.LBB18_6:                               ;   in Loop: Header=BB18_4 Depth=2
	s_or_b32 exec_lo, exec_lo, s13
	v_bfe_u32 v0, v26, s16, 1
	v_lshrrev_b32_e32 v1, s16, v26
	; wave barrier
	s_delay_alu instid0(VALU_DEP_2) | instskip(NEXT) | instid1(VALU_DEP_1)
	v_add_co_u32 v0, s13, v0, -1
	v_cndmask_b32_e64 v2, 0, 1, s13
	s_delay_alu instid0(VALU_DEP_3)
	v_lshlrev_b32_e32 v3, 30, v1
	v_lshlrev_b32_e32 v4, 29, v1
	;; [unrolled: 1-line block ×4, first 2 shown]
	v_cmp_ne_u32_e32 vcc_lo, 0, v2
	v_not_b32_e32 v2, v3
	v_cmp_gt_i32_e64 s13, 0, v3
	v_not_b32_e32 v3, v4
	v_lshlrev_b32_e32 v7, 26, v1
	v_xor_b32_e32 v0, vcc_lo, v0
	v_ashrrev_i32_e32 v2, 31, v2
	v_cmp_gt_i32_e32 vcc_lo, 0, v4
	v_not_b32_e32 v4, v5
	v_ashrrev_i32_e32 v3, 31, v3
	v_and_b32_e32 v0, exec_lo, v0
	v_xor_b32_e32 v2, s13, v2
	v_cmp_gt_i32_e64 s13, 0, v5
	v_not_b32_e32 v5, v6
	v_ashrrev_i32_e32 v4, 31, v4
	v_xor_b32_e32 v3, vcc_lo, v3
	v_and_b32_e32 v0, v0, v2
	v_cmp_gt_i32_e32 vcc_lo, 0, v6
	v_not_b32_e32 v2, v7
	v_ashrrev_i32_e32 v5, 31, v5
	v_xor_b32_e32 v4, s13, v4
	v_and_b32_e32 v0, v0, v3
	v_lshlrev_b32_e32 v3, 25, v1
	v_cmp_gt_i32_e64 s13, 0, v7
	v_ashrrev_i32_e32 v2, 31, v2
	v_xor_b32_e32 v5, vcc_lo, v5
	v_and_b32_e32 v0, v0, v4
	v_not_b32_e32 v6, v3
	v_lshlrev_b32_e32 v1, 24, v1
	v_bfe_u32 v4, v26, s16, 8
	v_xor_b32_e32 v2, s13, v2
	v_and_b32_e32 v0, v0, v5
	v_cmp_gt_i32_e32 vcc_lo, 0, v3
	v_ashrrev_i32_e32 v3, 31, v6
	v_not_b32_e32 v5, v1
	v_mul_u32_u24_e32 v4, 6, v4
	v_and_b32_e32 v0, v0, v2
	s_delay_alu instid0(VALU_DEP_4) | instskip(SKIP_3) | instid1(VALU_DEP_4)
	v_xor_b32_e32 v2, vcc_lo, v3
	v_cmp_gt_i32_e32 vcc_lo, 0, v1
	v_ashrrev_i32_e32 v1, 31, v5
	v_add_lshl_u32 v3, v4, v17, 2
	v_and_b32_e32 v0, v0, v2
	s_delay_alu instid0(VALU_DEP_3) | instskip(SKIP_3) | instid1(VALU_DEP_1)
	v_xor_b32_e32 v1, vcc_lo, v1
	ds_load_b32 v29, v3 offset:24
	v_add_nc_u32_e32 v31, 24, v3
	; wave barrier
	v_and_b32_e32 v0, v0, v1
	v_mbcnt_lo_u32_b32 v30, v0, 0
	v_cmp_ne_u32_e64 s13, 0, v0
	s_delay_alu instid0(VALU_DEP_2) | instskip(NEXT) | instid1(VALU_DEP_2)
	v_cmp_eq_u32_e32 vcc_lo, 0, v30
	s_and_b32 s17, s13, vcc_lo
	s_delay_alu instid0(SALU_CYCLE_1)
	s_and_saveexec_b32 s13, s17
	s_cbranch_execz .LBB18_8
; %bb.7:                                ;   in Loop: Header=BB18_4 Depth=2
	s_waitcnt lgkmcnt(0)
	v_bcnt_u32_b32 v0, v0, v29
	ds_store_b32 v31, v0
.LBB18_8:                               ;   in Loop: Header=BB18_4 Depth=2
	s_or_b32 exec_lo, exec_lo, s13
	v_bfe_u32 v0, v25, s16, 1
	v_lshrrev_b32_e32 v1, s16, v25
	; wave barrier
	s_delay_alu instid0(VALU_DEP_2) | instskip(NEXT) | instid1(VALU_DEP_1)
	v_add_co_u32 v0, s13, v0, -1
	v_cndmask_b32_e64 v2, 0, 1, s13
	s_delay_alu instid0(VALU_DEP_3)
	v_lshlrev_b32_e32 v3, 30, v1
	v_lshlrev_b32_e32 v4, 29, v1
	;; [unrolled: 1-line block ×4, first 2 shown]
	v_cmp_ne_u32_e32 vcc_lo, 0, v2
	v_not_b32_e32 v2, v3
	v_cmp_gt_i32_e64 s13, 0, v3
	v_not_b32_e32 v3, v4
	v_lshlrev_b32_e32 v7, 26, v1
	v_xor_b32_e32 v0, vcc_lo, v0
	v_ashrrev_i32_e32 v2, 31, v2
	v_cmp_gt_i32_e32 vcc_lo, 0, v4
	v_not_b32_e32 v4, v5
	v_ashrrev_i32_e32 v3, 31, v3
	v_and_b32_e32 v0, exec_lo, v0
	v_xor_b32_e32 v2, s13, v2
	v_cmp_gt_i32_e64 s13, 0, v5
	v_not_b32_e32 v5, v6
	v_ashrrev_i32_e32 v4, 31, v4
	v_xor_b32_e32 v3, vcc_lo, v3
	v_and_b32_e32 v0, v0, v2
	v_cmp_gt_i32_e32 vcc_lo, 0, v6
	v_not_b32_e32 v2, v7
	v_ashrrev_i32_e32 v5, 31, v5
	v_xor_b32_e32 v4, s13, v4
	v_and_b32_e32 v0, v0, v3
	v_lshlrev_b32_e32 v3, 25, v1
	v_cmp_gt_i32_e64 s13, 0, v7
	v_ashrrev_i32_e32 v2, 31, v2
	v_xor_b32_e32 v5, vcc_lo, v5
	v_and_b32_e32 v0, v0, v4
	v_not_b32_e32 v6, v3
	v_lshlrev_b32_e32 v1, 24, v1
	v_bfe_u32 v4, v25, s16, 8
	v_xor_b32_e32 v2, s13, v2
	v_and_b32_e32 v0, v0, v5
	v_cmp_gt_i32_e32 vcc_lo, 0, v3
	v_ashrrev_i32_e32 v3, 31, v6
	v_not_b32_e32 v5, v1
	v_mul_u32_u24_e32 v4, 6, v4
	v_and_b32_e32 v0, v0, v2
	s_delay_alu instid0(VALU_DEP_4) | instskip(SKIP_3) | instid1(VALU_DEP_4)
	v_xor_b32_e32 v2, vcc_lo, v3
	v_cmp_gt_i32_e32 vcc_lo, 0, v1
	v_ashrrev_i32_e32 v1, 31, v5
	v_add_lshl_u32 v3, v4, v17, 2
	v_and_b32_e32 v0, v0, v2
	s_delay_alu instid0(VALU_DEP_3) | instskip(SKIP_3) | instid1(VALU_DEP_1)
	v_xor_b32_e32 v1, vcc_lo, v1
	ds_load_b32 v32, v3 offset:24
	v_add_nc_u32_e32 v34, 24, v3
	; wave barrier
	v_and_b32_e32 v0, v0, v1
	v_mbcnt_lo_u32_b32 v33, v0, 0
	v_cmp_ne_u32_e64 s13, 0, v0
	s_delay_alu instid0(VALU_DEP_2) | instskip(NEXT) | instid1(VALU_DEP_2)
	v_cmp_eq_u32_e32 vcc_lo, 0, v33
	s_and_b32 s17, s13, vcc_lo
	s_delay_alu instid0(SALU_CYCLE_1)
	s_and_saveexec_b32 s13, s17
	s_cbranch_execz .LBB18_10
; %bb.9:                                ;   in Loop: Header=BB18_4 Depth=2
	s_waitcnt lgkmcnt(0)
	v_bcnt_u32_b32 v0, v0, v32
	ds_store_b32 v34, v0
.LBB18_10:                              ;   in Loop: Header=BB18_4 Depth=2
	s_or_b32 exec_lo, exec_lo, s13
	; wave barrier
	s_waitcnt lgkmcnt(0)
	s_barrier
	buffer_gl0_inv
	ds_load_2addr_b64 v[4:7], v14 offset0:3 offset1:4
	ds_load_2addr_b64 v[0:3], v16 offset0:2 offset1:3
	s_waitcnt lgkmcnt(1)
	v_add_nc_u32_e32 v35, v5, v4
	s_delay_alu instid0(VALU_DEP_1) | instskip(SKIP_1) | instid1(VALU_DEP_1)
	v_add3_u32 v35, v35, v6, v7
	s_waitcnt lgkmcnt(0)
	v_add3_u32 v35, v35, v0, v1
	s_delay_alu instid0(VALU_DEP_1) | instskip(NEXT) | instid1(VALU_DEP_1)
	v_add3_u32 v3, v35, v2, v3
	v_mov_b32_dpp v35, v3 row_shr:1 row_mask:0xf bank_mask:0xf
	s_delay_alu instid0(VALU_DEP_1) | instskip(NEXT) | instid1(VALU_DEP_1)
	v_cndmask_b32_e64 v35, v35, 0, s0
	v_add_nc_u32_e32 v3, v35, v3
	s_delay_alu instid0(VALU_DEP_1) | instskip(NEXT) | instid1(VALU_DEP_1)
	v_mov_b32_dpp v35, v3 row_shr:2 row_mask:0xf bank_mask:0xf
	v_cndmask_b32_e64 v35, 0, v35, s1
	s_delay_alu instid0(VALU_DEP_1) | instskip(NEXT) | instid1(VALU_DEP_1)
	v_add_nc_u32_e32 v3, v3, v35
	v_mov_b32_dpp v35, v3 row_shr:4 row_mask:0xf bank_mask:0xf
	s_delay_alu instid0(VALU_DEP_1) | instskip(NEXT) | instid1(VALU_DEP_1)
	v_cndmask_b32_e64 v35, 0, v35, s2
	v_add_nc_u32_e32 v3, v3, v35
	s_delay_alu instid0(VALU_DEP_1) | instskip(NEXT) | instid1(VALU_DEP_1)
	v_mov_b32_dpp v35, v3 row_shr:8 row_mask:0xf bank_mask:0xf
	v_cndmask_b32_e64 v35, 0, v35, s3
	s_delay_alu instid0(VALU_DEP_1) | instskip(SKIP_3) | instid1(VALU_DEP_1)
	v_add_nc_u32_e32 v3, v3, v35
	ds_swizzle_b32 v35, v3 offset:swizzle(BROADCAST,32,15)
	s_waitcnt lgkmcnt(0)
	v_cndmask_b32_e64 v35, v35, 0, s4
	v_add_nc_u32_e32 v3, v3, v35
	s_and_saveexec_b32 s13, s5
	s_cbranch_execz .LBB18_12
; %bb.11:                               ;   in Loop: Header=BB18_4 Depth=2
	ds_store_b32 v19, v3
.LBB18_12:                              ;   in Loop: Header=BB18_4 Depth=2
	s_or_b32 exec_lo, exec_lo, s13
	s_waitcnt lgkmcnt(0)
	s_barrier
	buffer_gl0_inv
	s_and_saveexec_b32 s13, s6
	s_cbranch_execz .LBB18_14
; %bb.13:                               ;   in Loop: Header=BB18_4 Depth=2
	ds_load_b32 v35, v20
	s_waitcnt lgkmcnt(0)
	v_mov_b32_dpp v36, v35 row_shr:1 row_mask:0xf bank_mask:0xf
	s_delay_alu instid0(VALU_DEP_1) | instskip(NEXT) | instid1(VALU_DEP_1)
	v_cndmask_b32_e64 v36, v36, 0, s10
	v_add_nc_u32_e32 v35, v36, v35
	s_delay_alu instid0(VALU_DEP_1) | instskip(NEXT) | instid1(VALU_DEP_1)
	v_mov_b32_dpp v36, v35 row_shr:2 row_mask:0xf bank_mask:0xf
	v_cndmask_b32_e64 v36, 0, v36, s11
	s_delay_alu instid0(VALU_DEP_1) | instskip(NEXT) | instid1(VALU_DEP_1)
	v_add_nc_u32_e32 v35, v35, v36
	v_mov_b32_dpp v36, v35 row_shr:4 row_mask:0xf bank_mask:0xf
	s_delay_alu instid0(VALU_DEP_1) | instskip(NEXT) | instid1(VALU_DEP_1)
	v_cndmask_b32_e64 v36, 0, v36, s12
	v_add_nc_u32_e32 v35, v35, v36
	ds_store_b32 v20, v35
.LBB18_14:                              ;   in Loop: Header=BB18_4 Depth=2
	s_or_b32 exec_lo, exec_lo, s13
	v_mov_b32_e32 v35, 0
	s_waitcnt lgkmcnt(0)
	s_barrier
	buffer_gl0_inv
	s_and_saveexec_b32 s13, s7
	s_cbranch_execz .LBB18_16
; %bb.15:                               ;   in Loop: Header=BB18_4 Depth=2
	ds_load_b32 v35, v21
.LBB18_16:                              ;   in Loop: Header=BB18_4 Depth=2
	s_or_b32 exec_lo, exec_lo, s13
	s_waitcnt lgkmcnt(0)
	v_add_nc_u32_e32 v3, v35, v3
	s_cmp_gt_u32 s16, 23
	ds_bpermute_b32 v3, v18, v3
	s_waitcnt lgkmcnt(0)
	v_cndmask_b32_e64 v3, v3, v35, s8
	s_delay_alu instid0(VALU_DEP_1) | instskip(NEXT) | instid1(VALU_DEP_1)
	v_cndmask_b32_e64 v3, v3, 0, s9
	v_add_nc_u32_e32 v4, v3, v4
	s_delay_alu instid0(VALU_DEP_1) | instskip(NEXT) | instid1(VALU_DEP_1)
	v_add_nc_u32_e32 v5, v4, v5
	v_add_nc_u32_e32 v6, v5, v6
	s_delay_alu instid0(VALU_DEP_1) | instskip(NEXT) | instid1(VALU_DEP_1)
	v_add_nc_u32_e32 v35, v6, v7
	;; [unrolled: 3-line block ×3, first 2 shown]
	v_add_nc_u32_e32 v1, v0, v2
	ds_store_2addr_b64 v14, v[3:4], v[5:6] offset0:3 offset1:4
	ds_store_2addr_b64 v16, v[35:36], v[0:1] offset0:2 offset1:3
	s_waitcnt lgkmcnt(0)
	s_barrier
	buffer_gl0_inv
	ds_load_b32 v0, v28
	ds_load_b32 v1, v31
	;; [unrolled: 1-line block ×3, first 2 shown]
	s_waitcnt lgkmcnt(2)
	v_add_nc_u32_e32 v5, v0, v27
	s_waitcnt lgkmcnt(1)
	v_add3_u32 v4, v30, v29, v1
	s_waitcnt lgkmcnt(0)
	v_add3_u32 v3, v33, v32, v2
	s_cbranch_scc0 .LBB18_3
; %bb.17:                               ;   in Loop: Header=BB18_2 Depth=1
                                        ; implicit-def: $vgpr2
                                        ; implicit-def: $vgpr1
                                        ; implicit-def: $sgpr16
	s_branch .LBB18_1
.LBB18_18:
	v_lshlrev_b32_e32 v0, 2, v8
	s_add_u32 s0, s18, s14
	s_addc_u32 s1, s19, s15
	s_clause 0x2
	global_store_b32 v0, v2, s[0:1]
	global_store_b32 v0, v3, s[0:1] offset:768
	global_store_b32 v0, v1, s[0:1] offset:1536
	s_nop 0
	s_sendmsg sendmsg(MSG_DEALLOC_VGPRS)
	s_endpgm
	.section	.rodata,"a",@progbits
	.p2align	6, 0x0
	.amdhsa_kernel _Z16sort_keys_kernelI22helper_blocked_blockediLj192ELj3ELj10EEvPKT0_PS1_
		.amdhsa_group_segment_fixed_size 6176
		.amdhsa_private_segment_fixed_size 0
		.amdhsa_kernarg_size 272
		.amdhsa_user_sgpr_count 15
		.amdhsa_user_sgpr_dispatch_ptr 0
		.amdhsa_user_sgpr_queue_ptr 0
		.amdhsa_user_sgpr_kernarg_segment_ptr 1
		.amdhsa_user_sgpr_dispatch_id 0
		.amdhsa_user_sgpr_private_segment_size 0
		.amdhsa_wavefront_size32 1
		.amdhsa_uses_dynamic_stack 0
		.amdhsa_enable_private_segment 0
		.amdhsa_system_sgpr_workgroup_id_x 1
		.amdhsa_system_sgpr_workgroup_id_y 0
		.amdhsa_system_sgpr_workgroup_id_z 0
		.amdhsa_system_sgpr_workgroup_info 0
		.amdhsa_system_vgpr_workitem_id 2
		.amdhsa_next_free_vgpr 37
		.amdhsa_next_free_sgpr 22
		.amdhsa_reserve_vcc 1
		.amdhsa_float_round_mode_32 0
		.amdhsa_float_round_mode_16_64 0
		.amdhsa_float_denorm_mode_32 3
		.amdhsa_float_denorm_mode_16_64 3
		.amdhsa_dx10_clamp 1
		.amdhsa_ieee_mode 1
		.amdhsa_fp16_overflow 0
		.amdhsa_workgroup_processor_mode 1
		.amdhsa_memory_ordered 1
		.amdhsa_forward_progress 0
		.amdhsa_shared_vgpr_count 0
		.amdhsa_exception_fp_ieee_invalid_op 0
		.amdhsa_exception_fp_denorm_src 0
		.amdhsa_exception_fp_ieee_div_zero 0
		.amdhsa_exception_fp_ieee_overflow 0
		.amdhsa_exception_fp_ieee_underflow 0
		.amdhsa_exception_fp_ieee_inexact 0
		.amdhsa_exception_int_div_zero 0
	.end_amdhsa_kernel
	.section	.text._Z16sort_keys_kernelI22helper_blocked_blockediLj192ELj3ELj10EEvPKT0_PS1_,"axG",@progbits,_Z16sort_keys_kernelI22helper_blocked_blockediLj192ELj3ELj10EEvPKT0_PS1_,comdat
.Lfunc_end18:
	.size	_Z16sort_keys_kernelI22helper_blocked_blockediLj192ELj3ELj10EEvPKT0_PS1_, .Lfunc_end18-_Z16sort_keys_kernelI22helper_blocked_blockediLj192ELj3ELj10EEvPKT0_PS1_
                                        ; -- End function
	.section	.AMDGPU.csdata,"",@progbits
; Kernel info:
; codeLenInByte = 2408
; NumSgprs: 24
; NumVgprs: 37
; ScratchSize: 0
; MemoryBound: 0
; FloatMode: 240
; IeeeMode: 1
; LDSByteSize: 6176 bytes/workgroup (compile time only)
; SGPRBlocks: 2
; VGPRBlocks: 4
; NumSGPRsForWavesPerEU: 24
; NumVGPRsForWavesPerEU: 37
; Occupancy: 15
; WaveLimiterHint : 1
; COMPUTE_PGM_RSRC2:SCRATCH_EN: 0
; COMPUTE_PGM_RSRC2:USER_SGPR: 15
; COMPUTE_PGM_RSRC2:TRAP_HANDLER: 0
; COMPUTE_PGM_RSRC2:TGID_X_EN: 1
; COMPUTE_PGM_RSRC2:TGID_Y_EN: 0
; COMPUTE_PGM_RSRC2:TGID_Z_EN: 0
; COMPUTE_PGM_RSRC2:TIDIG_COMP_CNT: 2
	.section	.text._Z17sort_pairs_kernelI22helper_blocked_blockediLj192ELj3ELj10EEvPKT0_PS1_,"axG",@progbits,_Z17sort_pairs_kernelI22helper_blocked_blockediLj192ELj3ELj10EEvPKT0_PS1_,comdat
	.protected	_Z17sort_pairs_kernelI22helper_blocked_blockediLj192ELj3ELj10EEvPKT0_PS1_ ; -- Begin function _Z17sort_pairs_kernelI22helper_blocked_blockediLj192ELj3ELj10EEvPKT0_PS1_
	.globl	_Z17sort_pairs_kernelI22helper_blocked_blockediLj192ELj3ELj10EEvPKT0_PS1_
	.p2align	8
	.type	_Z17sort_pairs_kernelI22helper_blocked_blockediLj192ELj3ELj10EEvPKT0_PS1_,@function
_Z17sort_pairs_kernelI22helper_blocked_blockediLj192ELj3ELj10EEvPKT0_PS1_: ; @_Z17sort_pairs_kernelI22helper_blocked_blockediLj192ELj3ELj10EEvPKT0_PS1_
; %bb.0:
	s_clause 0x1
	s_load_b128 s[16:19], s[0:1], 0x0
	s_load_b32 s12, s[0:1], 0x1c
	v_and_b32_e32 v8, 0x3ff, v0
	s_mov_b32 s21, 0
	s_mul_i32 s20, s15, 0x240
	v_mbcnt_lo_u32_b32 v6, -1, 0
	s_lshl_b64 s[14:15], s[20:21], 2
	v_lshlrev_b32_e32 v1, 2, v8
	s_mov_b32 s20, s21
	v_bfe_u32 v2, v0, 10, 10
	v_dual_mov_b32 v11, s20 :: v_dual_add_nc_u32 v14, -1, v6
	v_dual_mov_b32 v12, s21 :: v_dual_and_b32 v3, 15, v6
	v_and_b32_e32 v7, 16, v6
	s_delay_alu instid0(VALU_DEP_3)
	v_cmp_gt_i32_e32 vcc_lo, 0, v14
	v_bfe_u32 v0, v0, 20, 10
	v_and_b32_e32 v15, 7, v6
	v_cmp_lt_u32_e64 s2, 1, v3
	v_cmp_lt_u32_e64 s3, 3, v3
	s_waitcnt lgkmcnt(0)
	s_add_u32 s0, s16, s14
	s_addc_u32 s1, s17, s15
	v_cmp_lt_u32_e64 s4, 7, v3
	s_clause 0x2
	global_load_b32 v4, v1, s[0:1]
	global_load_b32 v5, v1, s[0:1] offset:768
	global_load_b32 v1, v1, s[0:1] offset:1536
	s_mov_b32 s1, s21
	s_mov_b32 s0, s21
	s_delay_alu instid0(SALU_CYCLE_1)
	v_dual_mov_b32 v10, s1 :: v_dual_mov_b32 v9, s0
	v_lshrrev_b32_e32 v16, 5, v8
	v_cmp_eq_u32_e64 s1, 0, v3
	v_cmp_eq_u32_e64 s5, 0, v7
	v_and_b32_e32 v3, 0xe0, v8
	v_cndmask_b32_e32 v7, v14, v6, vcc_lo
	s_lshr_b32 s13, s12, 16
	v_lshlrev_b32_e32 v13, 5, v8
	v_mad_u32_u24 v0, v0, s13, v2
	v_cmp_eq_u32_e64 s9, 0, v15
	v_cmp_lt_u32_e64 s10, 1, v15
	v_cmp_lt_u32_e64 s11, 3, v15
	v_mul_u32_u24_e32 v18, 0x60, v16
	v_lshlrev_b32_e32 v16, 2, v16
	v_min_u32_e32 v19, 0xa0, v3
	v_lshlrev_b32_e32 v15, 2, v7
	v_mul_u32_u24_e32 v7, 3, v3
	s_and_b32 s12, s12, 0xffff
	v_lshlrev_b32_e32 v23, 3, v8
	v_mad_u64_u32 v[2:3], null, v0, s12, v[8:9]
	v_mad_i32_i24 v17, 0xffffffe4, v8, v13
	v_lshlrev_b32_e32 v20, 2, v18
	v_or_b32_e32 v21, v6, v18
	v_or_b32_e32 v0, 31, v19
	;; [unrolled: 1-line block ×3, first 2 shown]
	v_cmp_eq_u32_e64 s0, 0, v6
	v_cmp_gt_u32_e64 s6, 6, v8
	v_cmp_lt_u32_e64 s7, 31, v8
	v_cmp_eq_u32_e64 s8, 0, v8
	v_or_b32_e32 v14, 24, v13
	v_add_nc_u32_e32 v18, -4, v16
	v_mad_u32_u24 v19, v6, 12, v20
	v_lshlrev_b32_e32 v20, 2, v21
	v_cmp_eq_u32_e64 s12, v0, v8
	v_lshlrev_b32_e32 v21, 2, v3
	v_lshrrev_b32_e32 v22, 5, v2
	v_add_nc_u32_e32 v23, v17, v23
	s_waitcnt vmcnt(2)
	v_add_nc_u32_e32 v2, 1, v4
	s_waitcnt vmcnt(1)
	;; [unrolled: 2-line block ×3, first 2 shown]
	v_add_nc_u32_e32 v6, 1, v1
	s_branch .LBB19_2
.LBB19_1:                               ;   in Loop: Header=BB19_2 Depth=1
	v_lshlrev_b32_e32 v2, 2, v30
	v_lshlrev_b32_e32 v3, 2, v7
	;; [unrolled: 1-line block ×3, first 2 shown]
	s_barrier
	buffer_gl0_inv
	ds_store_b32 v2, v24
	ds_store_b32 v3, v29
	;; [unrolled: 1-line block ×3, first 2 shown]
	s_waitcnt lgkmcnt(0)
	s_barrier
	buffer_gl0_inv
	ds_load_2addr_b32 v[0:1], v23 offset1:1
	ds_load_b32 v7, v23 offset:8
	s_waitcnt lgkmcnt(0)
	s_barrier
	buffer_gl0_inv
	ds_store_b32 v2, v27
	ds_store_b32 v3, v26
	;; [unrolled: 1-line block ×3, first 2 shown]
	s_waitcnt lgkmcnt(0)
	s_barrier
	buffer_gl0_inv
	ds_load_2addr_b32 v[2:3], v23 offset1:1
	ds_load_b32 v6, v23 offset:8
	s_add_i32 s21, s21, 1
	s_delay_alu instid0(SALU_CYCLE_1)
	s_cmp_eq_u32 s21, 10
	v_xor_b32_e32 v4, 0x80000000, v0
	v_xor_b32_e32 v5, 0x80000000, v1
	v_xor_b32_e32 v1, 0x80000000, v7
	s_cbranch_scc1 .LBB19_18
.LBB19_2:                               ; =>This Loop Header: Depth=1
                                        ;     Child Loop BB19_4 Depth 2
	s_delay_alu instid0(VALU_DEP_3) | instskip(NEXT) | instid1(VALU_DEP_3)
	v_xor_b32_e32 v0, 0x80000000, v4
	v_xor_b32_e32 v4, 0x80000000, v5
	s_delay_alu instid0(VALU_DEP_3)
	v_xor_b32_e32 v1, 0x80000000, v1
	s_mov_b32 s16, 0
	ds_store_2addr_b32 v19, v0, v4 offset1:1
	ds_store_b32 v19, v1 offset:8
	; wave barrier
	ds_load_2addr_b32 v[0:1], v20 offset1:32
	ds_load_b32 v4, v20 offset:256
	; wave barrier
	s_waitcnt lgkmcnt(5)
	ds_store_2addr_b32 v19, v2, v3 offset1:1
	s_waitcnt lgkmcnt(5)
	ds_store_b32 v19, v6 offset:8
	; wave barrier
	ds_load_2addr_b32 v[2:3], v20 offset1:32
	ds_load_b32 v5, v20 offset:256
	s_waitcnt lgkmcnt(0)
	s_barrier
	s_branch .LBB19_4
.LBB19_3:                               ;   in Loop: Header=BB19_4 Depth=2
	v_lshlrev_b32_e32 v2, 2, v30
	v_lshlrev_b32_e32 v3, 2, v7
	s_delay_alu instid0(VALU_DEP_3)
	v_lshlrev_b32_e32 v5, 2, v6
	s_barrier
	buffer_gl0_inv
	ds_store_b32 v2, v24
	ds_store_b32 v3, v29
	;; [unrolled: 1-line block ×3, first 2 shown]
	s_waitcnt lgkmcnt(0)
	s_barrier
	buffer_gl0_inv
	ds_load_2addr_b32 v[0:1], v21 offset1:32
	ds_load_b32 v4, v21 offset:256
	s_waitcnt lgkmcnt(0)
	s_barrier
	buffer_gl0_inv
	ds_store_b32 v2, v27
	ds_store_b32 v3, v26
	;; [unrolled: 1-line block ×3, first 2 shown]
	s_waitcnt lgkmcnt(0)
	s_barrier
	buffer_gl0_inv
	ds_load_2addr_b32 v[2:3], v21 offset1:32
	ds_load_b32 v5, v21 offset:256
	s_add_i32 s16, s16, 8
	s_waitcnt lgkmcnt(0)
	s_barrier
	s_cbranch_execz .LBB19_1
.LBB19_4:                               ;   Parent Loop BB19_2 Depth=1
                                        ; =>  This Inner Loop Header: Depth=2
	v_mov_b32_e32 v24, v0
	buffer_gl0_inv
	ds_store_2addr_b64 v13, v[11:12], v[9:10] offset0:3 offset1:4
	ds_store_2addr_b64 v14, v[11:12], v[9:10] offset0:2 offset1:3
	s_waitcnt lgkmcnt(0)
	s_barrier
	v_lshrrev_b32_e32 v6, s16, v24
	buffer_gl0_inv
	; wave barrier
	v_lshlrev_b32_e32 v25, 30, v6
	v_bfe_u32 v0, v24, s16, 1
	v_lshlrev_b32_e32 v26, 29, v6
	v_lshlrev_b32_e32 v27, 28, v6
	v_lshlrev_b32_e32 v28, 27, v6
	v_lshlrev_b32_e32 v29, 26, v6
	v_add_co_u32 v0, s13, v0, -1
	s_delay_alu instid0(VALU_DEP_1) | instskip(SKIP_3) | instid1(VALU_DEP_4)
	v_cndmask_b32_e64 v7, 0, 1, s13
	v_cmp_gt_i32_e64 s13, 0, v25
	v_lshlrev_b32_e32 v30, 25, v6
	v_lshlrev_b32_e32 v6, 24, v6
	v_cmp_ne_u32_e32 vcc_lo, 0, v7
	v_not_b32_e32 v7, v25
	v_not_b32_e32 v25, v26
	v_xor_b32_e32 v0, vcc_lo, v0
	s_delay_alu instid0(VALU_DEP_3)
	v_ashrrev_i32_e32 v7, 31, v7
	v_cmp_gt_i32_e32 vcc_lo, 0, v26
	v_not_b32_e32 v26, v27
	v_ashrrev_i32_e32 v25, 31, v25
	v_and_b32_e32 v0, exec_lo, v0
	v_xor_b32_e32 v7, s13, v7
	v_cmp_gt_i32_e64 s13, 0, v27
	v_not_b32_e32 v27, v28
	v_ashrrev_i32_e32 v26, 31, v26
	v_xor_b32_e32 v25, vcc_lo, v25
	v_and_b32_e32 v0, v0, v7
	v_cmp_gt_i32_e32 vcc_lo, 0, v28
	v_ashrrev_i32_e32 v27, 31, v27
	v_xor_b32_e32 v26, s13, v26
	v_not_b32_e32 v7, v29
	v_and_b32_e32 v0, v0, v25
	v_cmp_gt_i32_e64 s13, 0, v29
	v_xor_b32_e32 v27, vcc_lo, v27
	v_mov_b32_e32 v29, v1
	v_ashrrev_i32_e32 v7, 31, v7
	v_and_b32_e32 v0, v0, v26
	v_not_b32_e32 v26, v6
	v_bfe_u32 v1, v24, s16, 8
	v_mov_b32_e32 v28, v4
	v_xor_b32_e32 v7, s13, v7
	v_dual_mov_b32 v27, v2 :: v_dual_and_b32 v0, v0, v27
	v_not_b32_e32 v25, v30
	v_cmp_gt_i32_e32 vcc_lo, 0, v30
	v_cmp_gt_i32_e64 s13, 0, v6
	v_ashrrev_i32_e32 v6, 31, v26
	v_and_b32_e32 v0, v0, v7
	v_ashrrev_i32_e32 v25, 31, v25
	v_mad_u32_u24 v1, v1, 6, v22
	v_mov_b32_e32 v26, v3
	v_xor_b32_e32 v6, s13, v6
	s_delay_alu instid0(VALU_DEP_4) | instskip(NEXT) | instid1(VALU_DEP_4)
	v_xor_b32_e32 v25, vcc_lo, v25
	v_lshl_add_u32 v31, v1, 2, 24
	s_delay_alu instid0(VALU_DEP_2) | instskip(NEXT) | instid1(VALU_DEP_1)
	v_dual_mov_b32 v25, v5 :: v_dual_and_b32 v0, v0, v25
	v_and_b32_e32 v0, v0, v6
	s_delay_alu instid0(VALU_DEP_1) | instskip(SKIP_1) | instid1(VALU_DEP_2)
	v_mbcnt_lo_u32_b32 v30, v0, 0
	v_cmp_ne_u32_e64 s13, 0, v0
	v_cmp_eq_u32_e32 vcc_lo, 0, v30
	s_delay_alu instid0(VALU_DEP_2) | instskip(NEXT) | instid1(SALU_CYCLE_1)
	s_and_b32 s17, s13, vcc_lo
	s_and_saveexec_b32 s13, s17
	s_cbranch_execz .LBB19_6
; %bb.5:                                ;   in Loop: Header=BB19_4 Depth=2
	v_bcnt_u32_b32 v0, v0, 0
	ds_store_b32 v31, v0
.LBB19_6:                               ;   in Loop: Header=BB19_4 Depth=2
	s_or_b32 exec_lo, exec_lo, s13
	v_bfe_u32 v0, v29, s16, 1
	v_lshrrev_b32_e32 v1, s16, v29
	; wave barrier
	s_delay_alu instid0(VALU_DEP_2) | instskip(NEXT) | instid1(VALU_DEP_1)
	v_add_co_u32 v0, s13, v0, -1
	v_cndmask_b32_e64 v2, 0, 1, s13
	s_delay_alu instid0(VALU_DEP_3)
	v_lshlrev_b32_e32 v3, 30, v1
	v_lshlrev_b32_e32 v4, 29, v1
	;; [unrolled: 1-line block ×4, first 2 shown]
	v_cmp_ne_u32_e32 vcc_lo, 0, v2
	v_not_b32_e32 v2, v3
	v_cmp_gt_i32_e64 s13, 0, v3
	v_not_b32_e32 v3, v4
	v_lshlrev_b32_e32 v7, 26, v1
	v_xor_b32_e32 v0, vcc_lo, v0
	v_ashrrev_i32_e32 v2, 31, v2
	v_cmp_gt_i32_e32 vcc_lo, 0, v4
	v_not_b32_e32 v4, v5
	v_ashrrev_i32_e32 v3, 31, v3
	v_and_b32_e32 v0, exec_lo, v0
	v_xor_b32_e32 v2, s13, v2
	v_cmp_gt_i32_e64 s13, 0, v5
	v_not_b32_e32 v5, v6
	v_ashrrev_i32_e32 v4, 31, v4
	v_xor_b32_e32 v3, vcc_lo, v3
	v_and_b32_e32 v0, v0, v2
	v_cmp_gt_i32_e32 vcc_lo, 0, v6
	v_not_b32_e32 v2, v7
	v_ashrrev_i32_e32 v5, 31, v5
	v_xor_b32_e32 v4, s13, v4
	v_and_b32_e32 v0, v0, v3
	v_lshlrev_b32_e32 v3, 25, v1
	v_cmp_gt_i32_e64 s13, 0, v7
	v_ashrrev_i32_e32 v2, 31, v2
	v_xor_b32_e32 v5, vcc_lo, v5
	v_and_b32_e32 v0, v0, v4
	v_not_b32_e32 v6, v3
	v_lshlrev_b32_e32 v1, 24, v1
	v_bfe_u32 v4, v29, s16, 8
	v_xor_b32_e32 v2, s13, v2
	v_and_b32_e32 v0, v0, v5
	v_cmp_gt_i32_e32 vcc_lo, 0, v3
	v_ashrrev_i32_e32 v3, 31, v6
	v_not_b32_e32 v5, v1
	v_mul_u32_u24_e32 v4, 6, v4
	v_and_b32_e32 v0, v0, v2
	s_delay_alu instid0(VALU_DEP_4) | instskip(SKIP_3) | instid1(VALU_DEP_4)
	v_xor_b32_e32 v2, vcc_lo, v3
	v_cmp_gt_i32_e32 vcc_lo, 0, v1
	v_ashrrev_i32_e32 v1, 31, v5
	v_add_lshl_u32 v3, v4, v22, 2
	v_and_b32_e32 v0, v0, v2
	s_delay_alu instid0(VALU_DEP_3) | instskip(SKIP_3) | instid1(VALU_DEP_1)
	v_xor_b32_e32 v1, vcc_lo, v1
	ds_load_b32 v32, v3 offset:24
	v_add_nc_u32_e32 v34, 24, v3
	; wave barrier
	v_and_b32_e32 v0, v0, v1
	v_mbcnt_lo_u32_b32 v33, v0, 0
	v_cmp_ne_u32_e64 s13, 0, v0
	s_delay_alu instid0(VALU_DEP_2) | instskip(NEXT) | instid1(VALU_DEP_2)
	v_cmp_eq_u32_e32 vcc_lo, 0, v33
	s_and_b32 s17, s13, vcc_lo
	s_delay_alu instid0(SALU_CYCLE_1)
	s_and_saveexec_b32 s13, s17
	s_cbranch_execz .LBB19_8
; %bb.7:                                ;   in Loop: Header=BB19_4 Depth=2
	s_waitcnt lgkmcnt(0)
	v_bcnt_u32_b32 v0, v0, v32
	ds_store_b32 v34, v0
.LBB19_8:                               ;   in Loop: Header=BB19_4 Depth=2
	s_or_b32 exec_lo, exec_lo, s13
	v_bfe_u32 v0, v28, s16, 1
	v_lshrrev_b32_e32 v1, s16, v28
	; wave barrier
	s_delay_alu instid0(VALU_DEP_2) | instskip(NEXT) | instid1(VALU_DEP_1)
	v_add_co_u32 v0, s13, v0, -1
	v_cndmask_b32_e64 v2, 0, 1, s13
	s_delay_alu instid0(VALU_DEP_3)
	v_lshlrev_b32_e32 v3, 30, v1
	v_lshlrev_b32_e32 v4, 29, v1
	;; [unrolled: 1-line block ×4, first 2 shown]
	v_cmp_ne_u32_e32 vcc_lo, 0, v2
	v_not_b32_e32 v2, v3
	v_cmp_gt_i32_e64 s13, 0, v3
	v_not_b32_e32 v3, v4
	v_lshlrev_b32_e32 v7, 26, v1
	v_xor_b32_e32 v0, vcc_lo, v0
	v_ashrrev_i32_e32 v2, 31, v2
	v_cmp_gt_i32_e32 vcc_lo, 0, v4
	v_not_b32_e32 v4, v5
	v_ashrrev_i32_e32 v3, 31, v3
	v_and_b32_e32 v0, exec_lo, v0
	v_xor_b32_e32 v2, s13, v2
	v_cmp_gt_i32_e64 s13, 0, v5
	v_not_b32_e32 v5, v6
	v_ashrrev_i32_e32 v4, 31, v4
	v_xor_b32_e32 v3, vcc_lo, v3
	v_and_b32_e32 v0, v0, v2
	v_cmp_gt_i32_e32 vcc_lo, 0, v6
	v_not_b32_e32 v2, v7
	v_ashrrev_i32_e32 v5, 31, v5
	v_xor_b32_e32 v4, s13, v4
	v_and_b32_e32 v0, v0, v3
	v_lshlrev_b32_e32 v3, 25, v1
	v_cmp_gt_i32_e64 s13, 0, v7
	v_ashrrev_i32_e32 v2, 31, v2
	v_xor_b32_e32 v5, vcc_lo, v5
	v_and_b32_e32 v0, v0, v4
	v_not_b32_e32 v6, v3
	v_lshlrev_b32_e32 v1, 24, v1
	v_bfe_u32 v4, v28, s16, 8
	v_xor_b32_e32 v2, s13, v2
	v_and_b32_e32 v0, v0, v5
	v_cmp_gt_i32_e32 vcc_lo, 0, v3
	v_ashrrev_i32_e32 v3, 31, v6
	v_not_b32_e32 v5, v1
	v_mul_u32_u24_e32 v4, 6, v4
	v_and_b32_e32 v0, v0, v2
	s_delay_alu instid0(VALU_DEP_4) | instskip(SKIP_3) | instid1(VALU_DEP_4)
	v_xor_b32_e32 v2, vcc_lo, v3
	v_cmp_gt_i32_e32 vcc_lo, 0, v1
	v_ashrrev_i32_e32 v1, 31, v5
	v_add_lshl_u32 v3, v4, v22, 2
	v_and_b32_e32 v0, v0, v2
	s_delay_alu instid0(VALU_DEP_3) | instskip(SKIP_3) | instid1(VALU_DEP_1)
	v_xor_b32_e32 v1, vcc_lo, v1
	ds_load_b32 v35, v3 offset:24
	v_add_nc_u32_e32 v37, 24, v3
	; wave barrier
	v_and_b32_e32 v0, v0, v1
	v_mbcnt_lo_u32_b32 v36, v0, 0
	v_cmp_ne_u32_e64 s13, 0, v0
	s_delay_alu instid0(VALU_DEP_2) | instskip(NEXT) | instid1(VALU_DEP_2)
	v_cmp_eq_u32_e32 vcc_lo, 0, v36
	s_and_b32 s17, s13, vcc_lo
	s_delay_alu instid0(SALU_CYCLE_1)
	s_and_saveexec_b32 s13, s17
	s_cbranch_execz .LBB19_10
; %bb.9:                                ;   in Loop: Header=BB19_4 Depth=2
	s_waitcnt lgkmcnt(0)
	v_bcnt_u32_b32 v0, v0, v35
	ds_store_b32 v37, v0
.LBB19_10:                              ;   in Loop: Header=BB19_4 Depth=2
	s_or_b32 exec_lo, exec_lo, s13
	; wave barrier
	s_waitcnt lgkmcnt(0)
	s_barrier
	buffer_gl0_inv
	ds_load_2addr_b64 v[4:7], v13 offset0:3 offset1:4
	ds_load_2addr_b64 v[0:3], v14 offset0:2 offset1:3
	s_waitcnt lgkmcnt(1)
	v_add_nc_u32_e32 v38, v5, v4
	s_delay_alu instid0(VALU_DEP_1) | instskip(SKIP_1) | instid1(VALU_DEP_1)
	v_add3_u32 v38, v38, v6, v7
	s_waitcnt lgkmcnt(0)
	v_add3_u32 v38, v38, v0, v1
	s_delay_alu instid0(VALU_DEP_1) | instskip(NEXT) | instid1(VALU_DEP_1)
	v_add3_u32 v3, v38, v2, v3
	v_mov_b32_dpp v38, v3 row_shr:1 row_mask:0xf bank_mask:0xf
	s_delay_alu instid0(VALU_DEP_1) | instskip(NEXT) | instid1(VALU_DEP_1)
	v_cndmask_b32_e64 v38, v38, 0, s1
	v_add_nc_u32_e32 v3, v38, v3
	s_delay_alu instid0(VALU_DEP_1) | instskip(NEXT) | instid1(VALU_DEP_1)
	v_mov_b32_dpp v38, v3 row_shr:2 row_mask:0xf bank_mask:0xf
	v_cndmask_b32_e64 v38, 0, v38, s2
	s_delay_alu instid0(VALU_DEP_1) | instskip(NEXT) | instid1(VALU_DEP_1)
	v_add_nc_u32_e32 v3, v3, v38
	v_mov_b32_dpp v38, v3 row_shr:4 row_mask:0xf bank_mask:0xf
	s_delay_alu instid0(VALU_DEP_1) | instskip(NEXT) | instid1(VALU_DEP_1)
	v_cndmask_b32_e64 v38, 0, v38, s3
	v_add_nc_u32_e32 v3, v3, v38
	s_delay_alu instid0(VALU_DEP_1) | instskip(NEXT) | instid1(VALU_DEP_1)
	v_mov_b32_dpp v38, v3 row_shr:8 row_mask:0xf bank_mask:0xf
	v_cndmask_b32_e64 v38, 0, v38, s4
	s_delay_alu instid0(VALU_DEP_1) | instskip(SKIP_3) | instid1(VALU_DEP_1)
	v_add_nc_u32_e32 v3, v3, v38
	ds_swizzle_b32 v38, v3 offset:swizzle(BROADCAST,32,15)
	s_waitcnt lgkmcnt(0)
	v_cndmask_b32_e64 v38, v38, 0, s5
	v_add_nc_u32_e32 v3, v3, v38
	s_and_saveexec_b32 s13, s12
	s_cbranch_execz .LBB19_12
; %bb.11:                               ;   in Loop: Header=BB19_4 Depth=2
	ds_store_b32 v16, v3
.LBB19_12:                              ;   in Loop: Header=BB19_4 Depth=2
	s_or_b32 exec_lo, exec_lo, s13
	s_waitcnt lgkmcnt(0)
	s_barrier
	buffer_gl0_inv
	s_and_saveexec_b32 s13, s6
	s_cbranch_execz .LBB19_14
; %bb.13:                               ;   in Loop: Header=BB19_4 Depth=2
	ds_load_b32 v38, v17
	s_waitcnt lgkmcnt(0)
	v_mov_b32_dpp v39, v38 row_shr:1 row_mask:0xf bank_mask:0xf
	s_delay_alu instid0(VALU_DEP_1) | instskip(NEXT) | instid1(VALU_DEP_1)
	v_cndmask_b32_e64 v39, v39, 0, s9
	v_add_nc_u32_e32 v38, v39, v38
	s_delay_alu instid0(VALU_DEP_1) | instskip(NEXT) | instid1(VALU_DEP_1)
	v_mov_b32_dpp v39, v38 row_shr:2 row_mask:0xf bank_mask:0xf
	v_cndmask_b32_e64 v39, 0, v39, s10
	s_delay_alu instid0(VALU_DEP_1) | instskip(NEXT) | instid1(VALU_DEP_1)
	v_add_nc_u32_e32 v38, v38, v39
	v_mov_b32_dpp v39, v38 row_shr:4 row_mask:0xf bank_mask:0xf
	s_delay_alu instid0(VALU_DEP_1) | instskip(NEXT) | instid1(VALU_DEP_1)
	v_cndmask_b32_e64 v39, 0, v39, s11
	v_add_nc_u32_e32 v38, v38, v39
	ds_store_b32 v17, v38
.LBB19_14:                              ;   in Loop: Header=BB19_4 Depth=2
	s_or_b32 exec_lo, exec_lo, s13
	v_mov_b32_e32 v38, 0
	s_waitcnt lgkmcnt(0)
	s_barrier
	buffer_gl0_inv
	s_and_saveexec_b32 s13, s7
	s_cbranch_execz .LBB19_16
; %bb.15:                               ;   in Loop: Header=BB19_4 Depth=2
	ds_load_b32 v38, v18
.LBB19_16:                              ;   in Loop: Header=BB19_4 Depth=2
	s_or_b32 exec_lo, exec_lo, s13
	s_waitcnt lgkmcnt(0)
	v_add_nc_u32_e32 v3, v38, v3
	s_cmp_gt_u32 s16, 23
	ds_bpermute_b32 v3, v15, v3
	s_waitcnt lgkmcnt(0)
	v_cndmask_b32_e64 v3, v3, v38, s0
	s_delay_alu instid0(VALU_DEP_1) | instskip(NEXT) | instid1(VALU_DEP_1)
	v_cndmask_b32_e64 v3, v3, 0, s8
	v_add_nc_u32_e32 v4, v3, v4
	s_delay_alu instid0(VALU_DEP_1) | instskip(NEXT) | instid1(VALU_DEP_1)
	v_add_nc_u32_e32 v5, v4, v5
	v_add_nc_u32_e32 v6, v5, v6
	s_delay_alu instid0(VALU_DEP_1) | instskip(NEXT) | instid1(VALU_DEP_1)
	v_add_nc_u32_e32 v38, v6, v7
	;; [unrolled: 3-line block ×3, first 2 shown]
	v_add_nc_u32_e32 v1, v0, v2
	ds_store_2addr_b64 v13, v[3:4], v[5:6] offset0:3 offset1:4
	ds_store_2addr_b64 v14, v[38:39], v[0:1] offset0:2 offset1:3
	s_waitcnt lgkmcnt(0)
	s_barrier
	buffer_gl0_inv
	ds_load_b32 v0, v31
	ds_load_b32 v1, v34
	;; [unrolled: 1-line block ×3, first 2 shown]
	s_waitcnt lgkmcnt(2)
	v_add_nc_u32_e32 v30, v0, v30
	s_waitcnt lgkmcnt(1)
	v_add3_u32 v7, v33, v32, v1
	s_waitcnt lgkmcnt(0)
	v_add3_u32 v6, v36, v35, v2
	s_cbranch_scc0 .LBB19_3
; %bb.17:                               ;   in Loop: Header=BB19_2 Depth=1
                                        ; implicit-def: $vgpr4
                                        ; implicit-def: $vgpr1
                                        ; implicit-def: $vgpr5
                                        ; implicit-def: $vgpr3
                                        ; implicit-def: $sgpr16
	s_branch .LBB19_1
.LBB19_18:
	s_waitcnt lgkmcnt(1)
	v_add_nc_u32_e32 v0, v4, v2
	v_add_nc_u32_e32 v2, v5, v3
	v_lshlrev_b32_e32 v3, 2, v8
	s_waitcnt lgkmcnt(0)
	v_add_nc_u32_e32 v1, v1, v6
	s_add_u32 s0, s18, s14
	s_addc_u32 s1, s19, s15
	s_clause 0x2
	global_store_b32 v3, v0, s[0:1]
	global_store_b32 v3, v2, s[0:1] offset:768
	global_store_b32 v3, v1, s[0:1] offset:1536
	s_nop 0
	s_sendmsg sendmsg(MSG_DEALLOC_VGPRS)
	s_endpgm
	.section	.rodata,"a",@progbits
	.p2align	6, 0x0
	.amdhsa_kernel _Z17sort_pairs_kernelI22helper_blocked_blockediLj192ELj3ELj10EEvPKT0_PS1_
		.amdhsa_group_segment_fixed_size 6176
		.amdhsa_private_segment_fixed_size 0
		.amdhsa_kernarg_size 272
		.amdhsa_user_sgpr_count 15
		.amdhsa_user_sgpr_dispatch_ptr 0
		.amdhsa_user_sgpr_queue_ptr 0
		.amdhsa_user_sgpr_kernarg_segment_ptr 1
		.amdhsa_user_sgpr_dispatch_id 0
		.amdhsa_user_sgpr_private_segment_size 0
		.amdhsa_wavefront_size32 1
		.amdhsa_uses_dynamic_stack 0
		.amdhsa_enable_private_segment 0
		.amdhsa_system_sgpr_workgroup_id_x 1
		.amdhsa_system_sgpr_workgroup_id_y 0
		.amdhsa_system_sgpr_workgroup_id_z 0
		.amdhsa_system_sgpr_workgroup_info 0
		.amdhsa_system_vgpr_workitem_id 2
		.amdhsa_next_free_vgpr 40
		.amdhsa_next_free_sgpr 22
		.amdhsa_reserve_vcc 1
		.amdhsa_float_round_mode_32 0
		.amdhsa_float_round_mode_16_64 0
		.amdhsa_float_denorm_mode_32 3
		.amdhsa_float_denorm_mode_16_64 3
		.amdhsa_dx10_clamp 1
		.amdhsa_ieee_mode 1
		.amdhsa_fp16_overflow 0
		.amdhsa_workgroup_processor_mode 1
		.amdhsa_memory_ordered 1
		.amdhsa_forward_progress 0
		.amdhsa_shared_vgpr_count 0
		.amdhsa_exception_fp_ieee_invalid_op 0
		.amdhsa_exception_fp_denorm_src 0
		.amdhsa_exception_fp_ieee_div_zero 0
		.amdhsa_exception_fp_ieee_overflow 0
		.amdhsa_exception_fp_ieee_underflow 0
		.amdhsa_exception_fp_ieee_inexact 0
		.amdhsa_exception_int_div_zero 0
	.end_amdhsa_kernel
	.section	.text._Z17sort_pairs_kernelI22helper_blocked_blockediLj192ELj3ELj10EEvPKT0_PS1_,"axG",@progbits,_Z17sort_pairs_kernelI22helper_blocked_blockediLj192ELj3ELj10EEvPKT0_PS1_,comdat
.Lfunc_end19:
	.size	_Z17sort_pairs_kernelI22helper_blocked_blockediLj192ELj3ELj10EEvPKT0_PS1_, .Lfunc_end19-_Z17sort_pairs_kernelI22helper_blocked_blockediLj192ELj3ELj10EEvPKT0_PS1_
                                        ; -- End function
	.section	.AMDGPU.csdata,"",@progbits
; Kernel info:
; codeLenInByte = 2616
; NumSgprs: 24
; NumVgprs: 40
; ScratchSize: 0
; MemoryBound: 0
; FloatMode: 240
; IeeeMode: 1
; LDSByteSize: 6176 bytes/workgroup (compile time only)
; SGPRBlocks: 2
; VGPRBlocks: 4
; NumSGPRsForWavesPerEU: 24
; NumVGPRsForWavesPerEU: 40
; Occupancy: 15
; WaveLimiterHint : 1
; COMPUTE_PGM_RSRC2:SCRATCH_EN: 0
; COMPUTE_PGM_RSRC2:USER_SGPR: 15
; COMPUTE_PGM_RSRC2:TRAP_HANDLER: 0
; COMPUTE_PGM_RSRC2:TGID_X_EN: 1
; COMPUTE_PGM_RSRC2:TGID_Y_EN: 0
; COMPUTE_PGM_RSRC2:TGID_Z_EN: 0
; COMPUTE_PGM_RSRC2:TIDIG_COMP_CNT: 2
	.section	.text._Z16sort_keys_kernelI22helper_blocked_blockediLj192ELj4ELj10EEvPKT0_PS1_,"axG",@progbits,_Z16sort_keys_kernelI22helper_blocked_blockediLj192ELj4ELj10EEvPKT0_PS1_,comdat
	.protected	_Z16sort_keys_kernelI22helper_blocked_blockediLj192ELj4ELj10EEvPKT0_PS1_ ; -- Begin function _Z16sort_keys_kernelI22helper_blocked_blockediLj192ELj4ELj10EEvPKT0_PS1_
	.globl	_Z16sort_keys_kernelI22helper_blocked_blockediLj192ELj4ELj10EEvPKT0_PS1_
	.p2align	8
	.type	_Z16sort_keys_kernelI22helper_blocked_blockediLj192ELj4ELj10EEvPKT0_PS1_,@function
_Z16sort_keys_kernelI22helper_blocked_blockediLj192ELj4ELj10EEvPKT0_PS1_: ; @_Z16sort_keys_kernelI22helper_blocked_blockediLj192ELj4ELj10EEvPKT0_PS1_
; %bb.0:
	s_clause 0x1
	s_load_b128 s[16:19], s[0:1], 0x0
	s_load_b32 s3, s[0:1], 0x1c
	v_mbcnt_lo_u32_b32 v9, -1, 0
	s_mov_b32 s23, 0
	s_mul_i32 s22, s15, 0x300
	v_bfe_u32 v6, v0, 10, 10
	s_lshl_b64 s[20:21], s[22:23], 2
	v_add_nc_u32_e32 v10, -1, v9
	s_mov_b32 s22, s23
	v_and_b32_e32 v8, 0x3ff, v0
	v_bfe_u32 v0, v0, 20, 10
	v_and_b32_e32 v5, 3, v9
	v_cmp_gt_i32_e32 vcc_lo, 0, v10
	v_cmp_eq_u32_e64 s11, 0, v9
	v_lshlrev_b32_e32 v7, 2, v8
	s_waitcnt lgkmcnt(0)
	s_add_u32 s0, s16, s20
	s_addc_u32 s1, s17, s21
	s_lshr_b32 s2, s3, 16
	s_clause 0x3
	global_load_b32 v2, v7, s[0:1]
	global_load_b32 v3, v7, s[0:1] offset:768
	global_load_b32 v4, v7, s[0:1] offset:1536
	;; [unrolled: 1-line block ×3, first 2 shown]
	v_mad_u32_u24 v0, v0, s2, v6
	s_and_b32 s3, s3, 0xffff
	v_cmp_eq_u32_e64 s0, 3, v5
	v_cmp_eq_u32_e64 s1, 2, v5
	;; [unrolled: 1-line block ×3, first 2 shown]
	v_mad_u64_u32 v[5:6], null, v0, s3, v[8:9]
	v_and_b32_e32 v6, 0xe0, v8
	s_mov_b32 s16, s23
	s_mov_b32 s17, s23
	v_dual_mov_b32 v11, s16 :: v_dual_and_b32 v0, 15, v9
	v_dual_mov_b32 v12, s17 :: v_dual_and_b32 v13, 28, v9
	s_delay_alu instid0(VALU_DEP_4) | instskip(SKIP_1) | instid1(VALU_DEP_4)
	v_lshrrev_b32_e32 v19, 5, v5
	v_min_u32_e32 v5, 0xa0, v6
	v_cmp_eq_u32_e64 s3, 0, v0
	v_cmp_lt_u32_e64 s4, 1, v0
	v_cmp_lt_u32_e64 s5, 3, v0
	;; [unrolled: 1-line block ×3, first 2 shown]
	v_or_b32_e32 v5, 31, v5
	v_cndmask_b32_e32 v0, v10, v9, vcc_lo
	v_and_b32_e32 v6, 16, v9
	v_or_b32_e32 v14, 32, v13
	v_or_b32_e32 v16, 64, v13
	v_cmp_eq_u32_e64 s8, v5, v8
	v_lshrrev_b32_e32 v5, 3, v8
	v_lshlrev_b32_e32 v20, 2, v0
	v_and_b32_e32 v0, 7, v9
	v_or_b32_e32 v17, 0x60, v13
	v_cmp_eq_u32_e64 s7, 0, v6
	v_and_b32_e32 v21, 28, v5
	v_and_or_b32 v5, 0x380, v7, v9
	v_mov_b32_e32 v9, s22
	v_lshlrev_b32_e32 v15, 5, v8
	v_cmp_eq_u32_e64 s13, 0, v0
	v_cmp_lt_u32_e64 s14, 1, v0
	v_cmp_lt_u32_e64 s15, 3, v0
	v_mul_u32_u24_e32 v0, 12, v8
	v_mad_i32_i24 v22, 0xffffffe4, v8, v15
	v_or_b32_e32 v18, 24, v15
	v_cmp_gt_u32_e64 s9, 6, v8
	v_cmp_lt_u32_e64 s10, 31, v8
	v_cmp_eq_u32_e64 s12, 0, v8
	v_add_nc_u32_e32 v23, -4, v21
	v_lshlrev_b32_e32 v24, 2, v5
	v_dual_mov_b32 v10, s23 :: v_dual_add_nc_u32 v25, v22, v0
	s_branch .LBB20_2
.LBB20_1:                               ;   in Loop: Header=BB20_2 Depth=1
	v_lshlrev_b32_e32 v0, 2, v7
	v_lshlrev_b32_e32 v1, 2, v6
	;; [unrolled: 1-line block ×4, first 2 shown]
	s_barrier
	buffer_gl0_inv
	ds_store_b32 v0, v26
	ds_store_b32 v1, v29
	;; [unrolled: 1-line block ×4, first 2 shown]
	s_waitcnt lgkmcnt(0)
	s_barrier
	buffer_gl0_inv
	ds_load_2addr_b64 v[2:5], v25 offset1:1
	s_add_i32 s23, s23, 1
	s_delay_alu instid0(SALU_CYCLE_1)
	s_cmp_eq_u32 s23, 10
	s_waitcnt lgkmcnt(0)
	v_xor_b32_e32 v2, 0x80000000, v2
	v_xor_b32_e32 v3, 0x80000000, v3
	;; [unrolled: 1-line block ×4, first 2 shown]
	s_cbranch_scc1 .LBB20_20
.LBB20_2:                               ; =>This Loop Header: Depth=1
                                        ;     Child Loop BB20_4 Depth 2
	s_waitcnt vmcnt(3)
	v_xor_b32_e32 v0, 0x80000000, v2
	s_waitcnt vmcnt(2)
	v_xor_b32_e32 v2, 0x80000000, v3
	;; [unrolled: 2-line block ×4, first 2 shown]
	s_mov_b32 s17, 0
	ds_bpermute_b32 v4, v13, v0
	ds_bpermute_b32 v5, v13, v2
	;; [unrolled: 1-line block ×16, first 2 shown]
	s_waitcnt lgkmcnt(0)
	s_barrier
	v_cndmask_b32_e64 v1, v4, v5, s2
	v_cndmask_b32_e64 v4, v6, v7, s2
	;; [unrolled: 1-line block ×4, first 2 shown]
	s_delay_alu instid0(VALU_DEP_4) | instskip(NEXT) | instid1(VALU_DEP_4)
	v_cndmask_b32_e64 v1, v1, v28, s1
	v_cndmask_b32_e64 v2, v4, v29, s1
	s_delay_alu instid0(VALU_DEP_4) | instskip(NEXT) | instid1(VALU_DEP_4)
	v_cndmask_b32_e64 v4, v5, v30, s1
	v_cndmask_b32_e64 v3, v0, v3, s1
	;; [unrolled: 3-line block ×4, first 2 shown]
	s_branch .LBB20_4
.LBB20_3:                               ;   in Loop: Header=BB20_4 Depth=2
	v_lshlrev_b32_e32 v0, 2, v7
	v_lshlrev_b32_e32 v1, 2, v6
	v_lshlrev_b32_e32 v2, 2, v5
	v_lshlrev_b32_e32 v3, 2, v4
	s_barrier
	buffer_gl0_inv
	ds_store_b32 v0, v26
	ds_store_b32 v1, v29
	;; [unrolled: 1-line block ×4, first 2 shown]
	s_waitcnt lgkmcnt(0)
	s_barrier
	buffer_gl0_inv
	ds_load_2addr_b32 v[0:1], v24 offset1:32
	ds_load_2addr_b32 v[2:3], v24 offset0:64 offset1:96
	s_add_i32 s17, s17, 8
	s_waitcnt lgkmcnt(0)
	s_barrier
	s_cbranch_execz .LBB20_1
.LBB20_4:                               ;   Parent Loop BB20_2 Depth=1
                                        ; =>  This Inner Loop Header: Depth=2
	v_mov_b32_e32 v26, v0
	buffer_gl0_inv
	ds_store_2addr_b64 v15, v[9:10], v[11:12] offset0:3 offset1:4
	ds_store_2addr_b64 v18, v[9:10], v[11:12] offset0:2 offset1:3
	s_waitcnt lgkmcnt(0)
	s_barrier
	v_lshrrev_b32_e32 v4, s17, v26
	buffer_gl0_inv
	; wave barrier
	v_lshlrev_b32_e32 v7, 29, v4
	v_bfe_u32 v0, v26, s17, 1
	v_lshlrev_b32_e32 v6, 30, v4
	v_lshlrev_b32_e32 v27, 28, v4
	;; [unrolled: 1-line block ×4, first 2 shown]
	v_add_co_u32 v0, s16, v0, -1
	s_delay_alu instid0(VALU_DEP_1) | instskip(SKIP_3) | instid1(VALU_DEP_4)
	v_cndmask_b32_e64 v5, 0, 1, s16
	v_cmp_gt_i32_e64 s16, 0, v6
	v_lshlrev_b32_e32 v30, 25, v4
	v_lshlrev_b32_e32 v4, 24, v4
	v_cmp_ne_u32_e32 vcc_lo, 0, v5
	v_not_b32_e32 v5, v6
	v_not_b32_e32 v6, v7
	v_xor_b32_e32 v0, vcc_lo, v0
	s_delay_alu instid0(VALU_DEP_3)
	v_ashrrev_i32_e32 v5, 31, v5
	v_cmp_gt_i32_e32 vcc_lo, 0, v7
	v_not_b32_e32 v7, v27
	v_ashrrev_i32_e32 v6, 31, v6
	v_and_b32_e32 v0, exec_lo, v0
	v_xor_b32_e32 v5, s16, v5
	v_cmp_gt_i32_e64 s16, 0, v27
	v_ashrrev_i32_e32 v7, 31, v7
	v_xor_b32_e32 v6, vcc_lo, v6
	s_delay_alu instid0(VALU_DEP_4) | instskip(SKIP_1) | instid1(VALU_DEP_4)
	v_and_b32_e32 v0, v0, v5
	v_not_b32_e32 v5, v29
	v_xor_b32_e32 v7, s16, v7
	v_cmp_gt_i32_e64 s16, 0, v29
	v_mov_b32_e32 v29, v1
	v_not_b32_e32 v27, v28
	v_cmp_gt_i32_e32 vcc_lo, 0, v28
	v_and_b32_e32 v0, v0, v6
	v_not_b32_e32 v6, v30
	v_ashrrev_i32_e32 v5, 31, v5
	v_ashrrev_i32_e32 v27, 31, v27
	v_bfe_u32 v1, v26, s17, 8
	v_and_b32_e32 v0, v0, v7
	v_not_b32_e32 v7, v4
	v_ashrrev_i32_e32 v6, 31, v6
	v_xor_b32_e32 v27, vcc_lo, v27
	v_cmp_gt_i32_e32 vcc_lo, 0, v30
	v_xor_b32_e32 v5, s16, v5
	v_cmp_gt_i32_e64 s16, 0, v4
	v_ashrrev_i32_e32 v4, 31, v7
	v_and_b32_e32 v0, v0, v27
	v_xor_b32_e32 v6, vcc_lo, v6
	v_mad_u32_u24 v1, v1, 6, v19
	v_mov_b32_e32 v27, v3
	v_xor_b32_e32 v4, s16, v4
	v_and_b32_e32 v0, v0, v5
	v_mov_b32_e32 v28, v2
	v_lshl_add_u32 v31, v1, 2, 24
	s_delay_alu instid0(VALU_DEP_3) | instskip(NEXT) | instid1(VALU_DEP_1)
	v_and_b32_e32 v0, v0, v6
	v_and_b32_e32 v0, v0, v4
	s_delay_alu instid0(VALU_DEP_1) | instskip(SKIP_1) | instid1(VALU_DEP_2)
	v_mbcnt_lo_u32_b32 v30, v0, 0
	v_cmp_ne_u32_e64 s16, 0, v0
	v_cmp_eq_u32_e32 vcc_lo, 0, v30
	s_delay_alu instid0(VALU_DEP_2) | instskip(NEXT) | instid1(SALU_CYCLE_1)
	s_and_b32 s22, s16, vcc_lo
	s_and_saveexec_b32 s16, s22
	s_cbranch_execz .LBB20_6
; %bb.5:                                ;   in Loop: Header=BB20_4 Depth=2
	v_bcnt_u32_b32 v0, v0, 0
	ds_store_b32 v31, v0
.LBB20_6:                               ;   in Loop: Header=BB20_4 Depth=2
	s_or_b32 exec_lo, exec_lo, s16
	v_bfe_u32 v0, v29, s17, 1
	v_lshrrev_b32_e32 v1, s17, v29
	; wave barrier
	s_delay_alu instid0(VALU_DEP_2) | instskip(NEXT) | instid1(VALU_DEP_1)
	v_add_co_u32 v0, s16, v0, -1
	v_cndmask_b32_e64 v2, 0, 1, s16
	s_delay_alu instid0(VALU_DEP_3)
	v_lshlrev_b32_e32 v3, 30, v1
	v_lshlrev_b32_e32 v4, 29, v1
	;; [unrolled: 1-line block ×4, first 2 shown]
	v_cmp_ne_u32_e32 vcc_lo, 0, v2
	v_not_b32_e32 v2, v3
	v_cmp_gt_i32_e64 s16, 0, v3
	v_not_b32_e32 v3, v4
	v_lshlrev_b32_e32 v7, 26, v1
	v_xor_b32_e32 v0, vcc_lo, v0
	v_ashrrev_i32_e32 v2, 31, v2
	v_cmp_gt_i32_e32 vcc_lo, 0, v4
	v_not_b32_e32 v4, v5
	v_ashrrev_i32_e32 v3, 31, v3
	v_and_b32_e32 v0, exec_lo, v0
	v_xor_b32_e32 v2, s16, v2
	v_cmp_gt_i32_e64 s16, 0, v5
	v_not_b32_e32 v5, v6
	v_ashrrev_i32_e32 v4, 31, v4
	v_xor_b32_e32 v3, vcc_lo, v3
	v_and_b32_e32 v0, v0, v2
	v_cmp_gt_i32_e32 vcc_lo, 0, v6
	v_not_b32_e32 v2, v7
	v_ashrrev_i32_e32 v5, 31, v5
	v_xor_b32_e32 v4, s16, v4
	v_and_b32_e32 v0, v0, v3
	v_lshlrev_b32_e32 v3, 25, v1
	v_cmp_gt_i32_e64 s16, 0, v7
	v_ashrrev_i32_e32 v2, 31, v2
	v_xor_b32_e32 v5, vcc_lo, v5
	v_and_b32_e32 v0, v0, v4
	v_not_b32_e32 v6, v3
	v_lshlrev_b32_e32 v1, 24, v1
	v_bfe_u32 v4, v29, s17, 8
	v_xor_b32_e32 v2, s16, v2
	v_and_b32_e32 v0, v0, v5
	v_cmp_gt_i32_e32 vcc_lo, 0, v3
	v_ashrrev_i32_e32 v3, 31, v6
	v_not_b32_e32 v5, v1
	v_mul_u32_u24_e32 v4, 6, v4
	v_and_b32_e32 v0, v0, v2
	s_delay_alu instid0(VALU_DEP_4) | instskip(SKIP_3) | instid1(VALU_DEP_4)
	v_xor_b32_e32 v2, vcc_lo, v3
	v_cmp_gt_i32_e32 vcc_lo, 0, v1
	v_ashrrev_i32_e32 v1, 31, v5
	v_add_lshl_u32 v3, v4, v19, 2
	v_and_b32_e32 v0, v0, v2
	s_delay_alu instid0(VALU_DEP_3) | instskip(SKIP_3) | instid1(VALU_DEP_1)
	v_xor_b32_e32 v1, vcc_lo, v1
	ds_load_b32 v32, v3 offset:24
	v_add_nc_u32_e32 v34, 24, v3
	; wave barrier
	v_and_b32_e32 v0, v0, v1
	v_mbcnt_lo_u32_b32 v33, v0, 0
	v_cmp_ne_u32_e64 s16, 0, v0
	s_delay_alu instid0(VALU_DEP_2) | instskip(NEXT) | instid1(VALU_DEP_2)
	v_cmp_eq_u32_e32 vcc_lo, 0, v33
	s_and_b32 s22, s16, vcc_lo
	s_delay_alu instid0(SALU_CYCLE_1)
	s_and_saveexec_b32 s16, s22
	s_cbranch_execz .LBB20_8
; %bb.7:                                ;   in Loop: Header=BB20_4 Depth=2
	s_waitcnt lgkmcnt(0)
	v_bcnt_u32_b32 v0, v0, v32
	ds_store_b32 v34, v0
.LBB20_8:                               ;   in Loop: Header=BB20_4 Depth=2
	s_or_b32 exec_lo, exec_lo, s16
	v_bfe_u32 v0, v28, s17, 1
	v_lshrrev_b32_e32 v1, s17, v28
	; wave barrier
	s_delay_alu instid0(VALU_DEP_2) | instskip(NEXT) | instid1(VALU_DEP_1)
	v_add_co_u32 v0, s16, v0, -1
	v_cndmask_b32_e64 v2, 0, 1, s16
	s_delay_alu instid0(VALU_DEP_3)
	v_lshlrev_b32_e32 v3, 30, v1
	v_lshlrev_b32_e32 v4, 29, v1
	;; [unrolled: 1-line block ×4, first 2 shown]
	v_cmp_ne_u32_e32 vcc_lo, 0, v2
	v_not_b32_e32 v2, v3
	v_cmp_gt_i32_e64 s16, 0, v3
	v_not_b32_e32 v3, v4
	v_lshlrev_b32_e32 v7, 26, v1
	v_xor_b32_e32 v0, vcc_lo, v0
	v_ashrrev_i32_e32 v2, 31, v2
	v_cmp_gt_i32_e32 vcc_lo, 0, v4
	v_not_b32_e32 v4, v5
	v_ashrrev_i32_e32 v3, 31, v3
	v_and_b32_e32 v0, exec_lo, v0
	v_xor_b32_e32 v2, s16, v2
	v_cmp_gt_i32_e64 s16, 0, v5
	v_not_b32_e32 v5, v6
	v_ashrrev_i32_e32 v4, 31, v4
	v_xor_b32_e32 v3, vcc_lo, v3
	v_and_b32_e32 v0, v0, v2
	v_cmp_gt_i32_e32 vcc_lo, 0, v6
	v_not_b32_e32 v2, v7
	v_ashrrev_i32_e32 v5, 31, v5
	v_xor_b32_e32 v4, s16, v4
	v_and_b32_e32 v0, v0, v3
	v_lshlrev_b32_e32 v3, 25, v1
	v_cmp_gt_i32_e64 s16, 0, v7
	v_ashrrev_i32_e32 v2, 31, v2
	v_xor_b32_e32 v5, vcc_lo, v5
	v_and_b32_e32 v0, v0, v4
	v_not_b32_e32 v6, v3
	v_lshlrev_b32_e32 v1, 24, v1
	v_bfe_u32 v4, v28, s17, 8
	v_xor_b32_e32 v2, s16, v2
	v_and_b32_e32 v0, v0, v5
	v_cmp_gt_i32_e32 vcc_lo, 0, v3
	v_ashrrev_i32_e32 v3, 31, v6
	v_not_b32_e32 v5, v1
	v_mul_u32_u24_e32 v4, 6, v4
	v_and_b32_e32 v0, v0, v2
	s_delay_alu instid0(VALU_DEP_4) | instskip(SKIP_3) | instid1(VALU_DEP_4)
	v_xor_b32_e32 v2, vcc_lo, v3
	v_cmp_gt_i32_e32 vcc_lo, 0, v1
	v_ashrrev_i32_e32 v1, 31, v5
	v_add_lshl_u32 v3, v4, v19, 2
	v_and_b32_e32 v0, v0, v2
	s_delay_alu instid0(VALU_DEP_3) | instskip(SKIP_3) | instid1(VALU_DEP_1)
	v_xor_b32_e32 v1, vcc_lo, v1
	ds_load_b32 v35, v3 offset:24
	v_add_nc_u32_e32 v37, 24, v3
	; wave barrier
	v_and_b32_e32 v0, v0, v1
	v_mbcnt_lo_u32_b32 v36, v0, 0
	v_cmp_ne_u32_e64 s16, 0, v0
	s_delay_alu instid0(VALU_DEP_2) | instskip(NEXT) | instid1(VALU_DEP_2)
	v_cmp_eq_u32_e32 vcc_lo, 0, v36
	s_and_b32 s22, s16, vcc_lo
	s_delay_alu instid0(SALU_CYCLE_1)
	s_and_saveexec_b32 s16, s22
	s_cbranch_execz .LBB20_10
; %bb.9:                                ;   in Loop: Header=BB20_4 Depth=2
	s_waitcnt lgkmcnt(0)
	v_bcnt_u32_b32 v0, v0, v35
	ds_store_b32 v37, v0
.LBB20_10:                              ;   in Loop: Header=BB20_4 Depth=2
	s_or_b32 exec_lo, exec_lo, s16
	v_bfe_u32 v0, v27, s17, 1
	v_lshrrev_b32_e32 v1, s17, v27
	; wave barrier
	s_delay_alu instid0(VALU_DEP_2) | instskip(NEXT) | instid1(VALU_DEP_1)
	v_add_co_u32 v0, s16, v0, -1
	v_cndmask_b32_e64 v2, 0, 1, s16
	s_delay_alu instid0(VALU_DEP_3)
	v_lshlrev_b32_e32 v3, 30, v1
	v_lshlrev_b32_e32 v4, 29, v1
	;; [unrolled: 1-line block ×4, first 2 shown]
	v_cmp_ne_u32_e32 vcc_lo, 0, v2
	v_not_b32_e32 v2, v3
	v_cmp_gt_i32_e64 s16, 0, v3
	v_not_b32_e32 v3, v4
	v_lshlrev_b32_e32 v7, 26, v1
	v_xor_b32_e32 v0, vcc_lo, v0
	v_ashrrev_i32_e32 v2, 31, v2
	v_cmp_gt_i32_e32 vcc_lo, 0, v4
	v_not_b32_e32 v4, v5
	v_ashrrev_i32_e32 v3, 31, v3
	v_and_b32_e32 v0, exec_lo, v0
	v_xor_b32_e32 v2, s16, v2
	v_cmp_gt_i32_e64 s16, 0, v5
	v_not_b32_e32 v5, v6
	v_ashrrev_i32_e32 v4, 31, v4
	v_xor_b32_e32 v3, vcc_lo, v3
	v_and_b32_e32 v0, v0, v2
	v_cmp_gt_i32_e32 vcc_lo, 0, v6
	v_not_b32_e32 v2, v7
	v_ashrrev_i32_e32 v5, 31, v5
	v_xor_b32_e32 v4, s16, v4
	v_and_b32_e32 v0, v0, v3
	v_lshlrev_b32_e32 v3, 25, v1
	v_cmp_gt_i32_e64 s16, 0, v7
	v_ashrrev_i32_e32 v2, 31, v2
	v_xor_b32_e32 v5, vcc_lo, v5
	v_and_b32_e32 v0, v0, v4
	v_not_b32_e32 v6, v3
	v_lshlrev_b32_e32 v1, 24, v1
	v_bfe_u32 v4, v27, s17, 8
	v_xor_b32_e32 v2, s16, v2
	v_and_b32_e32 v0, v0, v5
	v_cmp_gt_i32_e32 vcc_lo, 0, v3
	v_ashrrev_i32_e32 v3, 31, v6
	v_not_b32_e32 v5, v1
	v_mul_u32_u24_e32 v4, 6, v4
	v_and_b32_e32 v0, v0, v2
	s_delay_alu instid0(VALU_DEP_4) | instskip(SKIP_3) | instid1(VALU_DEP_4)
	v_xor_b32_e32 v2, vcc_lo, v3
	v_cmp_gt_i32_e32 vcc_lo, 0, v1
	v_ashrrev_i32_e32 v1, 31, v5
	v_add_lshl_u32 v3, v4, v19, 2
	v_and_b32_e32 v0, v0, v2
	s_delay_alu instid0(VALU_DEP_3) | instskip(SKIP_3) | instid1(VALU_DEP_1)
	v_xor_b32_e32 v1, vcc_lo, v1
	ds_load_b32 v38, v3 offset:24
	v_add_nc_u32_e32 v40, 24, v3
	; wave barrier
	v_and_b32_e32 v0, v0, v1
	v_mbcnt_lo_u32_b32 v39, v0, 0
	v_cmp_ne_u32_e64 s16, 0, v0
	s_delay_alu instid0(VALU_DEP_2) | instskip(NEXT) | instid1(VALU_DEP_2)
	v_cmp_eq_u32_e32 vcc_lo, 0, v39
	s_and_b32 s22, s16, vcc_lo
	s_delay_alu instid0(SALU_CYCLE_1)
	s_and_saveexec_b32 s16, s22
	s_cbranch_execz .LBB20_12
; %bb.11:                               ;   in Loop: Header=BB20_4 Depth=2
	s_waitcnt lgkmcnt(0)
	v_bcnt_u32_b32 v0, v0, v38
	ds_store_b32 v40, v0
.LBB20_12:                              ;   in Loop: Header=BB20_4 Depth=2
	s_or_b32 exec_lo, exec_lo, s16
	; wave barrier
	s_waitcnt lgkmcnt(0)
	s_barrier
	buffer_gl0_inv
	ds_load_2addr_b64 v[4:7], v15 offset0:3 offset1:4
	ds_load_2addr_b64 v[0:3], v18 offset0:2 offset1:3
	s_waitcnt lgkmcnt(1)
	v_add_nc_u32_e32 v41, v5, v4
	s_delay_alu instid0(VALU_DEP_1) | instskip(SKIP_1) | instid1(VALU_DEP_1)
	v_add3_u32 v41, v41, v6, v7
	s_waitcnt lgkmcnt(0)
	v_add3_u32 v41, v41, v0, v1
	s_delay_alu instid0(VALU_DEP_1) | instskip(NEXT) | instid1(VALU_DEP_1)
	v_add3_u32 v3, v41, v2, v3
	v_mov_b32_dpp v41, v3 row_shr:1 row_mask:0xf bank_mask:0xf
	s_delay_alu instid0(VALU_DEP_1) | instskip(NEXT) | instid1(VALU_DEP_1)
	v_cndmask_b32_e64 v41, v41, 0, s3
	v_add_nc_u32_e32 v3, v41, v3
	s_delay_alu instid0(VALU_DEP_1) | instskip(NEXT) | instid1(VALU_DEP_1)
	v_mov_b32_dpp v41, v3 row_shr:2 row_mask:0xf bank_mask:0xf
	v_cndmask_b32_e64 v41, 0, v41, s4
	s_delay_alu instid0(VALU_DEP_1) | instskip(NEXT) | instid1(VALU_DEP_1)
	v_add_nc_u32_e32 v3, v3, v41
	v_mov_b32_dpp v41, v3 row_shr:4 row_mask:0xf bank_mask:0xf
	s_delay_alu instid0(VALU_DEP_1) | instskip(NEXT) | instid1(VALU_DEP_1)
	v_cndmask_b32_e64 v41, 0, v41, s5
	v_add_nc_u32_e32 v3, v3, v41
	s_delay_alu instid0(VALU_DEP_1) | instskip(NEXT) | instid1(VALU_DEP_1)
	v_mov_b32_dpp v41, v3 row_shr:8 row_mask:0xf bank_mask:0xf
	v_cndmask_b32_e64 v41, 0, v41, s6
	s_delay_alu instid0(VALU_DEP_1) | instskip(SKIP_3) | instid1(VALU_DEP_1)
	v_add_nc_u32_e32 v3, v3, v41
	ds_swizzle_b32 v41, v3 offset:swizzle(BROADCAST,32,15)
	s_waitcnt lgkmcnt(0)
	v_cndmask_b32_e64 v41, v41, 0, s7
	v_add_nc_u32_e32 v3, v3, v41
	s_and_saveexec_b32 s16, s8
	s_cbranch_execz .LBB20_14
; %bb.13:                               ;   in Loop: Header=BB20_4 Depth=2
	ds_store_b32 v21, v3
.LBB20_14:                              ;   in Loop: Header=BB20_4 Depth=2
	s_or_b32 exec_lo, exec_lo, s16
	s_waitcnt lgkmcnt(0)
	s_barrier
	buffer_gl0_inv
	s_and_saveexec_b32 s16, s9
	s_cbranch_execz .LBB20_16
; %bb.15:                               ;   in Loop: Header=BB20_4 Depth=2
	ds_load_b32 v41, v22
	s_waitcnt lgkmcnt(0)
	v_mov_b32_dpp v42, v41 row_shr:1 row_mask:0xf bank_mask:0xf
	s_delay_alu instid0(VALU_DEP_1) | instskip(NEXT) | instid1(VALU_DEP_1)
	v_cndmask_b32_e64 v42, v42, 0, s13
	v_add_nc_u32_e32 v41, v42, v41
	s_delay_alu instid0(VALU_DEP_1) | instskip(NEXT) | instid1(VALU_DEP_1)
	v_mov_b32_dpp v42, v41 row_shr:2 row_mask:0xf bank_mask:0xf
	v_cndmask_b32_e64 v42, 0, v42, s14
	s_delay_alu instid0(VALU_DEP_1) | instskip(NEXT) | instid1(VALU_DEP_1)
	v_add_nc_u32_e32 v41, v41, v42
	v_mov_b32_dpp v42, v41 row_shr:4 row_mask:0xf bank_mask:0xf
	s_delay_alu instid0(VALU_DEP_1) | instskip(NEXT) | instid1(VALU_DEP_1)
	v_cndmask_b32_e64 v42, 0, v42, s15
	v_add_nc_u32_e32 v41, v41, v42
	ds_store_b32 v22, v41
.LBB20_16:                              ;   in Loop: Header=BB20_4 Depth=2
	s_or_b32 exec_lo, exec_lo, s16
	v_mov_b32_e32 v41, 0
	s_waitcnt lgkmcnt(0)
	s_barrier
	buffer_gl0_inv
	s_and_saveexec_b32 s16, s10
	s_cbranch_execz .LBB20_18
; %bb.17:                               ;   in Loop: Header=BB20_4 Depth=2
	ds_load_b32 v41, v23
.LBB20_18:                              ;   in Loop: Header=BB20_4 Depth=2
	s_or_b32 exec_lo, exec_lo, s16
	s_waitcnt lgkmcnt(0)
	v_add_nc_u32_e32 v3, v41, v3
	s_cmp_gt_u32 s17, 23
	ds_bpermute_b32 v3, v20, v3
	s_waitcnt lgkmcnt(0)
	v_cndmask_b32_e64 v3, v3, v41, s11
	s_delay_alu instid0(VALU_DEP_1) | instskip(NEXT) | instid1(VALU_DEP_1)
	v_cndmask_b32_e64 v3, v3, 0, s12
	v_add_nc_u32_e32 v4, v3, v4
	s_delay_alu instid0(VALU_DEP_1) | instskip(NEXT) | instid1(VALU_DEP_1)
	v_add_nc_u32_e32 v5, v4, v5
	v_add_nc_u32_e32 v6, v5, v6
	s_delay_alu instid0(VALU_DEP_1) | instskip(NEXT) | instid1(VALU_DEP_1)
	v_add_nc_u32_e32 v41, v6, v7
	;; [unrolled: 3-line block ×3, first 2 shown]
	v_add_nc_u32_e32 v1, v0, v2
	ds_store_2addr_b64 v15, v[3:4], v[5:6] offset0:3 offset1:4
	ds_store_2addr_b64 v18, v[41:42], v[0:1] offset0:2 offset1:3
	s_waitcnt lgkmcnt(0)
	s_barrier
	buffer_gl0_inv
	ds_load_b32 v0, v31
	ds_load_b32 v1, v34
	;; [unrolled: 1-line block ×4, first 2 shown]
	s_waitcnt lgkmcnt(3)
	v_add_nc_u32_e32 v7, v0, v30
	s_waitcnt lgkmcnt(2)
	v_add3_u32 v6, v33, v32, v1
	s_waitcnt lgkmcnt(1)
	v_add3_u32 v5, v36, v35, v2
	;; [unrolled: 2-line block ×3, first 2 shown]
	s_cbranch_scc0 .LBB20_3
; %bb.19:                               ;   in Loop: Header=BB20_2 Depth=1
                                        ; implicit-def: $vgpr3
                                        ; implicit-def: $vgpr1
                                        ; implicit-def: $sgpr17
	s_branch .LBB20_1
.LBB20_20:
	v_lshlrev_b32_e32 v0, 2, v8
	s_add_u32 s0, s18, s20
	s_addc_u32 s1, s19, s21
	s_clause 0x3
	global_store_b32 v0, v2, s[0:1]
	global_store_b32 v0, v3, s[0:1] offset:768
	global_store_b32 v0, v4, s[0:1] offset:1536
	;; [unrolled: 1-line block ×3, first 2 shown]
	s_nop 0
	s_sendmsg sendmsg(MSG_DEALLOC_VGPRS)
	s_endpgm
	.section	.rodata,"a",@progbits
	.p2align	6, 0x0
	.amdhsa_kernel _Z16sort_keys_kernelI22helper_blocked_blockediLj192ELj4ELj10EEvPKT0_PS1_
		.amdhsa_group_segment_fixed_size 6176
		.amdhsa_private_segment_fixed_size 0
		.amdhsa_kernarg_size 272
		.amdhsa_user_sgpr_count 15
		.amdhsa_user_sgpr_dispatch_ptr 0
		.amdhsa_user_sgpr_queue_ptr 0
		.amdhsa_user_sgpr_kernarg_segment_ptr 1
		.amdhsa_user_sgpr_dispatch_id 0
		.amdhsa_user_sgpr_private_segment_size 0
		.amdhsa_wavefront_size32 1
		.amdhsa_uses_dynamic_stack 0
		.amdhsa_enable_private_segment 0
		.amdhsa_system_sgpr_workgroup_id_x 1
		.amdhsa_system_sgpr_workgroup_id_y 0
		.amdhsa_system_sgpr_workgroup_id_z 0
		.amdhsa_system_sgpr_workgroup_info 0
		.amdhsa_system_vgpr_workitem_id 2
		.amdhsa_next_free_vgpr 43
		.amdhsa_next_free_sgpr 24
		.amdhsa_reserve_vcc 1
		.amdhsa_float_round_mode_32 0
		.amdhsa_float_round_mode_16_64 0
		.amdhsa_float_denorm_mode_32 3
		.amdhsa_float_denorm_mode_16_64 3
		.amdhsa_dx10_clamp 1
		.amdhsa_ieee_mode 1
		.amdhsa_fp16_overflow 0
		.amdhsa_workgroup_processor_mode 1
		.amdhsa_memory_ordered 1
		.amdhsa_forward_progress 0
		.amdhsa_shared_vgpr_count 0
		.amdhsa_exception_fp_ieee_invalid_op 0
		.amdhsa_exception_fp_denorm_src 0
		.amdhsa_exception_fp_ieee_div_zero 0
		.amdhsa_exception_fp_ieee_overflow 0
		.amdhsa_exception_fp_ieee_underflow 0
		.amdhsa_exception_fp_ieee_inexact 0
		.amdhsa_exception_int_div_zero 0
	.end_amdhsa_kernel
	.section	.text._Z16sort_keys_kernelI22helper_blocked_blockediLj192ELj4ELj10EEvPKT0_PS1_,"axG",@progbits,_Z16sort_keys_kernelI22helper_blocked_blockediLj192ELj4ELj10EEvPKT0_PS1_,comdat
.Lfunc_end20:
	.size	_Z16sort_keys_kernelI22helper_blocked_blockediLj192ELj4ELj10EEvPKT0_PS1_, .Lfunc_end20-_Z16sort_keys_kernelI22helper_blocked_blockediLj192ELj4ELj10EEvPKT0_PS1_
                                        ; -- End function
	.section	.AMDGPU.csdata,"",@progbits
; Kernel info:
; codeLenInByte = 3016
; NumSgprs: 26
; NumVgprs: 43
; ScratchSize: 0
; MemoryBound: 0
; FloatMode: 240
; IeeeMode: 1
; LDSByteSize: 6176 bytes/workgroup (compile time only)
; SGPRBlocks: 3
; VGPRBlocks: 5
; NumSGPRsForWavesPerEU: 26
; NumVGPRsForWavesPerEU: 43
; Occupancy: 15
; WaveLimiterHint : 1
; COMPUTE_PGM_RSRC2:SCRATCH_EN: 0
; COMPUTE_PGM_RSRC2:USER_SGPR: 15
; COMPUTE_PGM_RSRC2:TRAP_HANDLER: 0
; COMPUTE_PGM_RSRC2:TGID_X_EN: 1
; COMPUTE_PGM_RSRC2:TGID_Y_EN: 0
; COMPUTE_PGM_RSRC2:TGID_Z_EN: 0
; COMPUTE_PGM_RSRC2:TIDIG_COMP_CNT: 2
	.section	.text._Z17sort_pairs_kernelI22helper_blocked_blockediLj192ELj4ELj10EEvPKT0_PS1_,"axG",@progbits,_Z17sort_pairs_kernelI22helper_blocked_blockediLj192ELj4ELj10EEvPKT0_PS1_,comdat
	.protected	_Z17sort_pairs_kernelI22helper_blocked_blockediLj192ELj4ELj10EEvPKT0_PS1_ ; -- Begin function _Z17sort_pairs_kernelI22helper_blocked_blockediLj192ELj4ELj10EEvPKT0_PS1_
	.globl	_Z17sort_pairs_kernelI22helper_blocked_blockediLj192ELj4ELj10EEvPKT0_PS1_
	.p2align	8
	.type	_Z17sort_pairs_kernelI22helper_blocked_blockediLj192ELj4ELj10EEvPKT0_PS1_,@function
_Z17sort_pairs_kernelI22helper_blocked_blockediLj192ELj4ELj10EEvPKT0_PS1_: ; @_Z17sort_pairs_kernelI22helper_blocked_blockediLj192ELj4ELj10EEvPKT0_PS1_
; %bb.0:
	s_load_b128 s[16:19], s[0:1], 0x0
	v_and_b32_e32 v8, 0x3ff, v0
	s_mov_b32 s23, 0
	s_mul_i32 s22, s15, 0x300
	s_load_b32 s15, s[0:1], 0x1c
	s_lshl_b64 s[20:21], s[22:23], 2
	s_mov_b32 s22, s23
	s_delay_alu instid0(SALU_CYCLE_1) | instskip(SKIP_3) | instid1(VALU_DEP_3)
	v_dual_mov_b32 v11, s22 :: v_dual_lshlrev_b32 v2, 2, v8
	v_mbcnt_lo_u32_b32 v3, -1, 0
	v_bfe_u32 v19, v0, 10, 10
	v_bfe_u32 v0, v0, 20, 10
	v_dual_mov_b32 v12, s23 :: v_dual_add_nc_u32 v21, -1, v3
	v_and_b32_e32 v22, 7, v3
	v_and_b32_e32 v20, 16, v3
	v_and_b32_e32 v13, 28, v3
	v_and_b32_e32 v18, 15, v3
	v_cmp_gt_i32_e32 vcc_lo, 0, v21
	s_waitcnt lgkmcnt(0)
	s_add_u32 s0, s16, s20
	s_addc_u32 s1, s17, s21
	v_cmp_eq_u32_e64 s12, 0, v22
	s_clause 0x3
	global_load_b32 v5, v2, s[0:1]
	global_load_b32 v6, v2, s[0:1] offset:768
	global_load_b32 v7, v2, s[0:1] offset:1536
	global_load_b32 v4, v2, s[0:1] offset:2304
	s_mov_b32 s1, s23
	s_mov_b32 s0, s23
	v_dual_mov_b32 v10, s1 :: v_dual_and_b32 v1, 3, v3
	v_mov_b32_e32 v9, s0
	s_lshr_b32 s16, s15, 16
	v_cmp_lt_u32_e64 s13, 1, v22
	v_cmp_lt_u32_e64 s14, 3, v22
	v_cmp_eq_u32_e64 s1, 3, v1
	v_cmp_eq_u32_e64 s2, 2, v1
	;; [unrolled: 1-line block ×3, first 2 shown]
	v_and_b32_e32 v1, 0xe0, v8
	v_mad_u32_u24 v22, v0, s16, v19
	v_lshlrev_b32_e32 v17, 5, v8
	v_cmp_eq_u32_e64 s8, 0, v20
	v_cndmask_b32_e32 v20, v21, v3, vcc_lo
	v_lshrrev_b32_e32 v21, 3, v8
	v_min_u32_e32 v23, 0xa0, v1
	s_and_b32 s15, s15, 0xffff
	v_mul_u32_u24_e32 v25, 12, v8
	v_mad_u64_u32 v[0:1], null, v22, s15, v[8:9]
	v_and_b32_e32 v19, 28, v21
	v_and_or_b32 v1, 0x380, v2, v3
	v_or_b32_e32 v2, 31, v23
	v_mad_i32_i24 v21, 0xffffffe4, v8, v17
	v_cmp_eq_u32_e64 s0, 0, v3
	v_or_b32_e32 v14, 32, v13
	v_or_b32_e32 v15, 64, v13
	;; [unrolled: 1-line block ×3, first 2 shown]
	v_cmp_eq_u32_e64 s4, 0, v18
	v_cmp_lt_u32_e64 s5, 1, v18
	v_cmp_lt_u32_e64 s6, 3, v18
	;; [unrolled: 1-line block ×3, first 2 shown]
	v_cmp_gt_u32_e64 s9, 6, v8
	v_cmp_lt_u32_e64 s10, 31, v8
	v_cmp_eq_u32_e64 s11, 0, v8
	v_or_b32_e32 v18, 24, v17
	v_lshlrev_b32_e32 v20, 2, v20
	v_add_nc_u32_e32 v22, -4, v19
	v_lshlrev_b32_e32 v23, 2, v1
	v_cmp_eq_u32_e64 s15, v2, v8
	v_lshrrev_b32_e32 v24, 5, v0
	v_add_nc_u32_e32 v25, v21, v25
	s_waitcnt vmcnt(3)
	v_add_nc_u32_e32 v0, 1, v5
	s_waitcnt vmcnt(2)
	;; [unrolled: 2-line block ×4, first 2 shown]
	v_add_nc_u32_e32 v3, 1, v4
	s_branch .LBB21_2
.LBB21_1:                               ;   in Loop: Header=BB21_2 Depth=1
	v_lshlrev_b32_e32 v0, 2, v38
	v_lshlrev_b32_e32 v1, 2, v36
	;; [unrolled: 1-line block ×4, first 2 shown]
	s_barrier
	buffer_gl0_inv
	ds_store_b32 v0, v26
	ds_store_b32 v1, v33
	;; [unrolled: 1-line block ×4, first 2 shown]
	s_waitcnt lgkmcnt(0)
	s_barrier
	buffer_gl0_inv
	ds_load_2addr_b64 v[32:35], v25 offset1:1
	s_waitcnt lgkmcnt(0)
	s_barrier
	buffer_gl0_inv
	ds_store_b32 v0, v31
	ds_store_b32 v1, v29
	;; [unrolled: 1-line block ×4, first 2 shown]
	s_waitcnt lgkmcnt(0)
	s_barrier
	buffer_gl0_inv
	ds_load_2addr_b64 v[0:3], v25 offset1:1
	s_add_i32 s23, s23, 1
	s_delay_alu instid0(SALU_CYCLE_1)
	s_cmp_eq_u32 s23, 10
	v_xor_b32_e32 v5, 0x80000000, v32
	v_xor_b32_e32 v6, 0x80000000, v33
	;; [unrolled: 1-line block ×4, first 2 shown]
	s_cbranch_scc1 .LBB21_20
.LBB21_2:                               ; =>This Loop Header: Depth=1
                                        ;     Child Loop BB21_4 Depth 2
	v_xor_b32_e32 v5, 0x80000000, v5
	v_xor_b32_e32 v6, 0x80000000, v6
	v_xor_b32_e32 v7, 0x80000000, v7
	v_xor_b32_e32 v4, 0x80000000, v4
	s_waitcnt lgkmcnt(0)
	ds_bpermute_b32 v35, v13, v0
	ds_bpermute_b32 v26, v13, v5
	;; [unrolled: 1-line block ×22, first 2 shown]
	s_waitcnt lgkmcnt(19)
	v_cndmask_b32_e64 v26, v26, v27, s3
	ds_bpermute_b32 v4, v16, v4
	s_waitcnt lgkmcnt(18)
	v_cndmask_b32_e64 v27, v28, v29, s3
	ds_bpermute_b32 v29, v16, v1
	s_waitcnt lgkmcnt(17)
	v_cndmask_b32_e64 v28, v30, v31, s3
	s_waitcnt lgkmcnt(16)
	v_cndmask_b32_e64 v26, v26, v32, s2
	ds_bpermute_b32 v30, v13, v2
	s_waitcnt lgkmcnt(16)
	v_cndmask_b32_e64 v27, v27, v33, s2
	ds_bpermute_b32 v31, v14, v2
	ds_bpermute_b32 v32, v15, v2
	;; [unrolled: 1-line block ×3, first 2 shown]
	s_waitcnt lgkmcnt(18)
	v_cndmask_b32_e64 v28, v28, v34, s2
	ds_bpermute_b32 v34, v13, v3
	ds_bpermute_b32 v44, v14, v3
	;; [unrolled: 1-line block ×4, first 2 shown]
	s_waitcnt lgkmcnt(15)
	v_cndmask_b32_e64 v0, v26, v0, s1
	s_waitcnt lgkmcnt(14)
	v_cndmask_b32_e64 v1, v27, v42, s1
	;; [unrolled: 2-line block ×3, first 2 shown]
	v_cndmask_b32_e64 v5, v35, v36, s3
	v_cndmask_b32_e64 v6, v37, v38, s3
	;; [unrolled: 1-line block ×3, first 2 shown]
	s_waitcnt lgkmcnt(10)
	v_cndmask_b32_e64 v2, v28, v43, s1
	s_waitcnt lgkmcnt(8)
	v_cndmask_b32_e64 v27, v41, v29, s3
	v_cndmask_b32_e64 v3, v3, v7, s2
	s_mov_b32 s17, 0
	s_waitcnt lgkmcnt(7)
	v_cndmask_b32_e64 v5, v5, v30, s2
	s_waitcnt lgkmcnt(0)
	v_cndmask_b32_e64 v6, v6, v31, s2
	v_cndmask_b32_e64 v7, v26, v32, s2
	;; [unrolled: 1-line block ×8, first 2 shown]
	s_barrier
	s_branch .LBB21_4
.LBB21_3:                               ;   in Loop: Header=BB21_4 Depth=2
	v_lshlrev_b32_e32 v4, 2, v38
	v_lshlrev_b32_e32 v5, 2, v36
	;; [unrolled: 1-line block ×4, first 2 shown]
	s_barrier
	buffer_gl0_inv
	ds_store_b32 v4, v26
	ds_store_b32 v5, v33
	;; [unrolled: 1-line block ×4, first 2 shown]
	s_waitcnt lgkmcnt(0)
	s_barrier
	buffer_gl0_inv
	ds_load_2addr_b32 v[0:1], v23 offset1:32
	ds_load_2addr_b32 v[2:3], v23 offset0:64 offset1:96
	s_waitcnt lgkmcnt(0)
	s_barrier
	buffer_gl0_inv
	ds_store_b32 v4, v31
	ds_store_b32 v5, v29
	;; [unrolled: 1-line block ×4, first 2 shown]
	s_waitcnt lgkmcnt(0)
	s_barrier
	buffer_gl0_inv
	ds_load_2addr_b32 v[4:5], v23 offset1:32
	ds_load_2addr_b32 v[6:7], v23 offset0:64 offset1:96
	s_add_i32 s17, s17, 8
	s_waitcnt lgkmcnt(0)
	s_barrier
	s_cbranch_execz .LBB21_1
.LBB21_4:                               ;   Parent Loop BB21_2 Depth=1
                                        ; =>  This Inner Loop Header: Depth=2
	v_mov_b32_e32 v26, v0
	buffer_gl0_inv
	ds_store_2addr_b64 v17, v[11:12], v[9:10] offset0:3 offset1:4
	ds_store_2addr_b64 v18, v[11:12], v[9:10] offset0:2 offset1:3
	s_waitcnt lgkmcnt(0)
	s_barrier
	v_lshrrev_b32_e32 v27, s17, v26
	buffer_gl0_inv
	; wave barrier
	v_lshlrev_b32_e32 v29, 30, v27
	v_bfe_u32 v0, v26, s17, 1
	v_lshlrev_b32_e32 v30, 29, v27
	v_lshlrev_b32_e32 v31, 28, v27
	;; [unrolled: 1-line block ×4, first 2 shown]
	v_add_co_u32 v0, s16, v0, -1
	s_delay_alu instid0(VALU_DEP_1) | instskip(SKIP_3) | instid1(VALU_DEP_4)
	v_cndmask_b32_e64 v28, 0, 1, s16
	v_cmp_gt_i32_e64 s16, 0, v29
	v_lshlrev_b32_e32 v34, 25, v27
	v_lshlrev_b32_e32 v27, 24, v27
	v_cmp_ne_u32_e32 vcc_lo, 0, v28
	v_not_b32_e32 v28, v29
	v_not_b32_e32 v29, v30
	v_xor_b32_e32 v0, vcc_lo, v0
	s_delay_alu instid0(VALU_DEP_3)
	v_ashrrev_i32_e32 v28, 31, v28
	v_cmp_gt_i32_e32 vcc_lo, 0, v30
	v_not_b32_e32 v30, v31
	v_ashrrev_i32_e32 v29, 31, v29
	v_and_b32_e32 v0, exec_lo, v0
	v_xor_b32_e32 v28, s16, v28
	v_cmp_gt_i32_e64 s16, 0, v31
	v_ashrrev_i32_e32 v30, 31, v30
	v_xor_b32_e32 v29, vcc_lo, v29
	s_delay_alu instid0(VALU_DEP_4) | instskip(SKIP_1) | instid1(VALU_DEP_4)
	v_and_b32_e32 v0, v0, v28
	v_not_b32_e32 v28, v33
	v_xor_b32_e32 v30, s16, v30
	v_cmp_gt_i32_e64 s16, 0, v33
	s_delay_alu instid0(VALU_DEP_4) | instskip(NEXT) | instid1(VALU_DEP_4)
	v_dual_mov_b32 v33, v1 :: v_dual_and_b32 v0, v0, v29
	v_ashrrev_i32_e32 v28, 31, v28
	v_not_b32_e32 v29, v34
	v_bfe_u32 v1, v26, s17, 8
	s_delay_alu instid0(VALU_DEP_4)
	v_and_b32_e32 v0, v0, v30
	v_not_b32_e32 v30, v27
	v_xor_b32_e32 v28, s16, v28
	v_cmp_gt_i32_e64 s16, 0, v27
	v_ashrrev_i32_e32 v29, 31, v29
	v_mad_u32_u24 v1, v1, 6, v24
	v_ashrrev_i32_e32 v27, 31, v30
	v_mov_b32_e32 v30, v3
	s_delay_alu instid0(VALU_DEP_3) | instskip(NEXT) | instid1(VALU_DEP_3)
	v_lshl_add_u32 v35, v1, 2, 24
	v_xor_b32_e32 v3, s16, v27
	v_mov_b32_e32 v27, v7
	v_not_b32_e32 v31, v32
	v_cmp_gt_i32_e32 vcc_lo, 0, v32
	v_mov_b32_e32 v32, v2
	s_delay_alu instid0(VALU_DEP_3) | instskip(NEXT) | instid1(VALU_DEP_1)
	v_ashrrev_i32_e32 v31, 31, v31
	v_xor_b32_e32 v31, vcc_lo, v31
	v_cmp_gt_i32_e32 vcc_lo, 0, v34
	s_delay_alu instid0(VALU_DEP_2) | instskip(SKIP_2) | instid1(VALU_DEP_3)
	v_and_b32_e32 v0, v0, v31
	v_mov_b32_e32 v31, v4
	v_xor_b32_e32 v29, vcc_lo, v29
	v_and_b32_e32 v0, v0, v28
	v_mov_b32_e32 v28, v6
	s_delay_alu instid0(VALU_DEP_2) | instskip(NEXT) | instid1(VALU_DEP_1)
	v_dual_mov_b32 v29, v5 :: v_dual_and_b32 v0, v0, v29
	v_and_b32_e32 v0, v0, v3
	s_delay_alu instid0(VALU_DEP_1) | instskip(SKIP_1) | instid1(VALU_DEP_2)
	v_mbcnt_lo_u32_b32 v34, v0, 0
	v_cmp_ne_u32_e64 s16, 0, v0
	v_cmp_eq_u32_e32 vcc_lo, 0, v34
	s_delay_alu instid0(VALU_DEP_2) | instskip(NEXT) | instid1(SALU_CYCLE_1)
	s_and_b32 s22, s16, vcc_lo
	s_and_saveexec_b32 s16, s22
	s_cbranch_execz .LBB21_6
; %bb.5:                                ;   in Loop: Header=BB21_4 Depth=2
	v_bcnt_u32_b32 v0, v0, 0
	ds_store_b32 v35, v0
.LBB21_6:                               ;   in Loop: Header=BB21_4 Depth=2
	s_or_b32 exec_lo, exec_lo, s16
	v_bfe_u32 v0, v33, s17, 1
	v_lshrrev_b32_e32 v1, s17, v33
	; wave barrier
	s_delay_alu instid0(VALU_DEP_2) | instskip(NEXT) | instid1(VALU_DEP_1)
	v_add_co_u32 v0, s16, v0, -1
	v_cndmask_b32_e64 v2, 0, 1, s16
	s_delay_alu instid0(VALU_DEP_3)
	v_lshlrev_b32_e32 v3, 30, v1
	v_lshlrev_b32_e32 v4, 29, v1
	;; [unrolled: 1-line block ×4, first 2 shown]
	v_cmp_ne_u32_e32 vcc_lo, 0, v2
	v_not_b32_e32 v2, v3
	v_cmp_gt_i32_e64 s16, 0, v3
	v_not_b32_e32 v3, v4
	v_lshlrev_b32_e32 v7, 26, v1
	v_xor_b32_e32 v0, vcc_lo, v0
	v_ashrrev_i32_e32 v2, 31, v2
	v_cmp_gt_i32_e32 vcc_lo, 0, v4
	v_not_b32_e32 v4, v5
	v_ashrrev_i32_e32 v3, 31, v3
	v_and_b32_e32 v0, exec_lo, v0
	v_xor_b32_e32 v2, s16, v2
	v_cmp_gt_i32_e64 s16, 0, v5
	v_not_b32_e32 v5, v6
	v_ashrrev_i32_e32 v4, 31, v4
	v_xor_b32_e32 v3, vcc_lo, v3
	v_and_b32_e32 v0, v0, v2
	v_cmp_gt_i32_e32 vcc_lo, 0, v6
	v_not_b32_e32 v2, v7
	v_ashrrev_i32_e32 v5, 31, v5
	v_xor_b32_e32 v4, s16, v4
	v_and_b32_e32 v0, v0, v3
	v_lshlrev_b32_e32 v3, 25, v1
	v_cmp_gt_i32_e64 s16, 0, v7
	v_ashrrev_i32_e32 v2, 31, v2
	v_xor_b32_e32 v5, vcc_lo, v5
	v_and_b32_e32 v0, v0, v4
	v_not_b32_e32 v6, v3
	v_lshlrev_b32_e32 v1, 24, v1
	v_bfe_u32 v4, v33, s17, 8
	v_xor_b32_e32 v2, s16, v2
	v_and_b32_e32 v0, v0, v5
	v_cmp_gt_i32_e32 vcc_lo, 0, v3
	v_ashrrev_i32_e32 v3, 31, v6
	v_not_b32_e32 v5, v1
	v_mul_u32_u24_e32 v4, 6, v4
	v_and_b32_e32 v0, v0, v2
	s_delay_alu instid0(VALU_DEP_4) | instskip(SKIP_3) | instid1(VALU_DEP_4)
	v_xor_b32_e32 v2, vcc_lo, v3
	v_cmp_gt_i32_e32 vcc_lo, 0, v1
	v_ashrrev_i32_e32 v1, 31, v5
	v_add_lshl_u32 v3, v4, v24, 2
	v_and_b32_e32 v0, v0, v2
	s_delay_alu instid0(VALU_DEP_3) | instskip(SKIP_3) | instid1(VALU_DEP_1)
	v_xor_b32_e32 v1, vcc_lo, v1
	ds_load_b32 v36, v3 offset:24
	v_add_nc_u32_e32 v38, 24, v3
	; wave barrier
	v_and_b32_e32 v0, v0, v1
	v_mbcnt_lo_u32_b32 v37, v0, 0
	v_cmp_ne_u32_e64 s16, 0, v0
	s_delay_alu instid0(VALU_DEP_2) | instskip(NEXT) | instid1(VALU_DEP_2)
	v_cmp_eq_u32_e32 vcc_lo, 0, v37
	s_and_b32 s22, s16, vcc_lo
	s_delay_alu instid0(SALU_CYCLE_1)
	s_and_saveexec_b32 s16, s22
	s_cbranch_execz .LBB21_8
; %bb.7:                                ;   in Loop: Header=BB21_4 Depth=2
	s_waitcnt lgkmcnt(0)
	v_bcnt_u32_b32 v0, v0, v36
	ds_store_b32 v38, v0
.LBB21_8:                               ;   in Loop: Header=BB21_4 Depth=2
	s_or_b32 exec_lo, exec_lo, s16
	v_bfe_u32 v0, v32, s17, 1
	v_lshrrev_b32_e32 v1, s17, v32
	; wave barrier
	s_delay_alu instid0(VALU_DEP_2) | instskip(NEXT) | instid1(VALU_DEP_1)
	v_add_co_u32 v0, s16, v0, -1
	v_cndmask_b32_e64 v2, 0, 1, s16
	s_delay_alu instid0(VALU_DEP_3)
	v_lshlrev_b32_e32 v3, 30, v1
	v_lshlrev_b32_e32 v4, 29, v1
	;; [unrolled: 1-line block ×4, first 2 shown]
	v_cmp_ne_u32_e32 vcc_lo, 0, v2
	v_not_b32_e32 v2, v3
	v_cmp_gt_i32_e64 s16, 0, v3
	v_not_b32_e32 v3, v4
	v_lshlrev_b32_e32 v7, 26, v1
	v_xor_b32_e32 v0, vcc_lo, v0
	v_ashrrev_i32_e32 v2, 31, v2
	v_cmp_gt_i32_e32 vcc_lo, 0, v4
	v_not_b32_e32 v4, v5
	v_ashrrev_i32_e32 v3, 31, v3
	v_and_b32_e32 v0, exec_lo, v0
	v_xor_b32_e32 v2, s16, v2
	v_cmp_gt_i32_e64 s16, 0, v5
	v_not_b32_e32 v5, v6
	v_ashrrev_i32_e32 v4, 31, v4
	v_xor_b32_e32 v3, vcc_lo, v3
	v_and_b32_e32 v0, v0, v2
	v_cmp_gt_i32_e32 vcc_lo, 0, v6
	v_not_b32_e32 v2, v7
	v_ashrrev_i32_e32 v5, 31, v5
	v_xor_b32_e32 v4, s16, v4
	v_and_b32_e32 v0, v0, v3
	v_lshlrev_b32_e32 v3, 25, v1
	v_cmp_gt_i32_e64 s16, 0, v7
	v_ashrrev_i32_e32 v2, 31, v2
	v_xor_b32_e32 v5, vcc_lo, v5
	v_and_b32_e32 v0, v0, v4
	v_not_b32_e32 v6, v3
	v_lshlrev_b32_e32 v1, 24, v1
	v_bfe_u32 v4, v32, s17, 8
	v_xor_b32_e32 v2, s16, v2
	v_and_b32_e32 v0, v0, v5
	v_cmp_gt_i32_e32 vcc_lo, 0, v3
	v_ashrrev_i32_e32 v3, 31, v6
	v_not_b32_e32 v5, v1
	v_mul_u32_u24_e32 v4, 6, v4
	v_and_b32_e32 v0, v0, v2
	s_delay_alu instid0(VALU_DEP_4) | instskip(SKIP_3) | instid1(VALU_DEP_4)
	v_xor_b32_e32 v2, vcc_lo, v3
	v_cmp_gt_i32_e32 vcc_lo, 0, v1
	v_ashrrev_i32_e32 v1, 31, v5
	v_add_lshl_u32 v3, v4, v24, 2
	v_and_b32_e32 v0, v0, v2
	s_delay_alu instid0(VALU_DEP_3) | instskip(SKIP_3) | instid1(VALU_DEP_1)
	v_xor_b32_e32 v1, vcc_lo, v1
	ds_load_b32 v39, v3 offset:24
	v_add_nc_u32_e32 v41, 24, v3
	; wave barrier
	v_and_b32_e32 v0, v0, v1
	v_mbcnt_lo_u32_b32 v40, v0, 0
	v_cmp_ne_u32_e64 s16, 0, v0
	s_delay_alu instid0(VALU_DEP_2) | instskip(NEXT) | instid1(VALU_DEP_2)
	v_cmp_eq_u32_e32 vcc_lo, 0, v40
	s_and_b32 s22, s16, vcc_lo
	s_delay_alu instid0(SALU_CYCLE_1)
	s_and_saveexec_b32 s16, s22
	s_cbranch_execz .LBB21_10
; %bb.9:                                ;   in Loop: Header=BB21_4 Depth=2
	s_waitcnt lgkmcnt(0)
	v_bcnt_u32_b32 v0, v0, v39
	ds_store_b32 v41, v0
.LBB21_10:                              ;   in Loop: Header=BB21_4 Depth=2
	s_or_b32 exec_lo, exec_lo, s16
	v_bfe_u32 v0, v30, s17, 1
	v_lshrrev_b32_e32 v1, s17, v30
	; wave barrier
	s_delay_alu instid0(VALU_DEP_2) | instskip(NEXT) | instid1(VALU_DEP_1)
	v_add_co_u32 v0, s16, v0, -1
	v_cndmask_b32_e64 v2, 0, 1, s16
	s_delay_alu instid0(VALU_DEP_3)
	v_lshlrev_b32_e32 v3, 30, v1
	v_lshlrev_b32_e32 v4, 29, v1
	;; [unrolled: 1-line block ×4, first 2 shown]
	v_cmp_ne_u32_e32 vcc_lo, 0, v2
	v_not_b32_e32 v2, v3
	v_cmp_gt_i32_e64 s16, 0, v3
	v_not_b32_e32 v3, v4
	v_lshlrev_b32_e32 v7, 26, v1
	v_xor_b32_e32 v0, vcc_lo, v0
	v_ashrrev_i32_e32 v2, 31, v2
	v_cmp_gt_i32_e32 vcc_lo, 0, v4
	v_not_b32_e32 v4, v5
	v_ashrrev_i32_e32 v3, 31, v3
	v_and_b32_e32 v0, exec_lo, v0
	v_xor_b32_e32 v2, s16, v2
	v_cmp_gt_i32_e64 s16, 0, v5
	v_not_b32_e32 v5, v6
	v_ashrrev_i32_e32 v4, 31, v4
	v_xor_b32_e32 v3, vcc_lo, v3
	v_and_b32_e32 v0, v0, v2
	v_cmp_gt_i32_e32 vcc_lo, 0, v6
	v_not_b32_e32 v2, v7
	v_ashrrev_i32_e32 v5, 31, v5
	v_xor_b32_e32 v4, s16, v4
	v_and_b32_e32 v0, v0, v3
	v_lshlrev_b32_e32 v3, 25, v1
	v_cmp_gt_i32_e64 s16, 0, v7
	v_ashrrev_i32_e32 v2, 31, v2
	v_xor_b32_e32 v5, vcc_lo, v5
	v_and_b32_e32 v0, v0, v4
	v_not_b32_e32 v6, v3
	v_lshlrev_b32_e32 v1, 24, v1
	v_bfe_u32 v4, v30, s17, 8
	v_xor_b32_e32 v2, s16, v2
	v_and_b32_e32 v0, v0, v5
	v_cmp_gt_i32_e32 vcc_lo, 0, v3
	v_ashrrev_i32_e32 v3, 31, v6
	v_not_b32_e32 v5, v1
	v_mul_u32_u24_e32 v4, 6, v4
	v_and_b32_e32 v0, v0, v2
	s_delay_alu instid0(VALU_DEP_4) | instskip(SKIP_3) | instid1(VALU_DEP_4)
	v_xor_b32_e32 v2, vcc_lo, v3
	v_cmp_gt_i32_e32 vcc_lo, 0, v1
	v_ashrrev_i32_e32 v1, 31, v5
	v_add_lshl_u32 v3, v4, v24, 2
	v_and_b32_e32 v0, v0, v2
	s_delay_alu instid0(VALU_DEP_3) | instskip(SKIP_3) | instid1(VALU_DEP_1)
	v_xor_b32_e32 v1, vcc_lo, v1
	ds_load_b32 v42, v3 offset:24
	v_add_nc_u32_e32 v44, 24, v3
	; wave barrier
	v_and_b32_e32 v0, v0, v1
	v_mbcnt_lo_u32_b32 v43, v0, 0
	v_cmp_ne_u32_e64 s16, 0, v0
	s_delay_alu instid0(VALU_DEP_2) | instskip(NEXT) | instid1(VALU_DEP_2)
	v_cmp_eq_u32_e32 vcc_lo, 0, v43
	s_and_b32 s22, s16, vcc_lo
	s_delay_alu instid0(SALU_CYCLE_1)
	s_and_saveexec_b32 s16, s22
	s_cbranch_execz .LBB21_12
; %bb.11:                               ;   in Loop: Header=BB21_4 Depth=2
	s_waitcnt lgkmcnt(0)
	v_bcnt_u32_b32 v0, v0, v42
	ds_store_b32 v44, v0
.LBB21_12:                              ;   in Loop: Header=BB21_4 Depth=2
	s_or_b32 exec_lo, exec_lo, s16
	; wave barrier
	s_waitcnt lgkmcnt(0)
	s_barrier
	buffer_gl0_inv
	ds_load_2addr_b64 v[4:7], v17 offset0:3 offset1:4
	ds_load_2addr_b64 v[0:3], v18 offset0:2 offset1:3
	s_waitcnt lgkmcnt(1)
	v_add_nc_u32_e32 v45, v5, v4
	s_delay_alu instid0(VALU_DEP_1) | instskip(SKIP_1) | instid1(VALU_DEP_1)
	v_add3_u32 v45, v45, v6, v7
	s_waitcnt lgkmcnt(0)
	v_add3_u32 v45, v45, v0, v1
	s_delay_alu instid0(VALU_DEP_1) | instskip(NEXT) | instid1(VALU_DEP_1)
	v_add3_u32 v3, v45, v2, v3
	v_mov_b32_dpp v45, v3 row_shr:1 row_mask:0xf bank_mask:0xf
	s_delay_alu instid0(VALU_DEP_1) | instskip(NEXT) | instid1(VALU_DEP_1)
	v_cndmask_b32_e64 v45, v45, 0, s4
	v_add_nc_u32_e32 v3, v45, v3
	s_delay_alu instid0(VALU_DEP_1) | instskip(NEXT) | instid1(VALU_DEP_1)
	v_mov_b32_dpp v45, v3 row_shr:2 row_mask:0xf bank_mask:0xf
	v_cndmask_b32_e64 v45, 0, v45, s5
	s_delay_alu instid0(VALU_DEP_1) | instskip(NEXT) | instid1(VALU_DEP_1)
	v_add_nc_u32_e32 v3, v3, v45
	v_mov_b32_dpp v45, v3 row_shr:4 row_mask:0xf bank_mask:0xf
	s_delay_alu instid0(VALU_DEP_1) | instskip(NEXT) | instid1(VALU_DEP_1)
	v_cndmask_b32_e64 v45, 0, v45, s6
	v_add_nc_u32_e32 v3, v3, v45
	s_delay_alu instid0(VALU_DEP_1) | instskip(NEXT) | instid1(VALU_DEP_1)
	v_mov_b32_dpp v45, v3 row_shr:8 row_mask:0xf bank_mask:0xf
	v_cndmask_b32_e64 v45, 0, v45, s7
	s_delay_alu instid0(VALU_DEP_1) | instskip(SKIP_3) | instid1(VALU_DEP_1)
	v_add_nc_u32_e32 v3, v3, v45
	ds_swizzle_b32 v45, v3 offset:swizzle(BROADCAST,32,15)
	s_waitcnt lgkmcnt(0)
	v_cndmask_b32_e64 v45, v45, 0, s8
	v_add_nc_u32_e32 v3, v3, v45
	s_and_saveexec_b32 s16, s15
	s_cbranch_execz .LBB21_14
; %bb.13:                               ;   in Loop: Header=BB21_4 Depth=2
	ds_store_b32 v19, v3
.LBB21_14:                              ;   in Loop: Header=BB21_4 Depth=2
	s_or_b32 exec_lo, exec_lo, s16
	s_waitcnt lgkmcnt(0)
	s_barrier
	buffer_gl0_inv
	s_and_saveexec_b32 s16, s9
	s_cbranch_execz .LBB21_16
; %bb.15:                               ;   in Loop: Header=BB21_4 Depth=2
	ds_load_b32 v45, v21
	s_waitcnt lgkmcnt(0)
	v_mov_b32_dpp v46, v45 row_shr:1 row_mask:0xf bank_mask:0xf
	s_delay_alu instid0(VALU_DEP_1) | instskip(NEXT) | instid1(VALU_DEP_1)
	v_cndmask_b32_e64 v46, v46, 0, s12
	v_add_nc_u32_e32 v45, v46, v45
	s_delay_alu instid0(VALU_DEP_1) | instskip(NEXT) | instid1(VALU_DEP_1)
	v_mov_b32_dpp v46, v45 row_shr:2 row_mask:0xf bank_mask:0xf
	v_cndmask_b32_e64 v46, 0, v46, s13
	s_delay_alu instid0(VALU_DEP_1) | instskip(NEXT) | instid1(VALU_DEP_1)
	v_add_nc_u32_e32 v45, v45, v46
	v_mov_b32_dpp v46, v45 row_shr:4 row_mask:0xf bank_mask:0xf
	s_delay_alu instid0(VALU_DEP_1) | instskip(NEXT) | instid1(VALU_DEP_1)
	v_cndmask_b32_e64 v46, 0, v46, s14
	v_add_nc_u32_e32 v45, v45, v46
	ds_store_b32 v21, v45
.LBB21_16:                              ;   in Loop: Header=BB21_4 Depth=2
	s_or_b32 exec_lo, exec_lo, s16
	v_mov_b32_e32 v45, 0
	s_waitcnt lgkmcnt(0)
	s_barrier
	buffer_gl0_inv
	s_and_saveexec_b32 s16, s10
	s_cbranch_execz .LBB21_18
; %bb.17:                               ;   in Loop: Header=BB21_4 Depth=2
	ds_load_b32 v45, v22
.LBB21_18:                              ;   in Loop: Header=BB21_4 Depth=2
	s_or_b32 exec_lo, exec_lo, s16
	s_waitcnt lgkmcnt(0)
	v_add_nc_u32_e32 v3, v45, v3
	s_cmp_gt_u32 s17, 23
	ds_bpermute_b32 v3, v20, v3
	s_waitcnt lgkmcnt(0)
	v_cndmask_b32_e64 v3, v3, v45, s0
	s_delay_alu instid0(VALU_DEP_1) | instskip(NEXT) | instid1(VALU_DEP_1)
	v_cndmask_b32_e64 v3, v3, 0, s11
	v_add_nc_u32_e32 v4, v3, v4
	s_delay_alu instid0(VALU_DEP_1) | instskip(NEXT) | instid1(VALU_DEP_1)
	v_add_nc_u32_e32 v5, v4, v5
	v_add_nc_u32_e32 v6, v5, v6
	s_delay_alu instid0(VALU_DEP_1) | instskip(NEXT) | instid1(VALU_DEP_1)
	v_add_nc_u32_e32 v45, v6, v7
	;; [unrolled: 3-line block ×3, first 2 shown]
	v_add_nc_u32_e32 v1, v0, v2
	ds_store_2addr_b64 v17, v[3:4], v[5:6] offset0:3 offset1:4
	ds_store_2addr_b64 v18, v[45:46], v[0:1] offset0:2 offset1:3
	s_waitcnt lgkmcnt(0)
	s_barrier
	buffer_gl0_inv
	ds_load_b32 v0, v35
	ds_load_b32 v1, v38
	ds_load_b32 v2, v41
	ds_load_b32 v3, v44
	s_waitcnt lgkmcnt(3)
	v_add_nc_u32_e32 v38, v0, v34
	s_waitcnt lgkmcnt(2)
	v_add3_u32 v36, v37, v36, v1
	s_waitcnt lgkmcnt(1)
	v_add3_u32 v35, v40, v39, v2
	;; [unrolled: 2-line block ×3, first 2 shown]
	s_cbranch_scc0 .LBB21_3
; %bb.19:                               ;   in Loop: Header=BB21_2 Depth=1
                                        ; implicit-def: $vgpr3
                                        ; implicit-def: $vgpr1
                                        ; implicit-def: $vgpr7
                                        ; implicit-def: $vgpr5
                                        ; implicit-def: $sgpr17
	s_branch .LBB21_1
.LBB21_20:
	s_waitcnt lgkmcnt(0)
	v_add_nc_u32_e32 v0, v5, v0
	v_lshlrev_b32_e32 v5, 2, v8
	v_add_nc_u32_e32 v1, v6, v1
	v_add_nc_u32_e32 v2, v7, v2
	s_add_u32 s0, s18, s20
	v_add_nc_u32_e32 v3, v4, v3
	s_addc_u32 s1, s19, s21
	s_clause 0x3
	global_store_b32 v5, v0, s[0:1]
	global_store_b32 v5, v1, s[0:1] offset:768
	global_store_b32 v5, v2, s[0:1] offset:1536
	;; [unrolled: 1-line block ×3, first 2 shown]
	s_nop 0
	s_sendmsg sendmsg(MSG_DEALLOC_VGPRS)
	s_endpgm
	.section	.rodata,"a",@progbits
	.p2align	6, 0x0
	.amdhsa_kernel _Z17sort_pairs_kernelI22helper_blocked_blockediLj192ELj4ELj10EEvPKT0_PS1_
		.amdhsa_group_segment_fixed_size 6176
		.amdhsa_private_segment_fixed_size 0
		.amdhsa_kernarg_size 272
		.amdhsa_user_sgpr_count 15
		.amdhsa_user_sgpr_dispatch_ptr 0
		.amdhsa_user_sgpr_queue_ptr 0
		.amdhsa_user_sgpr_kernarg_segment_ptr 1
		.amdhsa_user_sgpr_dispatch_id 0
		.amdhsa_user_sgpr_private_segment_size 0
		.amdhsa_wavefront_size32 1
		.amdhsa_uses_dynamic_stack 0
		.amdhsa_enable_private_segment 0
		.amdhsa_system_sgpr_workgroup_id_x 1
		.amdhsa_system_sgpr_workgroup_id_y 0
		.amdhsa_system_sgpr_workgroup_id_z 0
		.amdhsa_system_sgpr_workgroup_info 0
		.amdhsa_system_vgpr_workitem_id 2
		.amdhsa_next_free_vgpr 47
		.amdhsa_next_free_sgpr 24
		.amdhsa_reserve_vcc 1
		.amdhsa_float_round_mode_32 0
		.amdhsa_float_round_mode_16_64 0
		.amdhsa_float_denorm_mode_32 3
		.amdhsa_float_denorm_mode_16_64 3
		.amdhsa_dx10_clamp 1
		.amdhsa_ieee_mode 1
		.amdhsa_fp16_overflow 0
		.amdhsa_workgroup_processor_mode 1
		.amdhsa_memory_ordered 1
		.amdhsa_forward_progress 0
		.amdhsa_shared_vgpr_count 0
		.amdhsa_exception_fp_ieee_invalid_op 0
		.amdhsa_exception_fp_denorm_src 0
		.amdhsa_exception_fp_ieee_div_zero 0
		.amdhsa_exception_fp_ieee_overflow 0
		.amdhsa_exception_fp_ieee_underflow 0
		.amdhsa_exception_fp_ieee_inexact 0
		.amdhsa_exception_int_div_zero 0
	.end_amdhsa_kernel
	.section	.text._Z17sort_pairs_kernelI22helper_blocked_blockediLj192ELj4ELj10EEvPKT0_PS1_,"axG",@progbits,_Z17sort_pairs_kernelI22helper_blocked_blockediLj192ELj4ELj10EEvPKT0_PS1_,comdat
.Lfunc_end21:
	.size	_Z17sort_pairs_kernelI22helper_blocked_blockediLj192ELj4ELj10EEvPKT0_PS1_, .Lfunc_end21-_Z17sort_pairs_kernelI22helper_blocked_blockediLj192ELj4ELj10EEvPKT0_PS1_
                                        ; -- End function
	.section	.AMDGPU.csdata,"",@progbits
; Kernel info:
; codeLenInByte = 3492
; NumSgprs: 26
; NumVgprs: 47
; ScratchSize: 0
; MemoryBound: 0
; FloatMode: 240
; IeeeMode: 1
; LDSByteSize: 6176 bytes/workgroup (compile time only)
; SGPRBlocks: 3
; VGPRBlocks: 5
; NumSGPRsForWavesPerEU: 26
; NumVGPRsForWavesPerEU: 47
; Occupancy: 15
; WaveLimiterHint : 1
; COMPUTE_PGM_RSRC2:SCRATCH_EN: 0
; COMPUTE_PGM_RSRC2:USER_SGPR: 15
; COMPUTE_PGM_RSRC2:TRAP_HANDLER: 0
; COMPUTE_PGM_RSRC2:TGID_X_EN: 1
; COMPUTE_PGM_RSRC2:TGID_Y_EN: 0
; COMPUTE_PGM_RSRC2:TGID_Z_EN: 0
; COMPUTE_PGM_RSRC2:TIDIG_COMP_CNT: 2
	.section	.text._Z16sort_keys_kernelI22helper_blocked_blockediLj192ELj8ELj10EEvPKT0_PS1_,"axG",@progbits,_Z16sort_keys_kernelI22helper_blocked_blockediLj192ELj8ELj10EEvPKT0_PS1_,comdat
	.protected	_Z16sort_keys_kernelI22helper_blocked_blockediLj192ELj8ELj10EEvPKT0_PS1_ ; -- Begin function _Z16sort_keys_kernelI22helper_blocked_blockediLj192ELj8ELj10EEvPKT0_PS1_
	.globl	_Z16sort_keys_kernelI22helper_blocked_blockediLj192ELj8ELj10EEvPKT0_PS1_
	.p2align	8
	.type	_Z16sort_keys_kernelI22helper_blocked_blockediLj192ELj8ELj10EEvPKT0_PS1_,@function
_Z16sort_keys_kernelI22helper_blocked_blockediLj192ELj8ELj10EEvPKT0_PS1_: ; @_Z16sort_keys_kernelI22helper_blocked_blockediLj192ELj8ELj10EEvPKT0_PS1_
; %bb.0:
	s_clause 0x1
	s_load_b128 s[16:19], s[0:1], 0x0
	s_load_b32 s2, s[0:1], 0x1c
	v_mbcnt_lo_u32_b32 v11, -1, 0
	v_and_b32_e32 v8, 0x3ff, v0
	s_mov_b32 s21, 0
	s_mul_i32 s20, s15, 0x600
	s_delay_alu instid0(SALU_CYCLE_1) | instskip(SKIP_4) | instid1(VALU_DEP_2)
	s_lshl_b64 s[14:15], s[20:21], 2
	s_mov_b32 s20, s21
	v_lshlrev_b32_e32 v1, 2, v8
	v_and_b32_e32 v12, 0xe0, v8
	v_cmp_eq_u32_e64 s8, 0, v11
	v_or_b32_e32 v14, v11, v12
	s_delay_alu instid0(VALU_DEP_1) | instskip(SKIP_4) | instid1(VALU_DEP_1)
	v_lshlrev_b32_e32 v14, 5, v14
	s_waitcnt lgkmcnt(0)
	s_add_u32 s0, s16, s14
	s_addc_u32 s1, s17, s15
	v_add_co_u32 v2, s3, s0, v1
	v_add_co_ci_u32_e64 v3, null, s1, 0, s3
	s_mov_b32 s16, s21
	s_delay_alu instid0(VALU_DEP_2) | instskip(NEXT) | instid1(VALU_DEP_2)
	v_add_co_u32 v9, vcc_lo, 0x1000, v2
	v_add_co_ci_u32_e32 v10, vcc_lo, 0, v3, vcc_lo
	s_clause 0x7
	global_load_b32 v2, v1, s[0:1]
	global_load_b32 v3, v1, s[0:1] offset:768
	global_load_b32 v4, v1, s[0:1] offset:1536
	;; [unrolled: 1-line block ×5, first 2 shown]
	global_load_b32 v23, v[9:10], off offset:512
	global_load_b32 v1, v[9:10], off offset:1280
	v_bfe_u32 v9, v0, 10, 10
	v_bfe_u32 v0, v0, 20, 10
	s_lshr_b32 s0, s2, 16
	s_mov_b32 s17, s21
	v_lshlrev_b32_e32 v13, 3, v8
	s_delay_alu instid0(VALU_DEP_2)
	v_mad_u32_u24 v0, v0, s0, v9
	s_and_b32 s0, s2, 0xffff
	s_delay_alu instid0(VALU_DEP_1) | instid1(SALU_CYCLE_1)
	v_mad_u64_u32 v[9:10], null, v0, s0, v[8:9]
	s_delay_alu instid0(VALU_DEP_3) | instskip(SKIP_1) | instid1(VALU_DEP_2)
	v_and_or_b32 v0, 0x700, v13, v11
	v_and_b32_e32 v10, 15, v11
	v_lshlrev_b32_e32 v15, 2, v0
	v_min_u32_e32 v0, 0xa0, v12
	v_add_nc_u32_e32 v12, -1, v11
	v_lshrrev_b32_e32 v17, 5, v9
	v_and_b32_e32 v9, 16, v11
	s_delay_alu instid0(VALU_DEP_4) | instskip(NEXT) | instid1(VALU_DEP_4)
	v_or_b32_e32 v0, 31, v0
	v_cmp_gt_i32_e32 vcc_lo, 0, v12
	s_delay_alu instid0(VALU_DEP_3)
	v_cmp_eq_u32_e64 s4, 0, v9
	v_cndmask_b32_e32 v9, v12, v11, vcc_lo
	v_lshlrev_b32_e32 v13, 5, v8
	v_cmp_eq_u32_e64 s5, v0, v8
	v_lshrrev_b32_e32 v0, 3, v8
	v_cmp_gt_u32_e64 s6, 6, v8
	v_lshlrev_b32_e32 v18, 2, v9
	v_and_b32_e32 v9, 7, v11
	v_mov_b32_e32 v11, s16
	v_and_b32_e32 v19, 28, v0
	v_mad_i32_i24 v20, 0xffffffe4, v8, v13
	v_mul_u32_u24_e32 v0, 28, v8
	v_cmp_eq_u32_e64 s0, 0, v10
	v_cmp_lt_u32_e64 s1, 1, v10
	v_cmp_lt_u32_e64 s2, 3, v10
	;; [unrolled: 1-line block ×3, first 2 shown]
	v_cmp_eq_u32_e64 s10, 0, v9
	v_cmp_lt_u32_e64 s11, 1, v9
	v_cmp_lt_u32_e64 s12, 3, v9
	v_mov_b32_e32 v9, s20
	v_or_b32_e32 v16, 24, v13
	v_cmp_lt_u32_e64 s7, 31, v8
	v_cmp_eq_u32_e64 s9, 0, v8
	v_dual_mov_b32 v10, s21 :: v_dual_add_nc_u32 v21, -4, v19
	v_mov_b32_e32 v12, s17
	v_add_nc_u32_e32 v22, v20, v0
	s_branch .LBB22_2
.LBB22_1:                               ;   in Loop: Header=BB22_2 Depth=1
	v_lshlrev_b32_e32 v0, 2, v41
	v_lshlrev_b32_e32 v1, 2, v38
	;; [unrolled: 1-line block ×3, first 2 shown]
	s_barrier
	buffer_gl0_inv
	ds_store_b32 v0, v23
	ds_store_b32 v1, v30
	;; [unrolled: 1-line block ×3, first 2 shown]
	v_lshlrev_b32_e32 v0, 2, v35
	v_lshlrev_b32_e32 v1, 2, v34
	;; [unrolled: 1-line block ×5, first 2 shown]
	ds_store_b32 v0, v28
	ds_store_b32 v1, v27
	;; [unrolled: 1-line block ×5, first 2 shown]
	s_waitcnt lgkmcnt(0)
	s_barrier
	buffer_gl0_inv
	ds_load_2addr_b64 v[2:5], v22 offset1:1
	ds_load_2addr_b64 v[23:26], v22 offset0:2 offset1:3
	s_add_i32 s21, s21, 1
	s_delay_alu instid0(SALU_CYCLE_1)
	s_cmp_eq_u32 s21, 10
	s_waitcnt lgkmcnt(1)
	v_xor_b32_e32 v2, 0x80000000, v2
	v_xor_b32_e32 v3, 0x80000000, v3
	;; [unrolled: 1-line block ×4, first 2 shown]
	s_waitcnt lgkmcnt(0)
	v_xor_b32_e32 v6, 0x80000000, v23
	v_xor_b32_e32 v7, 0x80000000, v24
	;; [unrolled: 1-line block ×4, first 2 shown]
	s_cbranch_scc1 .LBB22_28
.LBB22_2:                               ; =>This Loop Header: Depth=1
                                        ;     Child Loop BB22_4 Depth 2
	s_waitcnt vmcnt(7)
	v_xor_b32_e32 v2, 0x80000000, v2
	s_waitcnt vmcnt(6)
	v_xor_b32_e32 v3, 0x80000000, v3
	;; [unrolled: 2-line block ×8, first 2 shown]
	ds_store_2addr_b64 v14, v[2:3], v[4:5] offset1:1
	ds_store_2addr_b64 v14, v[6:7], v[0:1] offset0:2 offset1:3
	; wave barrier
	ds_load_2addr_b32 v[0:1], v15 offset1:32
	ds_load_2addr_b32 v[2:3], v15 offset0:64 offset1:96
	ds_load_2addr_b32 v[4:5], v15 offset0:128 offset1:160
	;; [unrolled: 1-line block ×3, first 2 shown]
	s_mov_b32 s16, 0
	s_waitcnt lgkmcnt(0)
	s_barrier
	buffer_gl0_inv
	; wave barrier
	s_barrier
	s_branch .LBB22_4
.LBB22_3:                               ;   in Loop: Header=BB22_4 Depth=2
	v_lshlrev_b32_e32 v0, 2, v41
	v_lshlrev_b32_e32 v1, 2, v38
	;; [unrolled: 1-line block ×3, first 2 shown]
	s_barrier
	buffer_gl0_inv
	ds_store_b32 v0, v23
	ds_store_b32 v1, v30
	;; [unrolled: 1-line block ×3, first 2 shown]
	v_lshlrev_b32_e32 v0, 2, v35
	v_lshlrev_b32_e32 v1, 2, v34
	v_lshlrev_b32_e32 v2, 2, v33
	v_lshlrev_b32_e32 v3, 2, v32
	v_lshlrev_b32_e32 v4, 2, v31
	ds_store_b32 v0, v28
	ds_store_b32 v1, v27
	;; [unrolled: 1-line block ×5, first 2 shown]
	s_waitcnt lgkmcnt(0)
	s_barrier
	buffer_gl0_inv
	ds_load_2addr_b32 v[0:1], v15 offset1:32
	ds_load_2addr_b32 v[2:3], v15 offset0:64 offset1:96
	ds_load_2addr_b32 v[4:5], v15 offset0:128 offset1:160
	;; [unrolled: 1-line block ×3, first 2 shown]
	s_add_i32 s16, s16, 8
	s_waitcnt lgkmcnt(0)
	s_barrier
	s_cbranch_execz .LBB22_1
.LBB22_4:                               ;   Parent Loop BB22_2 Depth=1
                                        ; =>  This Inner Loop Header: Depth=2
	v_mov_b32_e32 v23, v0
	buffer_gl0_inv
	ds_store_2addr_b64 v13, v[9:10], v[11:12] offset0:3 offset1:4
	ds_store_2addr_b64 v16, v[9:10], v[11:12] offset0:2 offset1:3
	s_waitcnt lgkmcnt(0)
	s_barrier
	v_lshrrev_b32_e32 v24, s16, v23
	buffer_gl0_inv
	; wave barrier
	v_lshlrev_b32_e32 v26, 30, v24
	v_bfe_u32 v0, v23, s16, 1
	v_lshlrev_b32_e32 v27, 29, v24
	v_lshlrev_b32_e32 v28, 28, v24
	;; [unrolled: 1-line block ×4, first 2 shown]
	v_add_co_u32 v0, s13, v0, -1
	s_delay_alu instid0(VALU_DEP_1) | instskip(SKIP_3) | instid1(VALU_DEP_4)
	v_cndmask_b32_e64 v25, 0, 1, s13
	v_cmp_gt_i32_e64 s13, 0, v26
	v_lshlrev_b32_e32 v31, 25, v24
	v_lshlrev_b32_e32 v24, 24, v24
	v_cmp_ne_u32_e32 vcc_lo, 0, v25
	v_not_b32_e32 v25, v26
	v_not_b32_e32 v26, v27
	v_xor_b32_e32 v0, vcc_lo, v0
	s_delay_alu instid0(VALU_DEP_3)
	v_ashrrev_i32_e32 v25, 31, v25
	v_cmp_gt_i32_e32 vcc_lo, 0, v27
	v_not_b32_e32 v27, v28
	v_ashrrev_i32_e32 v26, 31, v26
	v_and_b32_e32 v0, exec_lo, v0
	v_xor_b32_e32 v25, s13, v25
	v_cmp_gt_i32_e64 s13, 0, v28
	v_not_b32_e32 v28, v29
	v_ashrrev_i32_e32 v27, 31, v27
	v_xor_b32_e32 v26, vcc_lo, v26
	v_and_b32_e32 v0, v0, v25
	v_cmp_gt_i32_e32 vcc_lo, 0, v29
	v_mov_b32_e32 v29, v2
	v_ashrrev_i32_e32 v28, 31, v28
	v_xor_b32_e32 v27, s13, v27
	v_and_b32_e32 v0, v0, v26
	v_not_b32_e32 v25, v30
	v_cmp_gt_i32_e64 s13, 0, v30
	v_xor_b32_e32 v28, vcc_lo, v28
	v_mov_b32_e32 v30, v1
	v_and_b32_e32 v0, v0, v27
	v_ashrrev_i32_e32 v25, 31, v25
	v_not_b32_e32 v27, v24
	v_bfe_u32 v1, v23, s16, 8
	s_delay_alu instid0(VALU_DEP_4)
	v_and_b32_e32 v0, v0, v28
	v_mov_b32_e32 v28, v3
	v_not_b32_e32 v26, v31
	v_cmp_gt_i32_e32 vcc_lo, 0, v31
	v_xor_b32_e32 v25, s13, v25
	v_cmp_gt_i32_e64 s13, 0, v24
	v_ashrrev_i32_e32 v27, 31, v27
	v_ashrrev_i32_e32 v26, 31, v26
	v_mov_b32_e32 v24, v7
	v_and_b32_e32 v0, v0, v25
	v_mad_u32_u24 v1, v1, 6, v17
	v_xor_b32_e32 v7, s13, v27
	v_xor_b32_e32 v26, vcc_lo, v26
	v_mov_b32_e32 v25, v6
	v_mov_b32_e32 v27, v4
	v_lshl_add_u32 v32, v1, 2, 24
	s_delay_alu instid0(VALU_DEP_4) | instskip(SKIP_1) | instid1(VALU_DEP_2)
	v_and_b32_e32 v0, v0, v26
	v_mov_b32_e32 v26, v5
	v_and_b32_e32 v0, v0, v7
	s_delay_alu instid0(VALU_DEP_1) | instskip(SKIP_1) | instid1(VALU_DEP_2)
	v_mbcnt_lo_u32_b32 v31, v0, 0
	v_cmp_ne_u32_e64 s13, 0, v0
	v_cmp_eq_u32_e32 vcc_lo, 0, v31
	s_delay_alu instid0(VALU_DEP_2) | instskip(NEXT) | instid1(SALU_CYCLE_1)
	s_and_b32 s17, s13, vcc_lo
	s_and_saveexec_b32 s13, s17
	s_cbranch_execz .LBB22_6
; %bb.5:                                ;   in Loop: Header=BB22_4 Depth=2
	v_bcnt_u32_b32 v0, v0, 0
	ds_store_b32 v32, v0
.LBB22_6:                               ;   in Loop: Header=BB22_4 Depth=2
	s_or_b32 exec_lo, exec_lo, s13
	v_bfe_u32 v0, v30, s16, 1
	v_lshrrev_b32_e32 v1, s16, v30
	; wave barrier
	s_delay_alu instid0(VALU_DEP_2) | instskip(NEXT) | instid1(VALU_DEP_1)
	v_add_co_u32 v0, s13, v0, -1
	v_cndmask_b32_e64 v2, 0, 1, s13
	s_delay_alu instid0(VALU_DEP_3)
	v_lshlrev_b32_e32 v3, 30, v1
	v_lshlrev_b32_e32 v4, 29, v1
	;; [unrolled: 1-line block ×4, first 2 shown]
	v_cmp_ne_u32_e32 vcc_lo, 0, v2
	v_not_b32_e32 v2, v3
	v_cmp_gt_i32_e64 s13, 0, v3
	v_not_b32_e32 v3, v4
	v_lshlrev_b32_e32 v7, 26, v1
	v_xor_b32_e32 v0, vcc_lo, v0
	v_ashrrev_i32_e32 v2, 31, v2
	v_cmp_gt_i32_e32 vcc_lo, 0, v4
	v_not_b32_e32 v4, v5
	v_ashrrev_i32_e32 v3, 31, v3
	v_and_b32_e32 v0, exec_lo, v0
	v_xor_b32_e32 v2, s13, v2
	v_cmp_gt_i32_e64 s13, 0, v5
	v_not_b32_e32 v5, v6
	v_ashrrev_i32_e32 v4, 31, v4
	v_xor_b32_e32 v3, vcc_lo, v3
	v_and_b32_e32 v0, v0, v2
	v_cmp_gt_i32_e32 vcc_lo, 0, v6
	v_not_b32_e32 v2, v7
	v_ashrrev_i32_e32 v5, 31, v5
	v_xor_b32_e32 v4, s13, v4
	v_and_b32_e32 v0, v0, v3
	v_lshlrev_b32_e32 v3, 25, v1
	v_cmp_gt_i32_e64 s13, 0, v7
	v_ashrrev_i32_e32 v2, 31, v2
	v_xor_b32_e32 v5, vcc_lo, v5
	v_and_b32_e32 v0, v0, v4
	v_not_b32_e32 v6, v3
	v_lshlrev_b32_e32 v1, 24, v1
	v_bfe_u32 v4, v30, s16, 8
	v_xor_b32_e32 v2, s13, v2
	v_and_b32_e32 v0, v0, v5
	v_cmp_gt_i32_e32 vcc_lo, 0, v3
	v_ashrrev_i32_e32 v3, 31, v6
	v_not_b32_e32 v5, v1
	v_mul_u32_u24_e32 v4, 6, v4
	v_and_b32_e32 v0, v0, v2
	s_delay_alu instid0(VALU_DEP_4) | instskip(SKIP_3) | instid1(VALU_DEP_4)
	v_xor_b32_e32 v2, vcc_lo, v3
	v_cmp_gt_i32_e32 vcc_lo, 0, v1
	v_ashrrev_i32_e32 v1, 31, v5
	v_add_lshl_u32 v3, v4, v17, 2
	v_and_b32_e32 v0, v0, v2
	s_delay_alu instid0(VALU_DEP_3) | instskip(SKIP_3) | instid1(VALU_DEP_1)
	v_xor_b32_e32 v1, vcc_lo, v1
	ds_load_b32 v33, v3 offset:24
	v_add_nc_u32_e32 v35, 24, v3
	; wave barrier
	v_and_b32_e32 v0, v0, v1
	v_mbcnt_lo_u32_b32 v34, v0, 0
	v_cmp_ne_u32_e64 s13, 0, v0
	s_delay_alu instid0(VALU_DEP_2) | instskip(NEXT) | instid1(VALU_DEP_2)
	v_cmp_eq_u32_e32 vcc_lo, 0, v34
	s_and_b32 s17, s13, vcc_lo
	s_delay_alu instid0(SALU_CYCLE_1)
	s_and_saveexec_b32 s13, s17
	s_cbranch_execz .LBB22_8
; %bb.7:                                ;   in Loop: Header=BB22_4 Depth=2
	s_waitcnt lgkmcnt(0)
	v_bcnt_u32_b32 v0, v0, v33
	ds_store_b32 v35, v0
.LBB22_8:                               ;   in Loop: Header=BB22_4 Depth=2
	s_or_b32 exec_lo, exec_lo, s13
	v_bfe_u32 v0, v29, s16, 1
	v_lshrrev_b32_e32 v1, s16, v29
	; wave barrier
	s_delay_alu instid0(VALU_DEP_2) | instskip(NEXT) | instid1(VALU_DEP_1)
	v_add_co_u32 v0, s13, v0, -1
	v_cndmask_b32_e64 v2, 0, 1, s13
	s_delay_alu instid0(VALU_DEP_3)
	v_lshlrev_b32_e32 v3, 30, v1
	v_lshlrev_b32_e32 v4, 29, v1
	;; [unrolled: 1-line block ×4, first 2 shown]
	v_cmp_ne_u32_e32 vcc_lo, 0, v2
	v_not_b32_e32 v2, v3
	v_cmp_gt_i32_e64 s13, 0, v3
	v_not_b32_e32 v3, v4
	v_lshlrev_b32_e32 v7, 26, v1
	v_xor_b32_e32 v0, vcc_lo, v0
	v_ashrrev_i32_e32 v2, 31, v2
	v_cmp_gt_i32_e32 vcc_lo, 0, v4
	v_not_b32_e32 v4, v5
	v_ashrrev_i32_e32 v3, 31, v3
	v_and_b32_e32 v0, exec_lo, v0
	v_xor_b32_e32 v2, s13, v2
	v_cmp_gt_i32_e64 s13, 0, v5
	v_not_b32_e32 v5, v6
	v_ashrrev_i32_e32 v4, 31, v4
	v_xor_b32_e32 v3, vcc_lo, v3
	v_and_b32_e32 v0, v0, v2
	v_cmp_gt_i32_e32 vcc_lo, 0, v6
	v_not_b32_e32 v2, v7
	v_ashrrev_i32_e32 v5, 31, v5
	v_xor_b32_e32 v4, s13, v4
	v_and_b32_e32 v0, v0, v3
	v_lshlrev_b32_e32 v3, 25, v1
	v_cmp_gt_i32_e64 s13, 0, v7
	v_ashrrev_i32_e32 v2, 31, v2
	v_xor_b32_e32 v5, vcc_lo, v5
	v_and_b32_e32 v0, v0, v4
	v_not_b32_e32 v6, v3
	v_lshlrev_b32_e32 v1, 24, v1
	v_bfe_u32 v4, v29, s16, 8
	v_xor_b32_e32 v2, s13, v2
	v_and_b32_e32 v0, v0, v5
	v_cmp_gt_i32_e32 vcc_lo, 0, v3
	v_ashrrev_i32_e32 v3, 31, v6
	v_not_b32_e32 v5, v1
	v_mul_u32_u24_e32 v4, 6, v4
	v_and_b32_e32 v0, v0, v2
	s_delay_alu instid0(VALU_DEP_4) | instskip(SKIP_3) | instid1(VALU_DEP_4)
	v_xor_b32_e32 v2, vcc_lo, v3
	v_cmp_gt_i32_e32 vcc_lo, 0, v1
	v_ashrrev_i32_e32 v1, 31, v5
	v_add_lshl_u32 v3, v4, v17, 2
	v_and_b32_e32 v0, v0, v2
	s_delay_alu instid0(VALU_DEP_3) | instskip(SKIP_3) | instid1(VALU_DEP_1)
	v_xor_b32_e32 v1, vcc_lo, v1
	ds_load_b32 v36, v3 offset:24
	v_add_nc_u32_e32 v38, 24, v3
	; wave barrier
	v_and_b32_e32 v0, v0, v1
	v_mbcnt_lo_u32_b32 v37, v0, 0
	v_cmp_ne_u32_e64 s13, 0, v0
	s_delay_alu instid0(VALU_DEP_2) | instskip(NEXT) | instid1(VALU_DEP_2)
	v_cmp_eq_u32_e32 vcc_lo, 0, v37
	s_and_b32 s17, s13, vcc_lo
	s_delay_alu instid0(SALU_CYCLE_1)
	s_and_saveexec_b32 s13, s17
	s_cbranch_execz .LBB22_10
; %bb.9:                                ;   in Loop: Header=BB22_4 Depth=2
	s_waitcnt lgkmcnt(0)
	v_bcnt_u32_b32 v0, v0, v36
	ds_store_b32 v38, v0
.LBB22_10:                              ;   in Loop: Header=BB22_4 Depth=2
	s_or_b32 exec_lo, exec_lo, s13
	v_bfe_u32 v0, v28, s16, 1
	v_lshrrev_b32_e32 v1, s16, v28
	; wave barrier
	s_delay_alu instid0(VALU_DEP_2) | instskip(NEXT) | instid1(VALU_DEP_1)
	v_add_co_u32 v0, s13, v0, -1
	v_cndmask_b32_e64 v2, 0, 1, s13
	s_delay_alu instid0(VALU_DEP_3)
	v_lshlrev_b32_e32 v3, 30, v1
	v_lshlrev_b32_e32 v4, 29, v1
	;; [unrolled: 1-line block ×4, first 2 shown]
	v_cmp_ne_u32_e32 vcc_lo, 0, v2
	v_not_b32_e32 v2, v3
	v_cmp_gt_i32_e64 s13, 0, v3
	v_not_b32_e32 v3, v4
	v_lshlrev_b32_e32 v7, 26, v1
	v_xor_b32_e32 v0, vcc_lo, v0
	v_ashrrev_i32_e32 v2, 31, v2
	v_cmp_gt_i32_e32 vcc_lo, 0, v4
	v_not_b32_e32 v4, v5
	v_ashrrev_i32_e32 v3, 31, v3
	v_and_b32_e32 v0, exec_lo, v0
	v_xor_b32_e32 v2, s13, v2
	v_cmp_gt_i32_e64 s13, 0, v5
	v_not_b32_e32 v5, v6
	v_ashrrev_i32_e32 v4, 31, v4
	v_xor_b32_e32 v3, vcc_lo, v3
	v_and_b32_e32 v0, v0, v2
	v_cmp_gt_i32_e32 vcc_lo, 0, v6
	v_not_b32_e32 v2, v7
	v_ashrrev_i32_e32 v5, 31, v5
	v_xor_b32_e32 v4, s13, v4
	v_and_b32_e32 v0, v0, v3
	v_lshlrev_b32_e32 v3, 25, v1
	v_cmp_gt_i32_e64 s13, 0, v7
	v_ashrrev_i32_e32 v2, 31, v2
	v_xor_b32_e32 v5, vcc_lo, v5
	v_and_b32_e32 v0, v0, v4
	v_not_b32_e32 v6, v3
	v_lshlrev_b32_e32 v1, 24, v1
	v_bfe_u32 v4, v28, s16, 8
	v_xor_b32_e32 v2, s13, v2
	v_and_b32_e32 v0, v0, v5
	v_cmp_gt_i32_e32 vcc_lo, 0, v3
	v_ashrrev_i32_e32 v3, 31, v6
	v_not_b32_e32 v5, v1
	v_mul_u32_u24_e32 v4, 6, v4
	v_and_b32_e32 v0, v0, v2
	s_delay_alu instid0(VALU_DEP_4) | instskip(SKIP_3) | instid1(VALU_DEP_4)
	v_xor_b32_e32 v2, vcc_lo, v3
	v_cmp_gt_i32_e32 vcc_lo, 0, v1
	v_ashrrev_i32_e32 v1, 31, v5
	v_add_lshl_u32 v3, v4, v17, 2
	v_and_b32_e32 v0, v0, v2
	s_delay_alu instid0(VALU_DEP_3) | instskip(SKIP_3) | instid1(VALU_DEP_1)
	v_xor_b32_e32 v1, vcc_lo, v1
	ds_load_b32 v39, v3 offset:24
	v_add_nc_u32_e32 v41, 24, v3
	; wave barrier
	v_and_b32_e32 v0, v0, v1
	v_mbcnt_lo_u32_b32 v40, v0, 0
	v_cmp_ne_u32_e64 s13, 0, v0
	s_delay_alu instid0(VALU_DEP_2) | instskip(NEXT) | instid1(VALU_DEP_2)
	v_cmp_eq_u32_e32 vcc_lo, 0, v40
	s_and_b32 s17, s13, vcc_lo
	s_delay_alu instid0(SALU_CYCLE_1)
	s_and_saveexec_b32 s13, s17
	s_cbranch_execz .LBB22_12
; %bb.11:                               ;   in Loop: Header=BB22_4 Depth=2
	s_waitcnt lgkmcnt(0)
	v_bcnt_u32_b32 v0, v0, v39
	ds_store_b32 v41, v0
.LBB22_12:                              ;   in Loop: Header=BB22_4 Depth=2
	s_or_b32 exec_lo, exec_lo, s13
	v_bfe_u32 v0, v27, s16, 1
	v_lshrrev_b32_e32 v1, s16, v27
	; wave barrier
	s_delay_alu instid0(VALU_DEP_2) | instskip(NEXT) | instid1(VALU_DEP_1)
	v_add_co_u32 v0, s13, v0, -1
	v_cndmask_b32_e64 v2, 0, 1, s13
	s_delay_alu instid0(VALU_DEP_3)
	v_lshlrev_b32_e32 v3, 30, v1
	v_lshlrev_b32_e32 v4, 29, v1
	;; [unrolled: 1-line block ×4, first 2 shown]
	v_cmp_ne_u32_e32 vcc_lo, 0, v2
	v_not_b32_e32 v2, v3
	v_cmp_gt_i32_e64 s13, 0, v3
	v_not_b32_e32 v3, v4
	v_lshlrev_b32_e32 v7, 26, v1
	v_xor_b32_e32 v0, vcc_lo, v0
	v_ashrrev_i32_e32 v2, 31, v2
	v_cmp_gt_i32_e32 vcc_lo, 0, v4
	v_not_b32_e32 v4, v5
	v_ashrrev_i32_e32 v3, 31, v3
	v_and_b32_e32 v0, exec_lo, v0
	v_xor_b32_e32 v2, s13, v2
	v_cmp_gt_i32_e64 s13, 0, v5
	v_not_b32_e32 v5, v6
	v_ashrrev_i32_e32 v4, 31, v4
	v_xor_b32_e32 v3, vcc_lo, v3
	v_and_b32_e32 v0, v0, v2
	v_cmp_gt_i32_e32 vcc_lo, 0, v6
	v_not_b32_e32 v2, v7
	v_ashrrev_i32_e32 v5, 31, v5
	v_xor_b32_e32 v4, s13, v4
	v_and_b32_e32 v0, v0, v3
	v_lshlrev_b32_e32 v3, 25, v1
	v_cmp_gt_i32_e64 s13, 0, v7
	v_ashrrev_i32_e32 v2, 31, v2
	v_xor_b32_e32 v5, vcc_lo, v5
	v_and_b32_e32 v0, v0, v4
	v_not_b32_e32 v6, v3
	v_lshlrev_b32_e32 v1, 24, v1
	v_bfe_u32 v4, v27, s16, 8
	v_xor_b32_e32 v2, s13, v2
	v_and_b32_e32 v0, v0, v5
	v_cmp_gt_i32_e32 vcc_lo, 0, v3
	v_ashrrev_i32_e32 v3, 31, v6
	v_not_b32_e32 v5, v1
	v_mul_u32_u24_e32 v4, 6, v4
	v_and_b32_e32 v0, v0, v2
	s_delay_alu instid0(VALU_DEP_4) | instskip(SKIP_3) | instid1(VALU_DEP_4)
	v_xor_b32_e32 v2, vcc_lo, v3
	v_cmp_gt_i32_e32 vcc_lo, 0, v1
	v_ashrrev_i32_e32 v1, 31, v5
	v_add_lshl_u32 v3, v4, v17, 2
	v_and_b32_e32 v0, v0, v2
	s_delay_alu instid0(VALU_DEP_3) | instskip(SKIP_3) | instid1(VALU_DEP_1)
	v_xor_b32_e32 v1, vcc_lo, v1
	ds_load_b32 v42, v3 offset:24
	v_add_nc_u32_e32 v44, 24, v3
	; wave barrier
	v_and_b32_e32 v0, v0, v1
	v_mbcnt_lo_u32_b32 v43, v0, 0
	v_cmp_ne_u32_e64 s13, 0, v0
	s_delay_alu instid0(VALU_DEP_2) | instskip(NEXT) | instid1(VALU_DEP_2)
	v_cmp_eq_u32_e32 vcc_lo, 0, v43
	s_and_b32 s17, s13, vcc_lo
	s_delay_alu instid0(SALU_CYCLE_1)
	s_and_saveexec_b32 s13, s17
	s_cbranch_execz .LBB22_14
; %bb.13:                               ;   in Loop: Header=BB22_4 Depth=2
	s_waitcnt lgkmcnt(0)
	v_bcnt_u32_b32 v0, v0, v42
	ds_store_b32 v44, v0
.LBB22_14:                              ;   in Loop: Header=BB22_4 Depth=2
	s_or_b32 exec_lo, exec_lo, s13
	v_bfe_u32 v0, v26, s16, 1
	v_lshrrev_b32_e32 v1, s16, v26
	; wave barrier
	s_delay_alu instid0(VALU_DEP_2) | instskip(NEXT) | instid1(VALU_DEP_1)
	v_add_co_u32 v0, s13, v0, -1
	v_cndmask_b32_e64 v2, 0, 1, s13
	s_delay_alu instid0(VALU_DEP_3)
	v_lshlrev_b32_e32 v3, 30, v1
	v_lshlrev_b32_e32 v4, 29, v1
	;; [unrolled: 1-line block ×4, first 2 shown]
	v_cmp_ne_u32_e32 vcc_lo, 0, v2
	v_not_b32_e32 v2, v3
	v_cmp_gt_i32_e64 s13, 0, v3
	v_not_b32_e32 v3, v4
	v_lshlrev_b32_e32 v7, 26, v1
	v_xor_b32_e32 v0, vcc_lo, v0
	v_ashrrev_i32_e32 v2, 31, v2
	v_cmp_gt_i32_e32 vcc_lo, 0, v4
	v_not_b32_e32 v4, v5
	v_ashrrev_i32_e32 v3, 31, v3
	v_and_b32_e32 v0, exec_lo, v0
	v_xor_b32_e32 v2, s13, v2
	v_cmp_gt_i32_e64 s13, 0, v5
	v_not_b32_e32 v5, v6
	v_ashrrev_i32_e32 v4, 31, v4
	v_xor_b32_e32 v3, vcc_lo, v3
	v_and_b32_e32 v0, v0, v2
	v_cmp_gt_i32_e32 vcc_lo, 0, v6
	v_not_b32_e32 v2, v7
	v_ashrrev_i32_e32 v5, 31, v5
	v_xor_b32_e32 v4, s13, v4
	v_and_b32_e32 v0, v0, v3
	v_lshlrev_b32_e32 v3, 25, v1
	v_cmp_gt_i32_e64 s13, 0, v7
	v_ashrrev_i32_e32 v2, 31, v2
	v_xor_b32_e32 v5, vcc_lo, v5
	v_and_b32_e32 v0, v0, v4
	v_not_b32_e32 v6, v3
	v_lshlrev_b32_e32 v1, 24, v1
	v_bfe_u32 v4, v26, s16, 8
	v_xor_b32_e32 v2, s13, v2
	v_and_b32_e32 v0, v0, v5
	v_cmp_gt_i32_e32 vcc_lo, 0, v3
	v_ashrrev_i32_e32 v3, 31, v6
	v_not_b32_e32 v5, v1
	v_mul_u32_u24_e32 v4, 6, v4
	v_and_b32_e32 v0, v0, v2
	s_delay_alu instid0(VALU_DEP_4) | instskip(SKIP_3) | instid1(VALU_DEP_4)
	v_xor_b32_e32 v2, vcc_lo, v3
	v_cmp_gt_i32_e32 vcc_lo, 0, v1
	v_ashrrev_i32_e32 v1, 31, v5
	v_add_lshl_u32 v3, v4, v17, 2
	v_and_b32_e32 v0, v0, v2
	s_delay_alu instid0(VALU_DEP_3) | instskip(SKIP_3) | instid1(VALU_DEP_1)
	v_xor_b32_e32 v1, vcc_lo, v1
	ds_load_b32 v45, v3 offset:24
	v_add_nc_u32_e32 v47, 24, v3
	; wave barrier
	v_and_b32_e32 v0, v0, v1
	v_mbcnt_lo_u32_b32 v46, v0, 0
	v_cmp_ne_u32_e64 s13, 0, v0
	s_delay_alu instid0(VALU_DEP_2) | instskip(NEXT) | instid1(VALU_DEP_2)
	v_cmp_eq_u32_e32 vcc_lo, 0, v46
	s_and_b32 s17, s13, vcc_lo
	s_delay_alu instid0(SALU_CYCLE_1)
	s_and_saveexec_b32 s13, s17
	s_cbranch_execz .LBB22_16
; %bb.15:                               ;   in Loop: Header=BB22_4 Depth=2
	s_waitcnt lgkmcnt(0)
	v_bcnt_u32_b32 v0, v0, v45
	ds_store_b32 v47, v0
.LBB22_16:                              ;   in Loop: Header=BB22_4 Depth=2
	s_or_b32 exec_lo, exec_lo, s13
	v_bfe_u32 v0, v25, s16, 1
	v_lshrrev_b32_e32 v1, s16, v25
	; wave barrier
	s_delay_alu instid0(VALU_DEP_2) | instskip(NEXT) | instid1(VALU_DEP_1)
	v_add_co_u32 v0, s13, v0, -1
	v_cndmask_b32_e64 v2, 0, 1, s13
	s_delay_alu instid0(VALU_DEP_3)
	v_lshlrev_b32_e32 v3, 30, v1
	v_lshlrev_b32_e32 v4, 29, v1
	;; [unrolled: 1-line block ×4, first 2 shown]
	v_cmp_ne_u32_e32 vcc_lo, 0, v2
	v_not_b32_e32 v2, v3
	v_cmp_gt_i32_e64 s13, 0, v3
	v_not_b32_e32 v3, v4
	v_lshlrev_b32_e32 v7, 26, v1
	v_xor_b32_e32 v0, vcc_lo, v0
	v_ashrrev_i32_e32 v2, 31, v2
	v_cmp_gt_i32_e32 vcc_lo, 0, v4
	v_not_b32_e32 v4, v5
	v_ashrrev_i32_e32 v3, 31, v3
	v_and_b32_e32 v0, exec_lo, v0
	v_xor_b32_e32 v2, s13, v2
	v_cmp_gt_i32_e64 s13, 0, v5
	v_not_b32_e32 v5, v6
	v_ashrrev_i32_e32 v4, 31, v4
	v_xor_b32_e32 v3, vcc_lo, v3
	v_and_b32_e32 v0, v0, v2
	v_cmp_gt_i32_e32 vcc_lo, 0, v6
	v_not_b32_e32 v2, v7
	v_ashrrev_i32_e32 v5, 31, v5
	v_xor_b32_e32 v4, s13, v4
	v_and_b32_e32 v0, v0, v3
	v_lshlrev_b32_e32 v3, 25, v1
	v_cmp_gt_i32_e64 s13, 0, v7
	v_ashrrev_i32_e32 v2, 31, v2
	v_xor_b32_e32 v5, vcc_lo, v5
	v_and_b32_e32 v0, v0, v4
	v_not_b32_e32 v6, v3
	v_lshlrev_b32_e32 v1, 24, v1
	v_bfe_u32 v4, v25, s16, 8
	v_xor_b32_e32 v2, s13, v2
	v_and_b32_e32 v0, v0, v5
	v_cmp_gt_i32_e32 vcc_lo, 0, v3
	v_ashrrev_i32_e32 v3, 31, v6
	v_not_b32_e32 v5, v1
	v_mul_u32_u24_e32 v4, 6, v4
	v_and_b32_e32 v0, v0, v2
	s_delay_alu instid0(VALU_DEP_4) | instskip(SKIP_3) | instid1(VALU_DEP_4)
	v_xor_b32_e32 v2, vcc_lo, v3
	v_cmp_gt_i32_e32 vcc_lo, 0, v1
	v_ashrrev_i32_e32 v1, 31, v5
	v_add_lshl_u32 v3, v4, v17, 2
	v_and_b32_e32 v0, v0, v2
	s_delay_alu instid0(VALU_DEP_3) | instskip(SKIP_3) | instid1(VALU_DEP_1)
	v_xor_b32_e32 v1, vcc_lo, v1
	ds_load_b32 v48, v3 offset:24
	v_add_nc_u32_e32 v50, 24, v3
	; wave barrier
	v_and_b32_e32 v0, v0, v1
	v_mbcnt_lo_u32_b32 v49, v0, 0
	v_cmp_ne_u32_e64 s13, 0, v0
	s_delay_alu instid0(VALU_DEP_2) | instskip(NEXT) | instid1(VALU_DEP_2)
	v_cmp_eq_u32_e32 vcc_lo, 0, v49
	s_and_b32 s17, s13, vcc_lo
	s_delay_alu instid0(SALU_CYCLE_1)
	s_and_saveexec_b32 s13, s17
	s_cbranch_execz .LBB22_18
; %bb.17:                               ;   in Loop: Header=BB22_4 Depth=2
	s_waitcnt lgkmcnt(0)
	v_bcnt_u32_b32 v0, v0, v48
	ds_store_b32 v50, v0
.LBB22_18:                              ;   in Loop: Header=BB22_4 Depth=2
	s_or_b32 exec_lo, exec_lo, s13
	v_bfe_u32 v0, v24, s16, 1
	v_lshrrev_b32_e32 v1, s16, v24
	; wave barrier
	s_delay_alu instid0(VALU_DEP_2) | instskip(NEXT) | instid1(VALU_DEP_1)
	v_add_co_u32 v0, s13, v0, -1
	v_cndmask_b32_e64 v2, 0, 1, s13
	s_delay_alu instid0(VALU_DEP_3)
	v_lshlrev_b32_e32 v3, 30, v1
	v_lshlrev_b32_e32 v4, 29, v1
	;; [unrolled: 1-line block ×4, first 2 shown]
	v_cmp_ne_u32_e32 vcc_lo, 0, v2
	v_not_b32_e32 v2, v3
	v_cmp_gt_i32_e64 s13, 0, v3
	v_not_b32_e32 v3, v4
	v_lshlrev_b32_e32 v7, 26, v1
	v_xor_b32_e32 v0, vcc_lo, v0
	v_ashrrev_i32_e32 v2, 31, v2
	v_cmp_gt_i32_e32 vcc_lo, 0, v4
	v_not_b32_e32 v4, v5
	v_ashrrev_i32_e32 v3, 31, v3
	v_and_b32_e32 v0, exec_lo, v0
	v_xor_b32_e32 v2, s13, v2
	v_cmp_gt_i32_e64 s13, 0, v5
	v_not_b32_e32 v5, v6
	v_ashrrev_i32_e32 v4, 31, v4
	v_xor_b32_e32 v3, vcc_lo, v3
	v_and_b32_e32 v0, v0, v2
	v_cmp_gt_i32_e32 vcc_lo, 0, v6
	v_not_b32_e32 v2, v7
	v_ashrrev_i32_e32 v5, 31, v5
	v_xor_b32_e32 v4, s13, v4
	v_and_b32_e32 v0, v0, v3
	v_lshlrev_b32_e32 v3, 25, v1
	v_cmp_gt_i32_e64 s13, 0, v7
	v_ashrrev_i32_e32 v2, 31, v2
	v_xor_b32_e32 v5, vcc_lo, v5
	v_and_b32_e32 v0, v0, v4
	v_not_b32_e32 v6, v3
	v_lshlrev_b32_e32 v1, 24, v1
	v_bfe_u32 v4, v24, s16, 8
	v_xor_b32_e32 v2, s13, v2
	v_and_b32_e32 v0, v0, v5
	v_cmp_gt_i32_e32 vcc_lo, 0, v3
	v_ashrrev_i32_e32 v3, 31, v6
	v_not_b32_e32 v5, v1
	v_mul_u32_u24_e32 v4, 6, v4
	v_and_b32_e32 v0, v0, v2
	s_delay_alu instid0(VALU_DEP_4) | instskip(SKIP_3) | instid1(VALU_DEP_4)
	v_xor_b32_e32 v2, vcc_lo, v3
	v_cmp_gt_i32_e32 vcc_lo, 0, v1
	v_ashrrev_i32_e32 v1, 31, v5
	v_add_lshl_u32 v3, v4, v17, 2
	v_and_b32_e32 v0, v0, v2
	s_delay_alu instid0(VALU_DEP_3) | instskip(SKIP_3) | instid1(VALU_DEP_1)
	v_xor_b32_e32 v1, vcc_lo, v1
	ds_load_b32 v51, v3 offset:24
	v_add_nc_u32_e32 v53, 24, v3
	; wave barrier
	v_and_b32_e32 v0, v0, v1
	v_mbcnt_lo_u32_b32 v52, v0, 0
	v_cmp_ne_u32_e64 s13, 0, v0
	s_delay_alu instid0(VALU_DEP_2) | instskip(NEXT) | instid1(VALU_DEP_2)
	v_cmp_eq_u32_e32 vcc_lo, 0, v52
	s_and_b32 s17, s13, vcc_lo
	s_delay_alu instid0(SALU_CYCLE_1)
	s_and_saveexec_b32 s13, s17
	s_cbranch_execz .LBB22_20
; %bb.19:                               ;   in Loop: Header=BB22_4 Depth=2
	s_waitcnt lgkmcnt(0)
	v_bcnt_u32_b32 v0, v0, v51
	ds_store_b32 v53, v0
.LBB22_20:                              ;   in Loop: Header=BB22_4 Depth=2
	s_or_b32 exec_lo, exec_lo, s13
	; wave barrier
	s_waitcnt lgkmcnt(0)
	s_barrier
	buffer_gl0_inv
	ds_load_2addr_b64 v[4:7], v13 offset0:3 offset1:4
	ds_load_2addr_b64 v[0:3], v16 offset0:2 offset1:3
	s_waitcnt lgkmcnt(1)
	v_add_nc_u32_e32 v54, v5, v4
	s_delay_alu instid0(VALU_DEP_1) | instskip(SKIP_1) | instid1(VALU_DEP_1)
	v_add3_u32 v54, v54, v6, v7
	s_waitcnt lgkmcnt(0)
	v_add3_u32 v54, v54, v0, v1
	s_delay_alu instid0(VALU_DEP_1) | instskip(NEXT) | instid1(VALU_DEP_1)
	v_add3_u32 v3, v54, v2, v3
	v_mov_b32_dpp v54, v3 row_shr:1 row_mask:0xf bank_mask:0xf
	s_delay_alu instid0(VALU_DEP_1) | instskip(NEXT) | instid1(VALU_DEP_1)
	v_cndmask_b32_e64 v54, v54, 0, s0
	v_add_nc_u32_e32 v3, v54, v3
	s_delay_alu instid0(VALU_DEP_1) | instskip(NEXT) | instid1(VALU_DEP_1)
	v_mov_b32_dpp v54, v3 row_shr:2 row_mask:0xf bank_mask:0xf
	v_cndmask_b32_e64 v54, 0, v54, s1
	s_delay_alu instid0(VALU_DEP_1) | instskip(NEXT) | instid1(VALU_DEP_1)
	v_add_nc_u32_e32 v3, v3, v54
	v_mov_b32_dpp v54, v3 row_shr:4 row_mask:0xf bank_mask:0xf
	s_delay_alu instid0(VALU_DEP_1) | instskip(NEXT) | instid1(VALU_DEP_1)
	v_cndmask_b32_e64 v54, 0, v54, s2
	v_add_nc_u32_e32 v3, v3, v54
	s_delay_alu instid0(VALU_DEP_1) | instskip(NEXT) | instid1(VALU_DEP_1)
	v_mov_b32_dpp v54, v3 row_shr:8 row_mask:0xf bank_mask:0xf
	v_cndmask_b32_e64 v54, 0, v54, s3
	s_delay_alu instid0(VALU_DEP_1) | instskip(SKIP_3) | instid1(VALU_DEP_1)
	v_add_nc_u32_e32 v3, v3, v54
	ds_swizzle_b32 v54, v3 offset:swizzle(BROADCAST,32,15)
	s_waitcnt lgkmcnt(0)
	v_cndmask_b32_e64 v54, v54, 0, s4
	v_add_nc_u32_e32 v3, v3, v54
	s_and_saveexec_b32 s13, s5
	s_cbranch_execz .LBB22_22
; %bb.21:                               ;   in Loop: Header=BB22_4 Depth=2
	ds_store_b32 v19, v3
.LBB22_22:                              ;   in Loop: Header=BB22_4 Depth=2
	s_or_b32 exec_lo, exec_lo, s13
	s_waitcnt lgkmcnt(0)
	s_barrier
	buffer_gl0_inv
	s_and_saveexec_b32 s13, s6
	s_cbranch_execz .LBB22_24
; %bb.23:                               ;   in Loop: Header=BB22_4 Depth=2
	ds_load_b32 v54, v20
	s_waitcnt lgkmcnt(0)
	v_mov_b32_dpp v55, v54 row_shr:1 row_mask:0xf bank_mask:0xf
	s_delay_alu instid0(VALU_DEP_1) | instskip(NEXT) | instid1(VALU_DEP_1)
	v_cndmask_b32_e64 v55, v55, 0, s10
	v_add_nc_u32_e32 v54, v55, v54
	s_delay_alu instid0(VALU_DEP_1) | instskip(NEXT) | instid1(VALU_DEP_1)
	v_mov_b32_dpp v55, v54 row_shr:2 row_mask:0xf bank_mask:0xf
	v_cndmask_b32_e64 v55, 0, v55, s11
	s_delay_alu instid0(VALU_DEP_1) | instskip(NEXT) | instid1(VALU_DEP_1)
	v_add_nc_u32_e32 v54, v54, v55
	v_mov_b32_dpp v55, v54 row_shr:4 row_mask:0xf bank_mask:0xf
	s_delay_alu instid0(VALU_DEP_1) | instskip(NEXT) | instid1(VALU_DEP_1)
	v_cndmask_b32_e64 v55, 0, v55, s12
	v_add_nc_u32_e32 v54, v54, v55
	ds_store_b32 v20, v54
.LBB22_24:                              ;   in Loop: Header=BB22_4 Depth=2
	s_or_b32 exec_lo, exec_lo, s13
	v_mov_b32_e32 v54, 0
	s_waitcnt lgkmcnt(0)
	s_barrier
	buffer_gl0_inv
	s_and_saveexec_b32 s13, s7
	s_cbranch_execz .LBB22_26
; %bb.25:                               ;   in Loop: Header=BB22_4 Depth=2
	ds_load_b32 v54, v21
.LBB22_26:                              ;   in Loop: Header=BB22_4 Depth=2
	s_or_b32 exec_lo, exec_lo, s13
	s_waitcnt lgkmcnt(0)
	v_add_nc_u32_e32 v3, v54, v3
	s_cmp_gt_u32 s16, 23
	ds_bpermute_b32 v3, v18, v3
	s_waitcnt lgkmcnt(0)
	v_cndmask_b32_e64 v3, v3, v54, s8
	s_delay_alu instid0(VALU_DEP_1) | instskip(NEXT) | instid1(VALU_DEP_1)
	v_cndmask_b32_e64 v3, v3, 0, s9
	v_add_nc_u32_e32 v4, v3, v4
	s_delay_alu instid0(VALU_DEP_1) | instskip(NEXT) | instid1(VALU_DEP_1)
	v_add_nc_u32_e32 v5, v4, v5
	v_add_nc_u32_e32 v6, v5, v6
	s_delay_alu instid0(VALU_DEP_1) | instskip(NEXT) | instid1(VALU_DEP_1)
	v_add_nc_u32_e32 v54, v6, v7
	;; [unrolled: 3-line block ×3, first 2 shown]
	v_add_nc_u32_e32 v1, v0, v2
	ds_store_2addr_b64 v13, v[3:4], v[5:6] offset0:3 offset1:4
	ds_store_2addr_b64 v16, v[54:55], v[0:1] offset0:2 offset1:3
	s_waitcnt lgkmcnt(0)
	s_barrier
	buffer_gl0_inv
	ds_load_b32 v0, v32
	ds_load_b32 v1, v35
	;; [unrolled: 1-line block ×8, first 2 shown]
	s_waitcnt lgkmcnt(7)
	v_add_nc_u32_e32 v41, v0, v31
	s_waitcnt lgkmcnt(6)
	v_add3_u32 v38, v34, v33, v1
	s_waitcnt lgkmcnt(5)
	v_add3_u32 v36, v37, v36, v2
	;; [unrolled: 2-line block ×7, first 2 shown]
	s_cbranch_scc0 .LBB22_3
; %bb.27:                               ;   in Loop: Header=BB22_2 Depth=1
                                        ; implicit-def: $vgpr7
                                        ; implicit-def: $vgpr5
                                        ; implicit-def: $vgpr3
                                        ; implicit-def: $vgpr1
                                        ; implicit-def: $sgpr16
	s_branch .LBB22_1
.LBB22_28:
	v_lshlrev_b32_e32 v0, 2, v8
	s_add_u32 s0, s18, s14
	s_addc_u32 s1, s19, s15
	s_delay_alu instid0(VALU_DEP_1) | instskip(NEXT) | instid1(VALU_DEP_1)
	v_add_co_u32 v8, s2, s0, v0
	v_add_co_ci_u32_e64 v9, null, s1, 0, s2
	s_delay_alu instid0(VALU_DEP_2) | instskip(NEXT) | instid1(VALU_DEP_2)
	v_add_co_u32 v8, vcc_lo, 0x1000, v8
	v_add_co_ci_u32_e32 v9, vcc_lo, 0, v9, vcc_lo
	s_clause 0x7
	global_store_b32 v0, v2, s[0:1]
	global_store_b32 v0, v3, s[0:1] offset:768
	global_store_b32 v0, v4, s[0:1] offset:1536
	;; [unrolled: 1-line block ×5, first 2 shown]
	global_store_b32 v[8:9], v23, off offset:512
	global_store_b32 v[8:9], v1, off offset:1280
	s_nop 0
	s_sendmsg sendmsg(MSG_DEALLOC_VGPRS)
	s_endpgm
	.section	.rodata,"a",@progbits
	.p2align	6, 0x0
	.amdhsa_kernel _Z16sort_keys_kernelI22helper_blocked_blockediLj192ELj8ELj10EEvPKT0_PS1_
		.amdhsa_group_segment_fixed_size 6176
		.amdhsa_private_segment_fixed_size 0
		.amdhsa_kernarg_size 272
		.amdhsa_user_sgpr_count 15
		.amdhsa_user_sgpr_dispatch_ptr 0
		.amdhsa_user_sgpr_queue_ptr 0
		.amdhsa_user_sgpr_kernarg_segment_ptr 1
		.amdhsa_user_sgpr_dispatch_id 0
		.amdhsa_user_sgpr_private_segment_size 0
		.amdhsa_wavefront_size32 1
		.amdhsa_uses_dynamic_stack 0
		.amdhsa_enable_private_segment 0
		.amdhsa_system_sgpr_workgroup_id_x 1
		.amdhsa_system_sgpr_workgroup_id_y 0
		.amdhsa_system_sgpr_workgroup_id_z 0
		.amdhsa_system_sgpr_workgroup_info 0
		.amdhsa_system_vgpr_workitem_id 2
		.amdhsa_next_free_vgpr 56
		.amdhsa_next_free_sgpr 22
		.amdhsa_reserve_vcc 1
		.amdhsa_float_round_mode_32 0
		.amdhsa_float_round_mode_16_64 0
		.amdhsa_float_denorm_mode_32 3
		.amdhsa_float_denorm_mode_16_64 3
		.amdhsa_dx10_clamp 1
		.amdhsa_ieee_mode 1
		.amdhsa_fp16_overflow 0
		.amdhsa_workgroup_processor_mode 1
		.amdhsa_memory_ordered 1
		.amdhsa_forward_progress 0
		.amdhsa_shared_vgpr_count 0
		.amdhsa_exception_fp_ieee_invalid_op 0
		.amdhsa_exception_fp_denorm_src 0
		.amdhsa_exception_fp_ieee_div_zero 0
		.amdhsa_exception_fp_ieee_overflow 0
		.amdhsa_exception_fp_ieee_underflow 0
		.amdhsa_exception_fp_ieee_inexact 0
		.amdhsa_exception_int_div_zero 0
	.end_amdhsa_kernel
	.section	.text._Z16sort_keys_kernelI22helper_blocked_blockediLj192ELj8ELj10EEvPKT0_PS1_,"axG",@progbits,_Z16sort_keys_kernelI22helper_blocked_blockediLj192ELj8ELj10EEvPKT0_PS1_,comdat
.Lfunc_end22:
	.size	_Z16sort_keys_kernelI22helper_blocked_blockediLj192ELj8ELj10EEvPKT0_PS1_, .Lfunc_end22-_Z16sort_keys_kernelI22helper_blocked_blockediLj192ELj8ELj10EEvPKT0_PS1_
                                        ; -- End function
	.section	.AMDGPU.csdata,"",@progbits
; Kernel info:
; codeLenInByte = 4592
; NumSgprs: 24
; NumVgprs: 56
; ScratchSize: 0
; MemoryBound: 0
; FloatMode: 240
; IeeeMode: 1
; LDSByteSize: 6176 bytes/workgroup (compile time only)
; SGPRBlocks: 2
; VGPRBlocks: 6
; NumSGPRsForWavesPerEU: 24
; NumVGPRsForWavesPerEU: 56
; Occupancy: 15
; WaveLimiterHint : 1
; COMPUTE_PGM_RSRC2:SCRATCH_EN: 0
; COMPUTE_PGM_RSRC2:USER_SGPR: 15
; COMPUTE_PGM_RSRC2:TRAP_HANDLER: 0
; COMPUTE_PGM_RSRC2:TGID_X_EN: 1
; COMPUTE_PGM_RSRC2:TGID_Y_EN: 0
; COMPUTE_PGM_RSRC2:TGID_Z_EN: 0
; COMPUTE_PGM_RSRC2:TIDIG_COMP_CNT: 2
	.section	.text._Z17sort_pairs_kernelI22helper_blocked_blockediLj192ELj8ELj10EEvPKT0_PS1_,"axG",@progbits,_Z17sort_pairs_kernelI22helper_blocked_blockediLj192ELj8ELj10EEvPKT0_PS1_,comdat
	.protected	_Z17sort_pairs_kernelI22helper_blocked_blockediLj192ELj8ELj10EEvPKT0_PS1_ ; -- Begin function _Z17sort_pairs_kernelI22helper_blocked_blockediLj192ELj8ELj10EEvPKT0_PS1_
	.globl	_Z17sort_pairs_kernelI22helper_blocked_blockediLj192ELj8ELj10EEvPKT0_PS1_
	.p2align	8
	.type	_Z17sort_pairs_kernelI22helper_blocked_blockediLj192ELj8ELj10EEvPKT0_PS1_,@function
_Z17sort_pairs_kernelI22helper_blocked_blockediLj192ELj8ELj10EEvPKT0_PS1_: ; @_Z17sort_pairs_kernelI22helper_blocked_blockediLj192ELj8ELj10EEvPKT0_PS1_
; %bb.0:
	s_clause 0x1
	s_load_b128 s[16:19], s[0:1], 0x0
	s_load_b32 s12, s[0:1], 0x1c
	v_and_b32_e32 v8, 0x3ff, v0
	s_mov_b32 s21, 0
	s_mul_i32 s20, s15, 0x600
	s_delay_alu instid0(SALU_CYCLE_1) | instskip(NEXT) | instid1(VALU_DEP_1)
	s_lshl_b64 s[14:15], s[20:21], 2
	v_lshlrev_b32_e32 v3, 2, v8
	s_mov_b32 s20, s21
	s_delay_alu instid0(SALU_CYCLE_1) | instskip(SKIP_4) | instid1(VALU_DEP_1)
	v_dual_mov_b32 v11, s20 :: v_dual_mov_b32 v12, s21
	s_waitcnt lgkmcnt(0)
	s_add_u32 s0, s16, s14
	s_addc_u32 s1, s17, s15
	v_add_co_u32 v1, s2, s0, v3
	v_add_co_ci_u32_e64 v2, null, s1, 0, s2
	s_lshr_b32 s13, s12, 16
	s_delay_alu instid0(VALU_DEP_2) | instskip(NEXT) | instid1(VALU_DEP_2)
	v_add_co_u32 v1, vcc_lo, 0x1000, v1
	v_add_co_ci_u32_e32 v2, vcc_lo, 0, v2, vcc_lo
	s_clause 0x7
	global_load_b32 v15, v3, s[0:1]
	global_load_b32 v16, v3, s[0:1] offset:768
	global_load_b32 v17, v3, s[0:1] offset:1536
	;; [unrolled: 1-line block ×5, first 2 shown]
	global_load_b32 v14, v[1:2], off offset:512
	global_load_b32 v13, v[1:2], off offset:1280
	v_mbcnt_lo_u32_b32 v1, -1, 0
	s_mov_b32 s1, s21
	v_bfe_u32 v2, v0, 10, 10
	v_bfe_u32 v0, v0, 20, 10
	s_mov_b32 s0, s21
	v_dual_mov_b32 v10, s1 :: v_dual_add_nc_u32 v5, -1, v1
	v_dual_mov_b32 v9, s0 :: v_dual_and_b32 v4, 16, v1
	v_and_b32_e32 v6, 7, v1
	v_lshlrev_b32_e32 v7, 3, v8
	v_and_b32_e32 v23, 0xe0, v8
	v_and_b32_e32 v3, 15, v1
	v_cmp_gt_i32_e32 vcc_lo, 0, v5
	v_mad_u32_u24 v2, v0, s13, v2
	v_lshlrev_b32_e32 v21, 5, v8
	v_cmp_eq_u32_e64 s5, 0, v4
	v_lshrrev_b32_e32 v4, 3, v8
	v_cmp_eq_u32_e64 s9, 0, v6
	v_cmp_lt_u32_e64 s10, 1, v6
	v_cmp_lt_u32_e64 s11, 3, v6
	v_and_or_b32 v6, 0x700, v7, v1
	v_min_u32_e32 v7, 0xa0, v23
	s_and_b32 s12, s12, 0xffff
	v_cmp_eq_u32_e64 s0, 0, v1
	v_cmp_eq_u32_e64 s1, 0, v3
	v_cmp_lt_u32_e64 s2, 1, v3
	v_cmp_lt_u32_e64 s3, 3, v3
	;; [unrolled: 1-line block ×3, first 2 shown]
	v_dual_cndmask_b32 v3, v5, v1 :: v_dual_and_b32 v24, 28, v4
	v_or_b32_e32 v5, v1, v23
	v_mad_u64_u32 v[0:1], null, v2, s12, v[8:9]
	v_mul_u32_u24_e32 v30, 28, v8
	v_or_b32_e32 v1, 31, v7
	v_mad_i32_i24 v25, 0xffffffe4, v8, v21
	v_cmp_gt_u32_e64 s6, 6, v8
	v_cmp_lt_u32_e64 s7, 31, v8
	v_cmp_eq_u32_e64 s8, 0, v8
	v_or_b32_e32 v22, 24, v21
	v_lshlrev_b32_e32 v23, 2, v3
	v_lshlrev_b32_e32 v26, 5, v5
	;; [unrolled: 1-line block ×3, first 2 shown]
	v_add_nc_u32_e32 v28, -4, v24
	v_cmp_eq_u32_e64 s12, v1, v8
	v_lshrrev_b32_e32 v29, 5, v0
	v_add_nc_u32_e32 v30, v25, v30
	s_waitcnt vmcnt(7)
	v_add_nc_u32_e32 v4, 1, v15
	s_waitcnt vmcnt(6)
	;; [unrolled: 2-line block ×8, first 2 shown]
	v_add_nc_u32_e32 v3, 1, v13
	s_branch .LBB23_2
.LBB23_1:                               ;   in Loop: Header=BB23_2 Depth=1
	v_lshlrev_b32_e32 v0, 2, v59
	v_lshlrev_b32_e32 v3, 2, v52
	v_lshlrev_b32_e32 v1, 2, v58
	v_lshlrev_b32_e32 v4, 2, v50
	v_lshlrev_b32_e32 v2, 2, v55
	v_lshlrev_b32_e32 v5, 2, v49
	v_lshlrev_b32_e32 v6, 2, v48
	v_lshlrev_b32_e32 v7, 2, v47
	s_barrier
	buffer_gl0_inv
	ds_store_b32 v0, v33
	ds_store_b32 v1, v46
	;; [unrolled: 1-line block ×8, first 2 shown]
	s_waitcnt lgkmcnt(0)
	s_barrier
	buffer_gl0_inv
	ds_load_2addr_b64 v[15:18], v30 offset1:1
	ds_load_2addr_b64 v[31:34], v30 offset0:2 offset1:3
	s_waitcnt lgkmcnt(0)
	s_barrier
	buffer_gl0_inv
	ds_store_b32 v0, v44
	ds_store_b32 v1, v43
	;; [unrolled: 1-line block ×8, first 2 shown]
	s_waitcnt lgkmcnt(0)
	s_barrier
	buffer_gl0_inv
	ds_load_2addr_b64 v[4:7], v30 offset1:1
	ds_load_2addr_b64 v[0:3], v30 offset0:2 offset1:3
	s_add_i32 s21, s21, 1
	s_delay_alu instid0(SALU_CYCLE_1)
	s_cmp_eq_u32 s21, 10
	v_xor_b32_e32 v15, 0x80000000, v15
	v_xor_b32_e32 v16, 0x80000000, v16
	;; [unrolled: 1-line block ×8, first 2 shown]
	s_cbranch_scc1 .LBB23_28
.LBB23_2:                               ; =>This Loop Header: Depth=1
                                        ;     Child Loop BB23_4 Depth 2
	v_xor_b32_e32 v15, 0x80000000, v15
	v_xor_b32_e32 v16, 0x80000000, v16
	;; [unrolled: 1-line block ×8, first 2 shown]
	ds_store_2addr_b64 v26, v[15:16], v[17:18] offset1:1
	ds_store_2addr_b64 v26, v[19:20], v[31:32] offset0:2 offset1:3
	; wave barrier
	ds_load_2addr_b32 v[13:14], v27 offset1:32
	ds_load_2addr_b32 v[15:16], v27 offset0:64 offset1:96
	ds_load_2addr_b32 v[17:18], v27 offset0:128 offset1:160
	;; [unrolled: 1-line block ×3, first 2 shown]
	; wave barrier
	s_waitcnt lgkmcnt(7)
	ds_store_2addr_b64 v26, v[4:5], v[6:7] offset1:1
	s_waitcnt lgkmcnt(7)
	ds_store_2addr_b64 v26, v[0:1], v[2:3] offset0:2 offset1:3
	; wave barrier
	ds_load_2addr_b32 v[0:1], v27 offset1:32
	ds_load_2addr_b32 v[2:3], v27 offset0:64 offset1:96
	ds_load_2addr_b32 v[4:5], v27 offset0:128 offset1:160
	;; [unrolled: 1-line block ×3, first 2 shown]
	s_mov_b32 s16, 0
	s_waitcnt lgkmcnt(0)
	s_barrier
	s_branch .LBB23_4
.LBB23_3:                               ;   in Loop: Header=BB23_4 Depth=2
	v_lshlrev_b32_e32 v0, 2, v59
	v_lshlrev_b32_e32 v3, 2, v52
	;; [unrolled: 1-line block ×8, first 2 shown]
	s_barrier
	buffer_gl0_inv
	ds_store_b32 v0, v33
	ds_store_b32 v1, v46
	;; [unrolled: 1-line block ×8, first 2 shown]
	s_waitcnt lgkmcnt(0)
	s_barrier
	buffer_gl0_inv
	ds_load_2addr_b32 v[13:14], v27 offset1:32
	ds_load_2addr_b32 v[15:16], v27 offset0:64 offset1:96
	ds_load_2addr_b32 v[17:18], v27 offset0:128 offset1:160
	ds_load_2addr_b32 v[19:20], v27 offset0:192 offset1:224
	s_waitcnt lgkmcnt(0)
	s_barrier
	buffer_gl0_inv
	ds_store_b32 v0, v44
	ds_store_b32 v1, v43
	;; [unrolled: 1-line block ×8, first 2 shown]
	s_waitcnt lgkmcnt(0)
	s_barrier
	buffer_gl0_inv
	ds_load_2addr_b32 v[0:1], v27 offset1:32
	ds_load_2addr_b32 v[2:3], v27 offset0:64 offset1:96
	ds_load_2addr_b32 v[4:5], v27 offset0:128 offset1:160
	;; [unrolled: 1-line block ×3, first 2 shown]
	s_add_i32 s16, s16, 8
	s_waitcnt lgkmcnt(0)
	s_barrier
	s_cbranch_execz .LBB23_1
.LBB23_4:                               ;   Parent Loop BB23_2 Depth=1
                                        ; =>  This Inner Loop Header: Depth=2
	v_dual_mov_b32 v33, v13 :: v_dual_mov_b32 v32, v19
	v_dual_mov_b32 v31, v20 :: v_dual_mov_b32 v34, v18
	buffer_gl0_inv
	v_bfe_u32 v13, v33, s16, 1
	v_lshrrev_b32_e32 v18, s16, v33
	v_mov_b32_e32 v35, v17
	ds_store_2addr_b64 v21, v[11:12], v[9:10] offset0:3 offset1:4
	ds_store_2addr_b64 v22, v[11:12], v[9:10] offset0:2 offset1:3
	s_waitcnt lgkmcnt(0)
	v_add_co_u32 v13, s13, v13, -1
	v_lshlrev_b32_e32 v20, 29, v18
	v_cndmask_b32_e64 v17, 0, 1, s13
	v_dual_mov_b32 v46, v14 :: v_dual_lshlrev_b32 v19, 30, v18
	v_dual_mov_b32 v41, v16 :: v_dual_lshlrev_b32 v36, 28, v18
	s_delay_alu instid0(VALU_DEP_3) | instskip(NEXT) | instid1(VALU_DEP_3)
	v_cmp_ne_u32_e32 vcc_lo, 0, v17
	v_not_b32_e32 v17, v19
	v_cmp_gt_i32_e64 s13, 0, v19
	v_not_b32_e32 v19, v20
	v_lshlrev_b32_e32 v37, 27, v18
	v_xor_b32_e32 v13, vcc_lo, v13
	v_ashrrev_i32_e32 v17, 31, v17
	v_cmp_gt_i32_e32 vcc_lo, 0, v20
	v_not_b32_e32 v20, v36
	v_ashrrev_i32_e32 v19, 31, v19
	v_and_b32_e32 v13, exec_lo, v13
	v_xor_b32_e32 v17, s13, v17
	v_dual_mov_b32 v45, v15 :: v_dual_lshlrev_b32 v38, 26, v18
	v_cmp_gt_i32_e64 s13, 0, v36
	v_not_b32_e32 v36, v37
	v_ashrrev_i32_e32 v20, 31, v20
	v_xor_b32_e32 v19, vcc_lo, v19
	v_dual_mov_b32 v40, v3 :: v_dual_and_b32 v13, v13, v17
	v_cmp_gt_i32_e32 vcc_lo, 0, v37
	v_not_b32_e32 v17, v38
	v_ashrrev_i32_e32 v36, 31, v36
	v_xor_b32_e32 v20, s13, v20
	v_dual_mov_b32 v42, v2 :: v_dual_and_b32 v13, v13, v19
	v_dual_mov_b32 v44, v0 :: v_dual_lshlrev_b32 v19, 25, v18
	v_cmp_gt_i32_e64 s13, 0, v38
	v_ashrrev_i32_e32 v17, 31, v17
	v_xor_b32_e32 v36, vcc_lo, v36
	v_and_b32_e32 v13, v13, v20
	v_not_b32_e32 v20, v19
	v_dual_mov_b32 v37, v6 :: v_dual_lshlrev_b32 v18, 24, v18
	v_cmp_gt_i32_e32 vcc_lo, 0, v19
	v_xor_b32_e32 v17, s13, v17
	v_and_b32_e32 v13, v13, v36
	v_ashrrev_i32_e32 v19, 31, v20
	v_not_b32_e32 v16, v18
	v_dual_mov_b32 v36, v7 :: v_dual_mov_b32 v39, v4
	s_delay_alu instid0(VALU_DEP_4) | instskip(NEXT) | instid1(VALU_DEP_4)
	v_and_b32_e32 v13, v13, v17
	v_xor_b32_e32 v15, vcc_lo, v19
	v_cmp_gt_i32_e32 vcc_lo, 0, v18
	v_ashrrev_i32_e32 v16, 31, v16
	v_bfe_u32 v0, v33, s16, 8
	v_mov_b32_e32 v43, v1
	v_and_b32_e32 v6, v13, v15
	v_mov_b32_e32 v38, v5
	v_xor_b32_e32 v7, vcc_lo, v16
	v_mad_u32_u24 v0, v0, 6, v29
	s_barrier
	buffer_gl0_inv
	v_and_b32_e32 v2, v6, v7
	v_lshl_add_u32 v14, v0, 2, 24
	; wave barrier
	s_delay_alu instid0(VALU_DEP_2) | instskip(SKIP_1) | instid1(VALU_DEP_2)
	v_mbcnt_lo_u32_b32 v13, v2, 0
	v_cmp_ne_u32_e64 s13, 0, v2
	v_cmp_eq_u32_e32 vcc_lo, 0, v13
	s_delay_alu instid0(VALU_DEP_2) | instskip(NEXT) | instid1(SALU_CYCLE_1)
	s_and_b32 s17, s13, vcc_lo
	s_and_saveexec_b32 s13, s17
	s_cbranch_execz .LBB23_6
; %bb.5:                                ;   in Loop: Header=BB23_4 Depth=2
	v_bcnt_u32_b32 v0, v2, 0
	ds_store_b32 v14, v0
.LBB23_6:                               ;   in Loop: Header=BB23_4 Depth=2
	s_or_b32 exec_lo, exec_lo, s13
	v_bfe_u32 v0, v46, s16, 1
	v_lshrrev_b32_e32 v1, s16, v46
	; wave barrier
	s_delay_alu instid0(VALU_DEP_2) | instskip(NEXT) | instid1(VALU_DEP_1)
	v_add_co_u32 v0, s13, v0, -1
	v_cndmask_b32_e64 v2, 0, 1, s13
	s_delay_alu instid0(VALU_DEP_3)
	v_lshlrev_b32_e32 v3, 30, v1
	v_lshlrev_b32_e32 v4, 29, v1
	;; [unrolled: 1-line block ×4, first 2 shown]
	v_cmp_ne_u32_e32 vcc_lo, 0, v2
	v_not_b32_e32 v2, v3
	v_cmp_gt_i32_e64 s13, 0, v3
	v_not_b32_e32 v3, v4
	v_lshlrev_b32_e32 v7, 26, v1
	v_xor_b32_e32 v0, vcc_lo, v0
	v_ashrrev_i32_e32 v2, 31, v2
	v_cmp_gt_i32_e32 vcc_lo, 0, v4
	v_not_b32_e32 v4, v5
	v_ashrrev_i32_e32 v3, 31, v3
	v_and_b32_e32 v0, exec_lo, v0
	v_xor_b32_e32 v2, s13, v2
	v_cmp_gt_i32_e64 s13, 0, v5
	v_not_b32_e32 v5, v6
	v_ashrrev_i32_e32 v4, 31, v4
	v_xor_b32_e32 v3, vcc_lo, v3
	v_and_b32_e32 v0, v0, v2
	v_cmp_gt_i32_e32 vcc_lo, 0, v6
	v_not_b32_e32 v2, v7
	v_ashrrev_i32_e32 v5, 31, v5
	v_xor_b32_e32 v4, s13, v4
	v_and_b32_e32 v0, v0, v3
	v_lshlrev_b32_e32 v3, 25, v1
	v_cmp_gt_i32_e64 s13, 0, v7
	v_ashrrev_i32_e32 v2, 31, v2
	v_xor_b32_e32 v5, vcc_lo, v5
	v_and_b32_e32 v0, v0, v4
	v_not_b32_e32 v6, v3
	v_lshlrev_b32_e32 v1, 24, v1
	v_bfe_u32 v4, v46, s16, 8
	v_xor_b32_e32 v2, s13, v2
	v_and_b32_e32 v0, v0, v5
	v_cmp_gt_i32_e32 vcc_lo, 0, v3
	v_ashrrev_i32_e32 v3, 31, v6
	v_not_b32_e32 v5, v1
	v_mul_u32_u24_e32 v4, 6, v4
	v_and_b32_e32 v0, v0, v2
	s_delay_alu instid0(VALU_DEP_4) | instskip(SKIP_3) | instid1(VALU_DEP_4)
	v_xor_b32_e32 v2, vcc_lo, v3
	v_cmp_gt_i32_e32 vcc_lo, 0, v1
	v_ashrrev_i32_e32 v1, 31, v5
	v_add_lshl_u32 v3, v4, v29, 2
	v_and_b32_e32 v0, v0, v2
	s_delay_alu instid0(VALU_DEP_3) | instskip(SKIP_3) | instid1(VALU_DEP_1)
	v_xor_b32_e32 v1, vcc_lo, v1
	ds_load_b32 v15, v3 offset:24
	v_add_nc_u32_e32 v17, 24, v3
	; wave barrier
	v_and_b32_e32 v0, v0, v1
	v_mbcnt_lo_u32_b32 v16, v0, 0
	v_cmp_ne_u32_e64 s13, 0, v0
	s_delay_alu instid0(VALU_DEP_2) | instskip(NEXT) | instid1(VALU_DEP_2)
	v_cmp_eq_u32_e32 vcc_lo, 0, v16
	s_and_b32 s17, s13, vcc_lo
	s_delay_alu instid0(SALU_CYCLE_1)
	s_and_saveexec_b32 s13, s17
	s_cbranch_execz .LBB23_8
; %bb.7:                                ;   in Loop: Header=BB23_4 Depth=2
	s_waitcnt lgkmcnt(0)
	v_bcnt_u32_b32 v0, v0, v15
	ds_store_b32 v17, v0
.LBB23_8:                               ;   in Loop: Header=BB23_4 Depth=2
	s_or_b32 exec_lo, exec_lo, s13
	v_bfe_u32 v0, v45, s16, 1
	v_lshrrev_b32_e32 v1, s16, v45
	; wave barrier
	s_delay_alu instid0(VALU_DEP_2) | instskip(NEXT) | instid1(VALU_DEP_1)
	v_add_co_u32 v0, s13, v0, -1
	v_cndmask_b32_e64 v2, 0, 1, s13
	s_delay_alu instid0(VALU_DEP_3)
	v_lshlrev_b32_e32 v3, 30, v1
	v_lshlrev_b32_e32 v4, 29, v1
	;; [unrolled: 1-line block ×4, first 2 shown]
	v_cmp_ne_u32_e32 vcc_lo, 0, v2
	v_not_b32_e32 v2, v3
	v_cmp_gt_i32_e64 s13, 0, v3
	v_not_b32_e32 v3, v4
	v_lshlrev_b32_e32 v7, 26, v1
	v_xor_b32_e32 v0, vcc_lo, v0
	v_ashrrev_i32_e32 v2, 31, v2
	v_cmp_gt_i32_e32 vcc_lo, 0, v4
	v_not_b32_e32 v4, v5
	v_ashrrev_i32_e32 v3, 31, v3
	v_and_b32_e32 v0, exec_lo, v0
	v_xor_b32_e32 v2, s13, v2
	v_cmp_gt_i32_e64 s13, 0, v5
	v_not_b32_e32 v5, v6
	v_ashrrev_i32_e32 v4, 31, v4
	v_xor_b32_e32 v3, vcc_lo, v3
	v_and_b32_e32 v0, v0, v2
	v_cmp_gt_i32_e32 vcc_lo, 0, v6
	v_not_b32_e32 v2, v7
	v_ashrrev_i32_e32 v5, 31, v5
	v_xor_b32_e32 v4, s13, v4
	v_and_b32_e32 v0, v0, v3
	v_lshlrev_b32_e32 v3, 25, v1
	v_cmp_gt_i32_e64 s13, 0, v7
	v_ashrrev_i32_e32 v2, 31, v2
	v_xor_b32_e32 v5, vcc_lo, v5
	v_and_b32_e32 v0, v0, v4
	v_not_b32_e32 v6, v3
	v_lshlrev_b32_e32 v1, 24, v1
	v_bfe_u32 v4, v45, s16, 8
	v_xor_b32_e32 v2, s13, v2
	v_and_b32_e32 v0, v0, v5
	v_cmp_gt_i32_e32 vcc_lo, 0, v3
	v_ashrrev_i32_e32 v3, 31, v6
	v_not_b32_e32 v5, v1
	v_mul_u32_u24_e32 v4, 6, v4
	v_and_b32_e32 v0, v0, v2
	s_delay_alu instid0(VALU_DEP_4) | instskip(SKIP_3) | instid1(VALU_DEP_4)
	v_xor_b32_e32 v2, vcc_lo, v3
	v_cmp_gt_i32_e32 vcc_lo, 0, v1
	v_ashrrev_i32_e32 v1, 31, v5
	v_add_lshl_u32 v3, v4, v29, 2
	v_and_b32_e32 v0, v0, v2
	s_delay_alu instid0(VALU_DEP_3) | instskip(SKIP_3) | instid1(VALU_DEP_1)
	v_xor_b32_e32 v1, vcc_lo, v1
	ds_load_b32 v18, v3 offset:24
	v_add_nc_u32_e32 v20, 24, v3
	; wave barrier
	v_and_b32_e32 v0, v0, v1
	v_mbcnt_lo_u32_b32 v19, v0, 0
	v_cmp_ne_u32_e64 s13, 0, v0
	s_delay_alu instid0(VALU_DEP_2) | instskip(NEXT) | instid1(VALU_DEP_2)
	v_cmp_eq_u32_e32 vcc_lo, 0, v19
	s_and_b32 s17, s13, vcc_lo
	s_delay_alu instid0(SALU_CYCLE_1)
	s_and_saveexec_b32 s13, s17
	s_cbranch_execz .LBB23_10
; %bb.9:                                ;   in Loop: Header=BB23_4 Depth=2
	s_waitcnt lgkmcnt(0)
	v_bcnt_u32_b32 v0, v0, v18
	ds_store_b32 v20, v0
.LBB23_10:                              ;   in Loop: Header=BB23_4 Depth=2
	s_or_b32 exec_lo, exec_lo, s13
	v_bfe_u32 v0, v41, s16, 1
	v_lshrrev_b32_e32 v1, s16, v41
	; wave barrier
	s_delay_alu instid0(VALU_DEP_2) | instskip(NEXT) | instid1(VALU_DEP_1)
	v_add_co_u32 v0, s13, v0, -1
	v_cndmask_b32_e64 v2, 0, 1, s13
	s_delay_alu instid0(VALU_DEP_3)
	v_lshlrev_b32_e32 v3, 30, v1
	v_lshlrev_b32_e32 v4, 29, v1
	;; [unrolled: 1-line block ×4, first 2 shown]
	v_cmp_ne_u32_e32 vcc_lo, 0, v2
	v_not_b32_e32 v2, v3
	v_cmp_gt_i32_e64 s13, 0, v3
	v_not_b32_e32 v3, v4
	v_lshlrev_b32_e32 v7, 26, v1
	v_xor_b32_e32 v0, vcc_lo, v0
	v_ashrrev_i32_e32 v2, 31, v2
	v_cmp_gt_i32_e32 vcc_lo, 0, v4
	v_not_b32_e32 v4, v5
	v_ashrrev_i32_e32 v3, 31, v3
	v_and_b32_e32 v0, exec_lo, v0
	v_xor_b32_e32 v2, s13, v2
	v_cmp_gt_i32_e64 s13, 0, v5
	v_not_b32_e32 v5, v6
	v_ashrrev_i32_e32 v4, 31, v4
	v_xor_b32_e32 v3, vcc_lo, v3
	v_and_b32_e32 v0, v0, v2
	v_cmp_gt_i32_e32 vcc_lo, 0, v6
	v_not_b32_e32 v2, v7
	v_ashrrev_i32_e32 v5, 31, v5
	v_xor_b32_e32 v4, s13, v4
	v_and_b32_e32 v0, v0, v3
	v_lshlrev_b32_e32 v3, 25, v1
	v_cmp_gt_i32_e64 s13, 0, v7
	v_ashrrev_i32_e32 v2, 31, v2
	v_xor_b32_e32 v5, vcc_lo, v5
	v_and_b32_e32 v0, v0, v4
	v_not_b32_e32 v6, v3
	v_lshlrev_b32_e32 v1, 24, v1
	v_bfe_u32 v4, v41, s16, 8
	v_xor_b32_e32 v2, s13, v2
	v_and_b32_e32 v0, v0, v5
	v_cmp_gt_i32_e32 vcc_lo, 0, v3
	v_ashrrev_i32_e32 v3, 31, v6
	v_not_b32_e32 v5, v1
	v_mul_u32_u24_e32 v4, 6, v4
	v_and_b32_e32 v0, v0, v2
	s_delay_alu instid0(VALU_DEP_4) | instskip(SKIP_3) | instid1(VALU_DEP_4)
	v_xor_b32_e32 v2, vcc_lo, v3
	v_cmp_gt_i32_e32 vcc_lo, 0, v1
	v_ashrrev_i32_e32 v1, 31, v5
	v_add_lshl_u32 v3, v4, v29, 2
	v_and_b32_e32 v0, v0, v2
	s_delay_alu instid0(VALU_DEP_3) | instskip(SKIP_3) | instid1(VALU_DEP_1)
	v_xor_b32_e32 v1, vcc_lo, v1
	ds_load_b32 v47, v3 offset:24
	v_add_nc_u32_e32 v49, 24, v3
	; wave barrier
	v_and_b32_e32 v0, v0, v1
	v_mbcnt_lo_u32_b32 v48, v0, 0
	v_cmp_ne_u32_e64 s13, 0, v0
	s_delay_alu instid0(VALU_DEP_2) | instskip(NEXT) | instid1(VALU_DEP_2)
	v_cmp_eq_u32_e32 vcc_lo, 0, v48
	s_and_b32 s17, s13, vcc_lo
	s_delay_alu instid0(SALU_CYCLE_1)
	s_and_saveexec_b32 s13, s17
	s_cbranch_execz .LBB23_12
; %bb.11:                               ;   in Loop: Header=BB23_4 Depth=2
	s_waitcnt lgkmcnt(0)
	v_bcnt_u32_b32 v0, v0, v47
	ds_store_b32 v49, v0
.LBB23_12:                              ;   in Loop: Header=BB23_4 Depth=2
	s_or_b32 exec_lo, exec_lo, s13
	v_bfe_u32 v0, v35, s16, 1
	v_lshrrev_b32_e32 v1, s16, v35
	; wave barrier
	s_delay_alu instid0(VALU_DEP_2) | instskip(NEXT) | instid1(VALU_DEP_1)
	v_add_co_u32 v0, s13, v0, -1
	v_cndmask_b32_e64 v2, 0, 1, s13
	s_delay_alu instid0(VALU_DEP_3)
	v_lshlrev_b32_e32 v3, 30, v1
	v_lshlrev_b32_e32 v4, 29, v1
	;; [unrolled: 1-line block ×4, first 2 shown]
	v_cmp_ne_u32_e32 vcc_lo, 0, v2
	v_not_b32_e32 v2, v3
	v_cmp_gt_i32_e64 s13, 0, v3
	v_not_b32_e32 v3, v4
	v_lshlrev_b32_e32 v7, 26, v1
	v_xor_b32_e32 v0, vcc_lo, v0
	v_ashrrev_i32_e32 v2, 31, v2
	v_cmp_gt_i32_e32 vcc_lo, 0, v4
	v_not_b32_e32 v4, v5
	v_ashrrev_i32_e32 v3, 31, v3
	v_and_b32_e32 v0, exec_lo, v0
	v_xor_b32_e32 v2, s13, v2
	v_cmp_gt_i32_e64 s13, 0, v5
	v_not_b32_e32 v5, v6
	v_ashrrev_i32_e32 v4, 31, v4
	v_xor_b32_e32 v3, vcc_lo, v3
	v_and_b32_e32 v0, v0, v2
	v_cmp_gt_i32_e32 vcc_lo, 0, v6
	v_not_b32_e32 v2, v7
	v_ashrrev_i32_e32 v5, 31, v5
	v_xor_b32_e32 v4, s13, v4
	v_and_b32_e32 v0, v0, v3
	v_lshlrev_b32_e32 v3, 25, v1
	v_cmp_gt_i32_e64 s13, 0, v7
	v_ashrrev_i32_e32 v2, 31, v2
	v_xor_b32_e32 v5, vcc_lo, v5
	v_and_b32_e32 v0, v0, v4
	v_not_b32_e32 v6, v3
	v_lshlrev_b32_e32 v1, 24, v1
	v_bfe_u32 v4, v35, s16, 8
	v_xor_b32_e32 v2, s13, v2
	v_and_b32_e32 v0, v0, v5
	v_cmp_gt_i32_e32 vcc_lo, 0, v3
	v_ashrrev_i32_e32 v3, 31, v6
	v_not_b32_e32 v5, v1
	v_mul_u32_u24_e32 v4, 6, v4
	v_and_b32_e32 v0, v0, v2
	s_delay_alu instid0(VALU_DEP_4) | instskip(SKIP_3) | instid1(VALU_DEP_4)
	v_xor_b32_e32 v2, vcc_lo, v3
	v_cmp_gt_i32_e32 vcc_lo, 0, v1
	v_ashrrev_i32_e32 v1, 31, v5
	v_add_lshl_u32 v3, v4, v29, 2
	v_and_b32_e32 v0, v0, v2
	s_delay_alu instid0(VALU_DEP_3) | instskip(SKIP_3) | instid1(VALU_DEP_1)
	v_xor_b32_e32 v1, vcc_lo, v1
	ds_load_b32 v50, v3 offset:24
	v_add_nc_u32_e32 v52, 24, v3
	; wave barrier
	v_and_b32_e32 v0, v0, v1
	v_mbcnt_lo_u32_b32 v51, v0, 0
	v_cmp_ne_u32_e64 s13, 0, v0
	s_delay_alu instid0(VALU_DEP_2) | instskip(NEXT) | instid1(VALU_DEP_2)
	v_cmp_eq_u32_e32 vcc_lo, 0, v51
	s_and_b32 s17, s13, vcc_lo
	s_delay_alu instid0(SALU_CYCLE_1)
	s_and_saveexec_b32 s13, s17
	s_cbranch_execz .LBB23_14
; %bb.13:                               ;   in Loop: Header=BB23_4 Depth=2
	s_waitcnt lgkmcnt(0)
	v_bcnt_u32_b32 v0, v0, v50
	ds_store_b32 v52, v0
.LBB23_14:                              ;   in Loop: Header=BB23_4 Depth=2
	s_or_b32 exec_lo, exec_lo, s13
	v_bfe_u32 v0, v34, s16, 1
	v_lshrrev_b32_e32 v1, s16, v34
	; wave barrier
	s_delay_alu instid0(VALU_DEP_2) | instskip(NEXT) | instid1(VALU_DEP_1)
	v_add_co_u32 v0, s13, v0, -1
	v_cndmask_b32_e64 v2, 0, 1, s13
	s_delay_alu instid0(VALU_DEP_3)
	v_lshlrev_b32_e32 v3, 30, v1
	v_lshlrev_b32_e32 v4, 29, v1
	;; [unrolled: 1-line block ×4, first 2 shown]
	v_cmp_ne_u32_e32 vcc_lo, 0, v2
	v_not_b32_e32 v2, v3
	v_cmp_gt_i32_e64 s13, 0, v3
	v_not_b32_e32 v3, v4
	v_lshlrev_b32_e32 v7, 26, v1
	v_xor_b32_e32 v0, vcc_lo, v0
	v_ashrrev_i32_e32 v2, 31, v2
	v_cmp_gt_i32_e32 vcc_lo, 0, v4
	v_not_b32_e32 v4, v5
	v_ashrrev_i32_e32 v3, 31, v3
	v_and_b32_e32 v0, exec_lo, v0
	v_xor_b32_e32 v2, s13, v2
	v_cmp_gt_i32_e64 s13, 0, v5
	v_not_b32_e32 v5, v6
	v_ashrrev_i32_e32 v4, 31, v4
	v_xor_b32_e32 v3, vcc_lo, v3
	v_and_b32_e32 v0, v0, v2
	v_cmp_gt_i32_e32 vcc_lo, 0, v6
	v_not_b32_e32 v2, v7
	v_ashrrev_i32_e32 v5, 31, v5
	v_xor_b32_e32 v4, s13, v4
	v_and_b32_e32 v0, v0, v3
	v_lshlrev_b32_e32 v3, 25, v1
	v_cmp_gt_i32_e64 s13, 0, v7
	v_ashrrev_i32_e32 v2, 31, v2
	v_xor_b32_e32 v5, vcc_lo, v5
	v_and_b32_e32 v0, v0, v4
	v_not_b32_e32 v6, v3
	v_lshlrev_b32_e32 v1, 24, v1
	v_bfe_u32 v4, v34, s16, 8
	v_xor_b32_e32 v2, s13, v2
	v_and_b32_e32 v0, v0, v5
	v_cmp_gt_i32_e32 vcc_lo, 0, v3
	v_ashrrev_i32_e32 v3, 31, v6
	v_not_b32_e32 v5, v1
	v_mul_u32_u24_e32 v4, 6, v4
	v_and_b32_e32 v0, v0, v2
	s_delay_alu instid0(VALU_DEP_4) | instskip(SKIP_3) | instid1(VALU_DEP_4)
	v_xor_b32_e32 v2, vcc_lo, v3
	v_cmp_gt_i32_e32 vcc_lo, 0, v1
	v_ashrrev_i32_e32 v1, 31, v5
	v_add_lshl_u32 v3, v4, v29, 2
	v_and_b32_e32 v0, v0, v2
	s_delay_alu instid0(VALU_DEP_3) | instskip(SKIP_3) | instid1(VALU_DEP_1)
	v_xor_b32_e32 v1, vcc_lo, v1
	ds_load_b32 v53, v3 offset:24
	v_add_nc_u32_e32 v55, 24, v3
	; wave barrier
	v_and_b32_e32 v0, v0, v1
	v_mbcnt_lo_u32_b32 v54, v0, 0
	v_cmp_ne_u32_e64 s13, 0, v0
	s_delay_alu instid0(VALU_DEP_2) | instskip(NEXT) | instid1(VALU_DEP_2)
	v_cmp_eq_u32_e32 vcc_lo, 0, v54
	s_and_b32 s17, s13, vcc_lo
	s_delay_alu instid0(SALU_CYCLE_1)
	s_and_saveexec_b32 s13, s17
	s_cbranch_execz .LBB23_16
; %bb.15:                               ;   in Loop: Header=BB23_4 Depth=2
	s_waitcnt lgkmcnt(0)
	v_bcnt_u32_b32 v0, v0, v53
	ds_store_b32 v55, v0
.LBB23_16:                              ;   in Loop: Header=BB23_4 Depth=2
	s_or_b32 exec_lo, exec_lo, s13
	v_bfe_u32 v0, v32, s16, 1
	v_lshrrev_b32_e32 v1, s16, v32
	; wave barrier
	s_delay_alu instid0(VALU_DEP_2) | instskip(NEXT) | instid1(VALU_DEP_1)
	v_add_co_u32 v0, s13, v0, -1
	v_cndmask_b32_e64 v2, 0, 1, s13
	s_delay_alu instid0(VALU_DEP_3)
	v_lshlrev_b32_e32 v3, 30, v1
	v_lshlrev_b32_e32 v4, 29, v1
	;; [unrolled: 1-line block ×4, first 2 shown]
	v_cmp_ne_u32_e32 vcc_lo, 0, v2
	v_not_b32_e32 v2, v3
	v_cmp_gt_i32_e64 s13, 0, v3
	v_not_b32_e32 v3, v4
	v_lshlrev_b32_e32 v7, 26, v1
	v_xor_b32_e32 v0, vcc_lo, v0
	v_ashrrev_i32_e32 v2, 31, v2
	v_cmp_gt_i32_e32 vcc_lo, 0, v4
	v_not_b32_e32 v4, v5
	v_ashrrev_i32_e32 v3, 31, v3
	v_and_b32_e32 v0, exec_lo, v0
	v_xor_b32_e32 v2, s13, v2
	v_cmp_gt_i32_e64 s13, 0, v5
	v_not_b32_e32 v5, v6
	v_ashrrev_i32_e32 v4, 31, v4
	v_xor_b32_e32 v3, vcc_lo, v3
	v_and_b32_e32 v0, v0, v2
	v_cmp_gt_i32_e32 vcc_lo, 0, v6
	v_not_b32_e32 v2, v7
	v_ashrrev_i32_e32 v5, 31, v5
	v_xor_b32_e32 v4, s13, v4
	v_and_b32_e32 v0, v0, v3
	v_lshlrev_b32_e32 v3, 25, v1
	v_cmp_gt_i32_e64 s13, 0, v7
	v_ashrrev_i32_e32 v2, 31, v2
	v_xor_b32_e32 v5, vcc_lo, v5
	v_and_b32_e32 v0, v0, v4
	v_not_b32_e32 v6, v3
	v_lshlrev_b32_e32 v1, 24, v1
	v_bfe_u32 v4, v32, s16, 8
	v_xor_b32_e32 v2, s13, v2
	v_and_b32_e32 v0, v0, v5
	v_cmp_gt_i32_e32 vcc_lo, 0, v3
	v_ashrrev_i32_e32 v3, 31, v6
	v_not_b32_e32 v5, v1
	v_mul_u32_u24_e32 v4, 6, v4
	v_and_b32_e32 v0, v0, v2
	s_delay_alu instid0(VALU_DEP_4) | instskip(SKIP_3) | instid1(VALU_DEP_4)
	v_xor_b32_e32 v2, vcc_lo, v3
	v_cmp_gt_i32_e32 vcc_lo, 0, v1
	v_ashrrev_i32_e32 v1, 31, v5
	v_add_lshl_u32 v3, v4, v29, 2
	v_and_b32_e32 v0, v0, v2
	s_delay_alu instid0(VALU_DEP_3) | instskip(SKIP_3) | instid1(VALU_DEP_1)
	v_xor_b32_e32 v1, vcc_lo, v1
	ds_load_b32 v56, v3 offset:24
	v_add_nc_u32_e32 v58, 24, v3
	; wave barrier
	v_and_b32_e32 v0, v0, v1
	v_mbcnt_lo_u32_b32 v57, v0, 0
	v_cmp_ne_u32_e64 s13, 0, v0
	s_delay_alu instid0(VALU_DEP_2) | instskip(NEXT) | instid1(VALU_DEP_2)
	v_cmp_eq_u32_e32 vcc_lo, 0, v57
	s_and_b32 s17, s13, vcc_lo
	s_delay_alu instid0(SALU_CYCLE_1)
	s_and_saveexec_b32 s13, s17
	s_cbranch_execz .LBB23_18
; %bb.17:                               ;   in Loop: Header=BB23_4 Depth=2
	s_waitcnt lgkmcnt(0)
	v_bcnt_u32_b32 v0, v0, v56
	ds_store_b32 v58, v0
.LBB23_18:                              ;   in Loop: Header=BB23_4 Depth=2
	s_or_b32 exec_lo, exec_lo, s13
	v_bfe_u32 v0, v31, s16, 1
	v_lshrrev_b32_e32 v1, s16, v31
	; wave barrier
	s_delay_alu instid0(VALU_DEP_2) | instskip(NEXT) | instid1(VALU_DEP_1)
	v_add_co_u32 v0, s13, v0, -1
	v_cndmask_b32_e64 v2, 0, 1, s13
	s_delay_alu instid0(VALU_DEP_3)
	v_lshlrev_b32_e32 v3, 30, v1
	v_lshlrev_b32_e32 v4, 29, v1
	;; [unrolled: 1-line block ×4, first 2 shown]
	v_cmp_ne_u32_e32 vcc_lo, 0, v2
	v_not_b32_e32 v2, v3
	v_cmp_gt_i32_e64 s13, 0, v3
	v_not_b32_e32 v3, v4
	v_lshlrev_b32_e32 v7, 26, v1
	v_xor_b32_e32 v0, vcc_lo, v0
	v_ashrrev_i32_e32 v2, 31, v2
	v_cmp_gt_i32_e32 vcc_lo, 0, v4
	v_not_b32_e32 v4, v5
	v_ashrrev_i32_e32 v3, 31, v3
	v_and_b32_e32 v0, exec_lo, v0
	v_xor_b32_e32 v2, s13, v2
	v_cmp_gt_i32_e64 s13, 0, v5
	v_not_b32_e32 v5, v6
	v_ashrrev_i32_e32 v4, 31, v4
	v_xor_b32_e32 v3, vcc_lo, v3
	v_and_b32_e32 v0, v0, v2
	v_cmp_gt_i32_e32 vcc_lo, 0, v6
	v_not_b32_e32 v2, v7
	v_ashrrev_i32_e32 v5, 31, v5
	v_xor_b32_e32 v4, s13, v4
	v_and_b32_e32 v0, v0, v3
	v_lshlrev_b32_e32 v3, 25, v1
	v_cmp_gt_i32_e64 s13, 0, v7
	v_ashrrev_i32_e32 v2, 31, v2
	v_xor_b32_e32 v5, vcc_lo, v5
	v_and_b32_e32 v0, v0, v4
	v_not_b32_e32 v6, v3
	v_lshlrev_b32_e32 v1, 24, v1
	v_bfe_u32 v4, v31, s16, 8
	v_xor_b32_e32 v2, s13, v2
	v_and_b32_e32 v0, v0, v5
	v_cmp_gt_i32_e32 vcc_lo, 0, v3
	v_ashrrev_i32_e32 v3, 31, v6
	v_not_b32_e32 v5, v1
	v_mul_u32_u24_e32 v4, 6, v4
	v_and_b32_e32 v0, v0, v2
	s_delay_alu instid0(VALU_DEP_4) | instskip(SKIP_3) | instid1(VALU_DEP_4)
	v_xor_b32_e32 v2, vcc_lo, v3
	v_cmp_gt_i32_e32 vcc_lo, 0, v1
	v_ashrrev_i32_e32 v1, 31, v5
	v_add_lshl_u32 v3, v4, v29, 2
	v_and_b32_e32 v0, v0, v2
	s_delay_alu instid0(VALU_DEP_3) | instskip(SKIP_3) | instid1(VALU_DEP_1)
	v_xor_b32_e32 v1, vcc_lo, v1
	ds_load_b32 v60, v3 offset:24
	v_add_nc_u32_e32 v59, 24, v3
	; wave barrier
	v_and_b32_e32 v0, v0, v1
	v_mbcnt_lo_u32_b32 v61, v0, 0
	v_cmp_ne_u32_e64 s13, 0, v0
	s_delay_alu instid0(VALU_DEP_2) | instskip(NEXT) | instid1(VALU_DEP_2)
	v_cmp_eq_u32_e32 vcc_lo, 0, v61
	s_and_b32 s17, s13, vcc_lo
	s_delay_alu instid0(SALU_CYCLE_1)
	s_and_saveexec_b32 s13, s17
	s_cbranch_execz .LBB23_20
; %bb.19:                               ;   in Loop: Header=BB23_4 Depth=2
	s_waitcnt lgkmcnt(0)
	v_bcnt_u32_b32 v0, v0, v60
	ds_store_b32 v59, v0
.LBB23_20:                              ;   in Loop: Header=BB23_4 Depth=2
	s_or_b32 exec_lo, exec_lo, s13
	; wave barrier
	s_waitcnt lgkmcnt(0)
	s_barrier
	buffer_gl0_inv
	ds_load_2addr_b64 v[4:7], v21 offset0:3 offset1:4
	ds_load_2addr_b64 v[0:3], v22 offset0:2 offset1:3
	s_waitcnt lgkmcnt(1)
	v_add_nc_u32_e32 v62, v5, v4
	s_delay_alu instid0(VALU_DEP_1) | instskip(SKIP_1) | instid1(VALU_DEP_1)
	v_add3_u32 v62, v62, v6, v7
	s_waitcnt lgkmcnt(0)
	v_add3_u32 v62, v62, v0, v1
	s_delay_alu instid0(VALU_DEP_1) | instskip(NEXT) | instid1(VALU_DEP_1)
	v_add3_u32 v3, v62, v2, v3
	v_mov_b32_dpp v62, v3 row_shr:1 row_mask:0xf bank_mask:0xf
	s_delay_alu instid0(VALU_DEP_1) | instskip(NEXT) | instid1(VALU_DEP_1)
	v_cndmask_b32_e64 v62, v62, 0, s1
	v_add_nc_u32_e32 v3, v62, v3
	s_delay_alu instid0(VALU_DEP_1) | instskip(NEXT) | instid1(VALU_DEP_1)
	v_mov_b32_dpp v62, v3 row_shr:2 row_mask:0xf bank_mask:0xf
	v_cndmask_b32_e64 v62, 0, v62, s2
	s_delay_alu instid0(VALU_DEP_1) | instskip(NEXT) | instid1(VALU_DEP_1)
	v_add_nc_u32_e32 v3, v3, v62
	v_mov_b32_dpp v62, v3 row_shr:4 row_mask:0xf bank_mask:0xf
	s_delay_alu instid0(VALU_DEP_1) | instskip(NEXT) | instid1(VALU_DEP_1)
	v_cndmask_b32_e64 v62, 0, v62, s3
	v_add_nc_u32_e32 v3, v3, v62
	s_delay_alu instid0(VALU_DEP_1) | instskip(NEXT) | instid1(VALU_DEP_1)
	v_mov_b32_dpp v62, v3 row_shr:8 row_mask:0xf bank_mask:0xf
	v_cndmask_b32_e64 v62, 0, v62, s4
	s_delay_alu instid0(VALU_DEP_1) | instskip(SKIP_3) | instid1(VALU_DEP_1)
	v_add_nc_u32_e32 v3, v3, v62
	ds_swizzle_b32 v62, v3 offset:swizzle(BROADCAST,32,15)
	s_waitcnt lgkmcnt(0)
	v_cndmask_b32_e64 v62, v62, 0, s5
	v_add_nc_u32_e32 v3, v3, v62
	s_and_saveexec_b32 s13, s12
	s_cbranch_execz .LBB23_22
; %bb.21:                               ;   in Loop: Header=BB23_4 Depth=2
	ds_store_b32 v24, v3
.LBB23_22:                              ;   in Loop: Header=BB23_4 Depth=2
	s_or_b32 exec_lo, exec_lo, s13
	s_waitcnt lgkmcnt(0)
	s_barrier
	buffer_gl0_inv
	s_and_saveexec_b32 s13, s6
	s_cbranch_execz .LBB23_24
; %bb.23:                               ;   in Loop: Header=BB23_4 Depth=2
	ds_load_b32 v62, v25
	s_waitcnt lgkmcnt(0)
	v_mov_b32_dpp v63, v62 row_shr:1 row_mask:0xf bank_mask:0xf
	s_delay_alu instid0(VALU_DEP_1) | instskip(NEXT) | instid1(VALU_DEP_1)
	v_cndmask_b32_e64 v63, v63, 0, s9
	v_add_nc_u32_e32 v62, v63, v62
	s_delay_alu instid0(VALU_DEP_1) | instskip(NEXT) | instid1(VALU_DEP_1)
	v_mov_b32_dpp v63, v62 row_shr:2 row_mask:0xf bank_mask:0xf
	v_cndmask_b32_e64 v63, 0, v63, s10
	s_delay_alu instid0(VALU_DEP_1) | instskip(NEXT) | instid1(VALU_DEP_1)
	v_add_nc_u32_e32 v62, v62, v63
	v_mov_b32_dpp v63, v62 row_shr:4 row_mask:0xf bank_mask:0xf
	s_delay_alu instid0(VALU_DEP_1) | instskip(NEXT) | instid1(VALU_DEP_1)
	v_cndmask_b32_e64 v63, 0, v63, s11
	v_add_nc_u32_e32 v62, v62, v63
	ds_store_b32 v25, v62
.LBB23_24:                              ;   in Loop: Header=BB23_4 Depth=2
	s_or_b32 exec_lo, exec_lo, s13
	v_mov_b32_e32 v62, 0
	s_waitcnt lgkmcnt(0)
	s_barrier
	buffer_gl0_inv
	s_and_saveexec_b32 s13, s7
	s_cbranch_execz .LBB23_26
; %bb.25:                               ;   in Loop: Header=BB23_4 Depth=2
	ds_load_b32 v62, v28
.LBB23_26:                              ;   in Loop: Header=BB23_4 Depth=2
	s_or_b32 exec_lo, exec_lo, s13
	s_waitcnt lgkmcnt(0)
	v_add_nc_u32_e32 v3, v62, v3
	s_cmp_gt_u32 s16, 23
	ds_bpermute_b32 v3, v23, v3
	s_waitcnt lgkmcnt(0)
	v_cndmask_b32_e64 v3, v3, v62, s0
	s_delay_alu instid0(VALU_DEP_1) | instskip(NEXT) | instid1(VALU_DEP_1)
	v_cndmask_b32_e64 v3, v3, 0, s8
	v_add_nc_u32_e32 v4, v3, v4
	s_delay_alu instid0(VALU_DEP_1) | instskip(NEXT) | instid1(VALU_DEP_1)
	v_add_nc_u32_e32 v5, v4, v5
	v_add_nc_u32_e32 v6, v5, v6
	s_delay_alu instid0(VALU_DEP_1) | instskip(NEXT) | instid1(VALU_DEP_1)
	v_add_nc_u32_e32 v62, v6, v7
	;; [unrolled: 3-line block ×3, first 2 shown]
	v_add_nc_u32_e32 v1, v0, v2
	ds_store_2addr_b64 v21, v[3:4], v[5:6] offset0:3 offset1:4
	ds_store_2addr_b64 v22, v[62:63], v[0:1] offset0:2 offset1:3
	s_waitcnt lgkmcnt(0)
	s_barrier
	buffer_gl0_inv
	ds_load_b32 v0, v14
	ds_load_b32 v1, v17
	;; [unrolled: 1-line block ×8, first 2 shown]
	s_waitcnt lgkmcnt(7)
	v_add_nc_u32_e32 v59, v0, v13
	s_waitcnt lgkmcnt(6)
	v_add3_u32 v58, v16, v15, v1
	s_waitcnt lgkmcnt(5)
	v_add3_u32 v55, v19, v18, v2
	;; [unrolled: 2-line block ×7, first 2 shown]
	s_cbranch_scc0 .LBB23_3
; %bb.27:                               ;   in Loop: Header=BB23_2 Depth=1
                                        ; implicit-def: $vgpr20
                                        ; implicit-def: $vgpr18
                                        ; implicit-def: $vgpr16
                                        ; implicit-def: $vgpr14
                                        ; implicit-def: $vgpr7
                                        ; implicit-def: $vgpr5
                                        ; implicit-def: $vgpr3
                                        ; implicit-def: $vgpr1
                                        ; implicit-def: $sgpr16
	s_branch .LBB23_1
.LBB23_28:
	v_lshlrev_b32_e32 v8, 2, v8
	s_add_u32 s0, s18, s14
	s_waitcnt lgkmcnt(0)
	v_add_nc_u32_e32 v9, v19, v0
	s_addc_u32 s1, s19, s15
	v_add_nc_u32_e32 v4, v15, v4
	v_add_co_u32 v0, s2, s0, v8
	v_add_nc_u32_e32 v10, v20, v1
	v_add_co_ci_u32_e64 v1, null, s1, 0, s2
	v_add_nc_u32_e32 v5, v16, v5
	v_add_nc_u32_e32 v6, v17, v6
	;; [unrolled: 1-line block ×3, first 2 shown]
	v_add_co_u32 v0, vcc_lo, 0x1000, v0
	v_add_nc_u32_e32 v2, v14, v2
	v_add_nc_u32_e32 v3, v13, v3
	v_add_co_ci_u32_e32 v1, vcc_lo, 0, v1, vcc_lo
	s_clause 0x7
	global_store_b32 v8, v4, s[0:1]
	global_store_b32 v8, v5, s[0:1] offset:768
	global_store_b32 v8, v6, s[0:1] offset:1536
	;; [unrolled: 1-line block ×5, first 2 shown]
	global_store_b32 v[0:1], v2, off offset:512
	global_store_b32 v[0:1], v3, off offset:1280
	s_nop 0
	s_sendmsg sendmsg(MSG_DEALLOC_VGPRS)
	s_endpgm
	.section	.rodata,"a",@progbits
	.p2align	6, 0x0
	.amdhsa_kernel _Z17sort_pairs_kernelI22helper_blocked_blockediLj192ELj8ELj10EEvPKT0_PS1_
		.amdhsa_group_segment_fixed_size 6176
		.amdhsa_private_segment_fixed_size 0
		.amdhsa_kernarg_size 272
		.amdhsa_user_sgpr_count 15
		.amdhsa_user_sgpr_dispatch_ptr 0
		.amdhsa_user_sgpr_queue_ptr 0
		.amdhsa_user_sgpr_kernarg_segment_ptr 1
		.amdhsa_user_sgpr_dispatch_id 0
		.amdhsa_user_sgpr_private_segment_size 0
		.amdhsa_wavefront_size32 1
		.amdhsa_uses_dynamic_stack 0
		.amdhsa_enable_private_segment 0
		.amdhsa_system_sgpr_workgroup_id_x 1
		.amdhsa_system_sgpr_workgroup_id_y 0
		.amdhsa_system_sgpr_workgroup_id_z 0
		.amdhsa_system_sgpr_workgroup_info 0
		.amdhsa_system_vgpr_workitem_id 2
		.amdhsa_next_free_vgpr 64
		.amdhsa_next_free_sgpr 22
		.amdhsa_reserve_vcc 1
		.amdhsa_float_round_mode_32 0
		.amdhsa_float_round_mode_16_64 0
		.amdhsa_float_denorm_mode_32 3
		.amdhsa_float_denorm_mode_16_64 3
		.amdhsa_dx10_clamp 1
		.amdhsa_ieee_mode 1
		.amdhsa_fp16_overflow 0
		.amdhsa_workgroup_processor_mode 1
		.amdhsa_memory_ordered 1
		.amdhsa_forward_progress 0
		.amdhsa_shared_vgpr_count 0
		.amdhsa_exception_fp_ieee_invalid_op 0
		.amdhsa_exception_fp_denorm_src 0
		.amdhsa_exception_fp_ieee_div_zero 0
		.amdhsa_exception_fp_ieee_overflow 0
		.amdhsa_exception_fp_ieee_underflow 0
		.amdhsa_exception_fp_ieee_inexact 0
		.amdhsa_exception_int_div_zero 0
	.end_amdhsa_kernel
	.section	.text._Z17sort_pairs_kernelI22helper_blocked_blockediLj192ELj8ELj10EEvPKT0_PS1_,"axG",@progbits,_Z17sort_pairs_kernelI22helper_blocked_blockediLj192ELj8ELj10EEvPKT0_PS1_,comdat
.Lfunc_end23:
	.size	_Z17sort_pairs_kernelI22helper_blocked_blockediLj192ELj8ELj10EEvPKT0_PS1_, .Lfunc_end23-_Z17sort_pairs_kernelI22helper_blocked_blockediLj192ELj8ELj10EEvPKT0_PS1_
                                        ; -- End function
	.section	.AMDGPU.csdata,"",@progbits
; Kernel info:
; codeLenInByte = 4928
; NumSgprs: 24
; NumVgprs: 64
; ScratchSize: 0
; MemoryBound: 0
; FloatMode: 240
; IeeeMode: 1
; LDSByteSize: 6176 bytes/workgroup (compile time only)
; SGPRBlocks: 2
; VGPRBlocks: 7
; NumSGPRsForWavesPerEU: 24
; NumVGPRsForWavesPerEU: 64
; Occupancy: 15
; WaveLimiterHint : 1
; COMPUTE_PGM_RSRC2:SCRATCH_EN: 0
; COMPUTE_PGM_RSRC2:USER_SGPR: 15
; COMPUTE_PGM_RSRC2:TRAP_HANDLER: 0
; COMPUTE_PGM_RSRC2:TGID_X_EN: 1
; COMPUTE_PGM_RSRC2:TGID_Y_EN: 0
; COMPUTE_PGM_RSRC2:TGID_Z_EN: 0
; COMPUTE_PGM_RSRC2:TIDIG_COMP_CNT: 2
	.section	.text._Z16sort_keys_kernelI22helper_blocked_blockediLj256ELj1ELj10EEvPKT0_PS1_,"axG",@progbits,_Z16sort_keys_kernelI22helper_blocked_blockediLj256ELj1ELj10EEvPKT0_PS1_,comdat
	.protected	_Z16sort_keys_kernelI22helper_blocked_blockediLj256ELj1ELj10EEvPKT0_PS1_ ; -- Begin function _Z16sort_keys_kernelI22helper_blocked_blockediLj256ELj1ELj10EEvPKT0_PS1_
	.globl	_Z16sort_keys_kernelI22helper_blocked_blockediLj256ELj1ELj10EEvPKT0_PS1_
	.p2align	8
	.type	_Z16sort_keys_kernelI22helper_blocked_blockediLj256ELj1ELj10EEvPKT0_PS1_,@function
_Z16sort_keys_kernelI22helper_blocked_blockediLj256ELj1ELj10EEvPKT0_PS1_: ; @_Z16sort_keys_kernelI22helper_blocked_blockediLj256ELj1ELj10EEvPKT0_PS1_
; %bb.0:
	s_clause 0x1
	s_load_b128 s[16:19], s[0:1], 0x0
	s_load_b32 s11, s[0:1], 0x1c
	s_mov_b32 s23, 0
	s_lshl_b32 s22, s15, 8
	v_mbcnt_lo_u32_b32 v3, -1, 0
	s_lshl_b64 s[20:21], s[22:23], 2
	s_mov_b32 s22, s23
	s_mov_b32 s15, 10
	s_delay_alu instid0(VALU_DEP_1) | instskip(SKIP_3) | instid1(VALU_DEP_4)
	v_dual_mov_b32 v11, s22 :: v_dual_add_nc_u32 v6, -1, v3
	v_and_b32_e32 v4, 15, v3
	v_dual_mov_b32 v12, s23 :: v_dual_and_b32 v5, 16, v3
	v_and_b32_e32 v7, 7, v3
	v_cmp_gt_i32_e64 s7, 0, v6
	s_delay_alu instid0(VALU_DEP_4)
	v_cmp_lt_u32_e64 s2, 3, v4
	v_cmp_lt_u32_e64 s3, 7, v4
	v_cmp_eq_u32_e64 s4, 0, v5
	v_cmp_eq_u32_e64 s8, 0, v7
	v_cndmask_b32_e64 v5, v6, v3, s7
	s_waitcnt lgkmcnt(0)
	s_add_u32 s0, s16, s20
	s_addc_u32 s1, s17, s21
	s_mov_b32 s16, s23
	s_mov_b32 s17, s23
	v_dual_mov_b32 v9, s16 :: v_dual_and_b32 v8, 0x3ff, v0
	v_mov_b32_e32 v10, s17
	s_lshr_b32 s10, s11, 16
	s_and_b32 s11, s11, 0xffff
	s_delay_alu instid0(VALU_DEP_2)
	v_lshlrev_b32_e32 v1, 2, v8
	v_lshrrev_b32_e32 v6, 3, v8
	v_lshlrev_b32_e32 v13, 5, v8
	v_mul_i32_i24_e32 v20, 0xffffffe4, v8
	v_cmp_lt_u32_e64 s9, 1, v7
	global_load_b32 v2, v1, s[0:1]
	v_bfe_u32 v1, v0, 10, 10
	v_bfe_u32 v0, v0, 20, 10
	v_cmp_eq_u32_e64 s0, 0, v4
	v_cmp_lt_u32_e64 s1, 1, v4
	v_and_b32_e32 v4, 0xe0, v8
	v_cmp_eq_u32_e32 vcc_lo, 0, v3
	v_mad_u32_u24 v14, v0, s10, v1
	v_cmp_lt_u32_e64 s10, 3, v7
	v_cmp_gt_u32_e64 s5, 8, v8
	v_or_b32_e32 v7, 31, v4
	v_cmp_lt_u32_e64 s6, 31, v8
	v_mad_u64_u32 v[0:1], null, v14, s11, v[8:9]
	v_and_b32_e32 v14, 28, v6
	v_or_b32_e32 v1, v3, v4
	v_cmp_eq_u32_e64 s7, 0, v8
	v_add_nc_u32_e32 v15, 32, v13
	v_lshlrev_b32_e32 v16, 2, v5
	v_cmp_eq_u32_e64 s11, v7, v8
	v_add_nc_u32_e32 v17, -4, v14
	v_lshlrev_b32_e32 v18, 2, v1
	v_lshrrev_b32_e32 v19, 5, v0
	v_add_nc_u32_e32 v20, v13, v20
	s_waitcnt vmcnt(0)
	v_xor_b32_e32 v21, 0x80000000, v2
	s_branch .LBB24_2
.LBB24_1:                               ;   in Loop: Header=BB24_2 Depth=1
	s_or_b32 exec_lo, exec_lo, s12
	s_waitcnt lgkmcnt(0)
	v_add_nc_u32_e32 v3, v24, v3
	s_add_i32 s15, s15, -1
	s_delay_alu instid0(SALU_CYCLE_1) | instskip(SKIP_3) | instid1(VALU_DEP_1)
	s_cmp_eq_u32 s15, 0
	ds_bpermute_b32 v3, v16, v3
	s_waitcnt lgkmcnt(0)
	v_cndmask_b32_e32 v3, v3, v24, vcc_lo
	v_cndmask_b32_e64 v3, v3, 0, s7
	s_delay_alu instid0(VALU_DEP_1) | instskip(NEXT) | instid1(VALU_DEP_1)
	v_add_nc_u32_e32 v4, v3, v4
	v_add_nc_u32_e32 v5, v4, v5
	s_delay_alu instid0(VALU_DEP_1) | instskip(NEXT) | instid1(VALU_DEP_1)
	v_add_nc_u32_e32 v6, v5, v6
	v_add_nc_u32_e32 v24, v6, v7
	;; [unrolled: 3-line block ×3, first 2 shown]
	s_delay_alu instid0(VALU_DEP_1)
	v_add_nc_u32_e32 v1, v0, v2
	ds_store_2addr_b64 v13, v[3:4], v[5:6] offset0:4 offset1:5
	ds_store_2addr_b64 v15, v[24:25], v[0:1] offset0:2 offset1:3
	s_waitcnt lgkmcnt(0)
	s_barrier
	buffer_gl0_inv
	ds_load_b32 v0, v23
	v_lshlrev_b32_e32 v1, 2, v22
	s_waitcnt lgkmcnt(0)
	s_barrier
	buffer_gl0_inv
	v_lshl_add_u32 v0, v0, 2, v1
	ds_store_b32 v0, v21
	s_waitcnt lgkmcnt(0)
	s_barrier
	buffer_gl0_inv
	ds_load_b32 v21, v20
	s_cbranch_scc1 .LBB24_34
.LBB24_2:                               ; =>This Inner Loop Header: Depth=1
	s_waitcnt lgkmcnt(0)
	s_delay_alu instid0(VALU_DEP_1)
	v_and_b32_e32 v0, 1, v21
	v_lshlrev_b32_e32 v1, 30, v21
	v_lshlrev_b32_e32 v2, 29, v21
	;; [unrolled: 1-line block ×4, first 2 shown]
	v_add_co_u32 v0, s12, v0, -1
	s_delay_alu instid0(VALU_DEP_1)
	v_cndmask_b32_e64 v3, 0, 1, s12
	v_not_b32_e32 v7, v1
	v_cmp_gt_i32_e64 s13, 0, v1
	v_not_b32_e32 v1, v2
	v_lshlrev_b32_e32 v6, 26, v21
	v_cmp_ne_u32_e64 s12, 0, v3
	v_ashrrev_i32_e32 v7, 31, v7
	v_lshlrev_b32_e32 v3, 25, v21
	v_ashrrev_i32_e32 v1, 31, v1
	v_cmp_gt_i32_e64 s14, 0, v5
	v_xor_b32_e32 v0, s12, v0
	v_cmp_gt_i32_e64 s12, 0, v2
	v_not_b32_e32 v2, v4
	v_xor_b32_e32 v7, s13, v7
	v_cmp_gt_i32_e64 s13, 0, v4
	v_and_b32_e32 v0, exec_lo, v0
	v_xor_b32_e32 v1, s12, v1
	v_ashrrev_i32_e32 v2, 31, v2
	v_not_b32_e32 v4, v5
	v_not_b32_e32 v5, v6
	v_and_b32_e32 v0, v0, v7
	v_cmp_gt_i32_e64 s12, 0, v6
	v_xor_b32_e32 v2, s13, v2
	v_not_b32_e32 v6, v3
	ds_store_2addr_b64 v13, v[11:12], v[9:10] offset0:4 offset1:5
	ds_store_2addr_b64 v15, v[11:12], v[9:10] offset0:2 offset1:3
	v_and_b32_e32 v0, v0, v1
	v_ashrrev_i32_e32 v1, 31, v4
	v_ashrrev_i32_e32 v4, 31, v5
	v_lshlrev_b32_e32 v5, 24, v21
	s_waitcnt lgkmcnt(0)
	v_and_b32_e32 v0, v0, v2
	v_xor_b32_e32 v1, s14, v1
	v_xor_b32_e32 v2, s12, v4
	v_cmp_gt_i32_e64 s12, 0, v3
	v_not_b32_e32 v3, v5
	v_ashrrev_i32_e32 v4, 31, v6
	v_and_b32_e32 v0, v0, v1
	v_cmp_gt_i32_e64 s13, 0, v5
	s_barrier
	v_ashrrev_i32_e32 v1, 31, v3
	v_xor_b32_e32 v3, s12, v4
	v_and_b32_e32 v0, v0, v2
	buffer_gl0_inv
	v_xor_b32_e32 v1, s13, v1
	; wave barrier
	v_and_b32_e32 v0, v0, v3
	s_delay_alu instid0(VALU_DEP_1) | instskip(SKIP_1) | instid1(VALU_DEP_2)
	v_and_b32_e32 v0, v0, v1
	v_and_b32_e32 v1, 0xff, v21
	v_mbcnt_lo_u32_b32 v22, v0, 0
	s_delay_alu instid0(VALU_DEP_2) | instskip(SKIP_1) | instid1(VALU_DEP_3)
	v_lshl_add_u32 v1, v1, 3, v19
	v_cmp_ne_u32_e64 s13, 0, v0
	v_cmp_eq_u32_e64 s12, 0, v22
	s_delay_alu instid0(VALU_DEP_3) | instskip(NEXT) | instid1(VALU_DEP_2)
	v_lshl_add_u32 v23, v1, 2, 32
	s_and_b32 s13, s13, s12
	s_delay_alu instid0(SALU_CYCLE_1)
	s_and_saveexec_b32 s12, s13
	s_cbranch_execz .LBB24_4
; %bb.3:                                ;   in Loop: Header=BB24_2 Depth=1
	v_bcnt_u32_b32 v0, v0, 0
	ds_store_b32 v23, v0
.LBB24_4:                               ;   in Loop: Header=BB24_2 Depth=1
	s_or_b32 exec_lo, exec_lo, s12
	; wave barrier
	s_waitcnt lgkmcnt(0)
	s_barrier
	buffer_gl0_inv
	ds_load_2addr_b64 v[4:7], v13 offset0:4 offset1:5
	ds_load_2addr_b64 v[0:3], v15 offset0:2 offset1:3
	s_waitcnt lgkmcnt(1)
	v_add_nc_u32_e32 v24, v5, v4
	s_delay_alu instid0(VALU_DEP_1) | instskip(SKIP_1) | instid1(VALU_DEP_1)
	v_add3_u32 v24, v24, v6, v7
	s_waitcnt lgkmcnt(0)
	v_add3_u32 v24, v24, v0, v1
	s_delay_alu instid0(VALU_DEP_1) | instskip(NEXT) | instid1(VALU_DEP_1)
	v_add3_u32 v3, v24, v2, v3
	v_mov_b32_dpp v24, v3 row_shr:1 row_mask:0xf bank_mask:0xf
	s_delay_alu instid0(VALU_DEP_1) | instskip(NEXT) | instid1(VALU_DEP_1)
	v_cndmask_b32_e64 v24, v24, 0, s0
	v_add_nc_u32_e32 v3, v24, v3
	s_delay_alu instid0(VALU_DEP_1) | instskip(NEXT) | instid1(VALU_DEP_1)
	v_mov_b32_dpp v24, v3 row_shr:2 row_mask:0xf bank_mask:0xf
	v_cndmask_b32_e64 v24, 0, v24, s1
	s_delay_alu instid0(VALU_DEP_1) | instskip(NEXT) | instid1(VALU_DEP_1)
	v_add_nc_u32_e32 v3, v3, v24
	v_mov_b32_dpp v24, v3 row_shr:4 row_mask:0xf bank_mask:0xf
	s_delay_alu instid0(VALU_DEP_1) | instskip(NEXT) | instid1(VALU_DEP_1)
	v_cndmask_b32_e64 v24, 0, v24, s2
	v_add_nc_u32_e32 v3, v3, v24
	s_delay_alu instid0(VALU_DEP_1) | instskip(NEXT) | instid1(VALU_DEP_1)
	v_mov_b32_dpp v24, v3 row_shr:8 row_mask:0xf bank_mask:0xf
	v_cndmask_b32_e64 v24, 0, v24, s3
	s_delay_alu instid0(VALU_DEP_1) | instskip(SKIP_3) | instid1(VALU_DEP_1)
	v_add_nc_u32_e32 v3, v3, v24
	ds_swizzle_b32 v24, v3 offset:swizzle(BROADCAST,32,15)
	s_waitcnt lgkmcnt(0)
	v_cndmask_b32_e64 v24, v24, 0, s4
	v_add_nc_u32_e32 v3, v3, v24
	s_and_saveexec_b32 s12, s11
	s_cbranch_execz .LBB24_6
; %bb.5:                                ;   in Loop: Header=BB24_2 Depth=1
	ds_store_b32 v14, v3
.LBB24_6:                               ;   in Loop: Header=BB24_2 Depth=1
	s_or_b32 exec_lo, exec_lo, s12
	s_waitcnt lgkmcnt(0)
	s_barrier
	buffer_gl0_inv
	s_and_saveexec_b32 s12, s5
	s_cbranch_execz .LBB24_8
; %bb.7:                                ;   in Loop: Header=BB24_2 Depth=1
	ds_load_b32 v24, v20
	s_waitcnt lgkmcnt(0)
	v_mov_b32_dpp v25, v24 row_shr:1 row_mask:0xf bank_mask:0xf
	s_delay_alu instid0(VALU_DEP_1) | instskip(NEXT) | instid1(VALU_DEP_1)
	v_cndmask_b32_e64 v25, v25, 0, s8
	v_add_nc_u32_e32 v24, v25, v24
	s_delay_alu instid0(VALU_DEP_1) | instskip(NEXT) | instid1(VALU_DEP_1)
	v_mov_b32_dpp v25, v24 row_shr:2 row_mask:0xf bank_mask:0xf
	v_cndmask_b32_e64 v25, 0, v25, s9
	s_delay_alu instid0(VALU_DEP_1) | instskip(NEXT) | instid1(VALU_DEP_1)
	v_add_nc_u32_e32 v24, v24, v25
	v_mov_b32_dpp v25, v24 row_shr:4 row_mask:0xf bank_mask:0xf
	s_delay_alu instid0(VALU_DEP_1) | instskip(NEXT) | instid1(VALU_DEP_1)
	v_cndmask_b32_e64 v25, 0, v25, s10
	v_add_nc_u32_e32 v24, v24, v25
	ds_store_b32 v20, v24
.LBB24_8:                               ;   in Loop: Header=BB24_2 Depth=1
	s_or_b32 exec_lo, exec_lo, s12
	v_mov_b32_e32 v24, 0
	s_waitcnt lgkmcnt(0)
	s_barrier
	buffer_gl0_inv
	s_and_saveexec_b32 s12, s6
	s_cbranch_execz .LBB24_10
; %bb.9:                                ;   in Loop: Header=BB24_2 Depth=1
	ds_load_b32 v24, v17
.LBB24_10:                              ;   in Loop: Header=BB24_2 Depth=1
	s_or_b32 exec_lo, exec_lo, s12
	s_waitcnt lgkmcnt(0)
	v_add_nc_u32_e32 v3, v24, v3
	ds_bpermute_b32 v3, v16, v3
	s_waitcnt lgkmcnt(0)
	v_cndmask_b32_e32 v3, v3, v24, vcc_lo
	s_delay_alu instid0(VALU_DEP_1) | instskip(NEXT) | instid1(VALU_DEP_1)
	v_cndmask_b32_e64 v3, v3, 0, s7
	v_add_nc_u32_e32 v4, v3, v4
	s_delay_alu instid0(VALU_DEP_1) | instskip(NEXT) | instid1(VALU_DEP_1)
	v_add_nc_u32_e32 v5, v4, v5
	v_add_nc_u32_e32 v6, v5, v6
	s_delay_alu instid0(VALU_DEP_1) | instskip(NEXT) | instid1(VALU_DEP_1)
	v_add_nc_u32_e32 v24, v6, v7
	;; [unrolled: 3-line block ×3, first 2 shown]
	v_add_nc_u32_e32 v1, v0, v2
	ds_store_2addr_b64 v13, v[3:4], v[5:6] offset0:4 offset1:5
	ds_store_2addr_b64 v15, v[24:25], v[0:1] offset0:2 offset1:3
	s_waitcnt lgkmcnt(0)
	s_barrier
	buffer_gl0_inv
	ds_load_b32 v0, v23
	v_lshlrev_b32_e32 v1, 2, v22
	s_waitcnt lgkmcnt(0)
	s_barrier
	buffer_gl0_inv
	v_lshl_add_u32 v0, v0, 2, v1
	ds_store_b32 v0, v21
	s_waitcnt lgkmcnt(0)
	s_barrier
	buffer_gl0_inv
	ds_load_b32 v21, v18
	s_waitcnt lgkmcnt(0)
	s_barrier
	buffer_gl0_inv
	ds_store_2addr_b64 v13, v[11:12], v[9:10] offset0:4 offset1:5
	ds_store_2addr_b64 v15, v[11:12], v[9:10] offset0:2 offset1:3
	s_waitcnt lgkmcnt(0)
	s_barrier
	buffer_gl0_inv
	; wave barrier
	v_bfe_u32 v0, v21, 8, 1
	v_lshrrev_b32_e32 v1, 8, v21
	s_delay_alu instid0(VALU_DEP_2) | instskip(NEXT) | instid1(VALU_DEP_1)
	v_add_co_u32 v0, s12, v0, -1
	v_cndmask_b32_e64 v2, 0, 1, s12
	s_delay_alu instid0(VALU_DEP_3)
	v_lshlrev_b32_e32 v3, 30, v1
	v_lshlrev_b32_e32 v4, 29, v1
	;; [unrolled: 1-line block ×4, first 2 shown]
	v_cmp_ne_u32_e64 s12, 0, v2
	v_not_b32_e32 v2, v3
	v_cmp_gt_i32_e64 s13, 0, v3
	v_not_b32_e32 v3, v4
	v_lshlrev_b32_e32 v7, 26, v1
	v_xor_b32_e32 v0, s12, v0
	v_ashrrev_i32_e32 v2, 31, v2
	v_cmp_gt_i32_e64 s12, 0, v4
	v_not_b32_e32 v4, v5
	v_ashrrev_i32_e32 v3, 31, v3
	v_and_b32_e32 v0, exec_lo, v0
	v_xor_b32_e32 v2, s13, v2
	v_cmp_gt_i32_e64 s13, 0, v5
	v_not_b32_e32 v5, v6
	v_ashrrev_i32_e32 v4, 31, v4
	v_xor_b32_e32 v3, s12, v3
	v_and_b32_e32 v0, v0, v2
	v_lshlrev_b32_e32 v22, 25, v1
	v_cmp_gt_i32_e64 s12, 0, v6
	v_not_b32_e32 v2, v7
	v_ashrrev_i32_e32 v5, 31, v5
	v_xor_b32_e32 v4, s13, v4
	v_and_b32_e32 v0, v0, v3
	v_lshlrev_b32_e32 v1, 24, v1
	v_cmp_gt_i32_e64 s13, 0, v7
	v_not_b32_e32 v3, v22
	v_ashrrev_i32_e32 v2, 31, v2
	v_xor_b32_e32 v5, s12, v5
	v_and_b32_e32 v0, v0, v4
	v_cmp_gt_i32_e64 s12, 0, v22
	v_not_b32_e32 v4, v1
	v_ashrrev_i32_e32 v3, 31, v3
	v_xor_b32_e32 v2, s13, v2
	v_and_b32_e32 v0, v0, v5
	v_cmp_gt_i32_e64 s13, 0, v1
	v_ashrrev_i32_e32 v1, 31, v4
	v_xor_b32_e32 v3, s12, v3
	s_delay_alu instid0(VALU_DEP_4) | instskip(SKIP_1) | instid1(VALU_DEP_4)
	v_and_b32_e32 v0, v0, v2
	v_lshrrev_b32_e32 v2, 5, v21
	v_xor_b32_e32 v1, s13, v1
	s_delay_alu instid0(VALU_DEP_3) | instskip(NEXT) | instid1(VALU_DEP_1)
	v_and_b32_e32 v0, v0, v3
	v_and_b32_e32 v0, v0, v1
	s_delay_alu instid0(VALU_DEP_4) | instskip(NEXT) | instid1(VALU_DEP_2)
	v_and_b32_e32 v1, 0x7f8, v2
	v_mbcnt_lo_u32_b32 v22, v0, 0
	s_delay_alu instid0(VALU_DEP_2) | instskip(SKIP_1) | instid1(VALU_DEP_3)
	v_add_nc_u32_e32 v1, v1, v19
	v_cmp_ne_u32_e64 s13, 0, v0
	v_cmp_eq_u32_e64 s12, 0, v22
	s_delay_alu instid0(VALU_DEP_3) | instskip(NEXT) | instid1(VALU_DEP_2)
	v_lshl_add_u32 v23, v1, 2, 32
	s_and_b32 s13, s13, s12
	s_delay_alu instid0(SALU_CYCLE_1)
	s_and_saveexec_b32 s12, s13
	s_cbranch_execz .LBB24_12
; %bb.11:                               ;   in Loop: Header=BB24_2 Depth=1
	v_bcnt_u32_b32 v0, v0, 0
	ds_store_b32 v23, v0
.LBB24_12:                              ;   in Loop: Header=BB24_2 Depth=1
	s_or_b32 exec_lo, exec_lo, s12
	; wave barrier
	s_waitcnt lgkmcnt(0)
	s_barrier
	buffer_gl0_inv
	ds_load_2addr_b64 v[4:7], v13 offset0:4 offset1:5
	ds_load_2addr_b64 v[0:3], v15 offset0:2 offset1:3
	s_waitcnt lgkmcnt(1)
	v_add_nc_u32_e32 v24, v5, v4
	s_delay_alu instid0(VALU_DEP_1) | instskip(SKIP_1) | instid1(VALU_DEP_1)
	v_add3_u32 v24, v24, v6, v7
	s_waitcnt lgkmcnt(0)
	v_add3_u32 v24, v24, v0, v1
	s_delay_alu instid0(VALU_DEP_1) | instskip(NEXT) | instid1(VALU_DEP_1)
	v_add3_u32 v3, v24, v2, v3
	v_mov_b32_dpp v24, v3 row_shr:1 row_mask:0xf bank_mask:0xf
	s_delay_alu instid0(VALU_DEP_1) | instskip(NEXT) | instid1(VALU_DEP_1)
	v_cndmask_b32_e64 v24, v24, 0, s0
	v_add_nc_u32_e32 v3, v24, v3
	s_delay_alu instid0(VALU_DEP_1) | instskip(NEXT) | instid1(VALU_DEP_1)
	v_mov_b32_dpp v24, v3 row_shr:2 row_mask:0xf bank_mask:0xf
	v_cndmask_b32_e64 v24, 0, v24, s1
	s_delay_alu instid0(VALU_DEP_1) | instskip(NEXT) | instid1(VALU_DEP_1)
	v_add_nc_u32_e32 v3, v3, v24
	v_mov_b32_dpp v24, v3 row_shr:4 row_mask:0xf bank_mask:0xf
	s_delay_alu instid0(VALU_DEP_1) | instskip(NEXT) | instid1(VALU_DEP_1)
	v_cndmask_b32_e64 v24, 0, v24, s2
	v_add_nc_u32_e32 v3, v3, v24
	s_delay_alu instid0(VALU_DEP_1) | instskip(NEXT) | instid1(VALU_DEP_1)
	v_mov_b32_dpp v24, v3 row_shr:8 row_mask:0xf bank_mask:0xf
	v_cndmask_b32_e64 v24, 0, v24, s3
	s_delay_alu instid0(VALU_DEP_1) | instskip(SKIP_3) | instid1(VALU_DEP_1)
	v_add_nc_u32_e32 v3, v3, v24
	ds_swizzle_b32 v24, v3 offset:swizzle(BROADCAST,32,15)
	s_waitcnt lgkmcnt(0)
	v_cndmask_b32_e64 v24, v24, 0, s4
	v_add_nc_u32_e32 v3, v3, v24
	s_and_saveexec_b32 s12, s11
	s_cbranch_execz .LBB24_14
; %bb.13:                               ;   in Loop: Header=BB24_2 Depth=1
	ds_store_b32 v14, v3
.LBB24_14:                              ;   in Loop: Header=BB24_2 Depth=1
	s_or_b32 exec_lo, exec_lo, s12
	s_waitcnt lgkmcnt(0)
	s_barrier
	buffer_gl0_inv
	s_and_saveexec_b32 s12, s5
	s_cbranch_execz .LBB24_16
; %bb.15:                               ;   in Loop: Header=BB24_2 Depth=1
	ds_load_b32 v24, v20
	s_waitcnt lgkmcnt(0)
	v_mov_b32_dpp v25, v24 row_shr:1 row_mask:0xf bank_mask:0xf
	s_delay_alu instid0(VALU_DEP_1) | instskip(NEXT) | instid1(VALU_DEP_1)
	v_cndmask_b32_e64 v25, v25, 0, s8
	v_add_nc_u32_e32 v24, v25, v24
	s_delay_alu instid0(VALU_DEP_1) | instskip(NEXT) | instid1(VALU_DEP_1)
	v_mov_b32_dpp v25, v24 row_shr:2 row_mask:0xf bank_mask:0xf
	v_cndmask_b32_e64 v25, 0, v25, s9
	s_delay_alu instid0(VALU_DEP_1) | instskip(NEXT) | instid1(VALU_DEP_1)
	v_add_nc_u32_e32 v24, v24, v25
	v_mov_b32_dpp v25, v24 row_shr:4 row_mask:0xf bank_mask:0xf
	s_delay_alu instid0(VALU_DEP_1) | instskip(NEXT) | instid1(VALU_DEP_1)
	v_cndmask_b32_e64 v25, 0, v25, s10
	v_add_nc_u32_e32 v24, v24, v25
	ds_store_b32 v20, v24
.LBB24_16:                              ;   in Loop: Header=BB24_2 Depth=1
	s_or_b32 exec_lo, exec_lo, s12
	v_mov_b32_e32 v24, 0
	s_waitcnt lgkmcnt(0)
	s_barrier
	buffer_gl0_inv
	s_and_saveexec_b32 s12, s6
	s_cbranch_execz .LBB24_18
; %bb.17:                               ;   in Loop: Header=BB24_2 Depth=1
	ds_load_b32 v24, v17
.LBB24_18:                              ;   in Loop: Header=BB24_2 Depth=1
	s_or_b32 exec_lo, exec_lo, s12
	s_waitcnt lgkmcnt(0)
	v_add_nc_u32_e32 v3, v24, v3
	ds_bpermute_b32 v3, v16, v3
	s_waitcnt lgkmcnt(0)
	v_cndmask_b32_e32 v3, v3, v24, vcc_lo
	s_delay_alu instid0(VALU_DEP_1) | instskip(NEXT) | instid1(VALU_DEP_1)
	v_cndmask_b32_e64 v3, v3, 0, s7
	v_add_nc_u32_e32 v4, v3, v4
	s_delay_alu instid0(VALU_DEP_1) | instskip(NEXT) | instid1(VALU_DEP_1)
	v_add_nc_u32_e32 v5, v4, v5
	v_add_nc_u32_e32 v6, v5, v6
	s_delay_alu instid0(VALU_DEP_1) | instskip(NEXT) | instid1(VALU_DEP_1)
	v_add_nc_u32_e32 v24, v6, v7
	;; [unrolled: 3-line block ×3, first 2 shown]
	v_add_nc_u32_e32 v1, v0, v2
	ds_store_2addr_b64 v13, v[3:4], v[5:6] offset0:4 offset1:5
	ds_store_2addr_b64 v15, v[24:25], v[0:1] offset0:2 offset1:3
	s_waitcnt lgkmcnt(0)
	s_barrier
	buffer_gl0_inv
	ds_load_b32 v0, v23
	v_lshlrev_b32_e32 v1, 2, v22
	s_waitcnt lgkmcnt(0)
	s_barrier
	buffer_gl0_inv
	v_lshl_add_u32 v0, v0, 2, v1
	ds_store_b32 v0, v21
	s_waitcnt lgkmcnt(0)
	s_barrier
	buffer_gl0_inv
	ds_load_b32 v21, v18
	s_waitcnt lgkmcnt(0)
	s_barrier
	buffer_gl0_inv
	v_bfe_u32 v0, v21, 16, 1
	v_lshrrev_b32_e32 v1, 16, v21
	s_delay_alu instid0(VALU_DEP_2) | instskip(NEXT) | instid1(VALU_DEP_1)
	v_add_co_u32 v0, s12, v0, -1
	v_cndmask_b32_e64 v2, 0, 1, s12
	s_delay_alu instid0(VALU_DEP_3)
	v_lshlrev_b32_e32 v3, 30, v1
	v_lshlrev_b32_e32 v4, 29, v1
	;; [unrolled: 1-line block ×4, first 2 shown]
	v_cmp_ne_u32_e64 s12, 0, v2
	v_not_b32_e32 v2, v3
	v_cmp_gt_i32_e64 s13, 0, v3
	v_not_b32_e32 v3, v4
	v_lshlrev_b32_e32 v7, 26, v1
	v_xor_b32_e32 v0, s12, v0
	v_ashrrev_i32_e32 v2, 31, v2
	v_cmp_gt_i32_e64 s12, 0, v4
	v_not_b32_e32 v4, v5
	v_ashrrev_i32_e32 v3, 31, v3
	v_and_b32_e32 v0, exec_lo, v0
	v_xor_b32_e32 v2, s13, v2
	v_cmp_gt_i32_e64 s13, 0, v5
	v_not_b32_e32 v5, v6
	v_ashrrev_i32_e32 v4, 31, v4
	v_xor_b32_e32 v3, s12, v3
	v_and_b32_e32 v0, v0, v2
	v_lshlrev_b32_e32 v22, 25, v1
	v_cmp_gt_i32_e64 s12, 0, v6
	v_not_b32_e32 v2, v7
	v_ashrrev_i32_e32 v5, 31, v5
	v_xor_b32_e32 v4, s13, v4
	v_and_b32_e32 v0, v0, v3
	v_lshlrev_b32_e32 v1, 24, v1
	v_cmp_gt_i32_e64 s13, 0, v7
	v_not_b32_e32 v3, v22
	v_ashrrev_i32_e32 v2, 31, v2
	v_xor_b32_e32 v5, s12, v5
	v_and_b32_e32 v0, v0, v4
	v_cmp_gt_i32_e64 s12, 0, v22
	v_not_b32_e32 v4, v1
	v_ashrrev_i32_e32 v3, 31, v3
	v_xor_b32_e32 v2, s13, v2
	v_and_b32_e32 v0, v0, v5
	v_cmp_gt_i32_e64 s13, 0, v1
	v_ashrrev_i32_e32 v1, 31, v4
	v_xor_b32_e32 v3, s12, v3
	v_lshrrev_b32_e32 v6, 13, v21
	v_and_b32_e32 v0, v0, v2
	s_delay_alu instid0(VALU_DEP_4) | instskip(SKIP_1) | instid1(VALU_DEP_3)
	v_xor_b32_e32 v5, s13, v1
	v_dual_mov_b32 v1, s22 :: v_dual_mov_b32 v2, s23
	v_dual_mov_b32 v3, s16 :: v_dual_and_b32 v0, v0, v3
	v_mov_b32_e32 v4, s17
	ds_store_2addr_b64 v13, v[1:2], v[3:4] offset0:4 offset1:5
	ds_store_2addr_b64 v15, v[1:2], v[3:4] offset0:2 offset1:3
	v_and_b32_e32 v0, v0, v5
	v_and_b32_e32 v5, 0x7f8, v6
	s_waitcnt lgkmcnt(0)
	s_barrier
	buffer_gl0_inv
	v_mbcnt_lo_u32_b32 v22, v0, 0
	v_add_nc_u32_e32 v1, v5, v19
	v_cmp_ne_u32_e64 s13, 0, v0
	; wave barrier
	s_delay_alu instid0(VALU_DEP_3) | instskip(NEXT) | instid1(VALU_DEP_3)
	v_cmp_eq_u32_e64 s12, 0, v22
	v_lshl_add_u32 v23, v1, 2, 32
	s_delay_alu instid0(VALU_DEP_2) | instskip(NEXT) | instid1(SALU_CYCLE_1)
	s_and_b32 s13, s13, s12
	s_and_saveexec_b32 s12, s13
	s_cbranch_execz .LBB24_20
; %bb.19:                               ;   in Loop: Header=BB24_2 Depth=1
	v_bcnt_u32_b32 v0, v0, 0
	ds_store_b32 v23, v0
.LBB24_20:                              ;   in Loop: Header=BB24_2 Depth=1
	s_or_b32 exec_lo, exec_lo, s12
	; wave barrier
	s_waitcnt lgkmcnt(0)
	s_barrier
	buffer_gl0_inv
	ds_load_2addr_b64 v[4:7], v13 offset0:4 offset1:5
	ds_load_2addr_b64 v[0:3], v15 offset0:2 offset1:3
	s_waitcnt lgkmcnt(1)
	v_add_nc_u32_e32 v24, v5, v4
	s_delay_alu instid0(VALU_DEP_1) | instskip(SKIP_1) | instid1(VALU_DEP_1)
	v_add3_u32 v24, v24, v6, v7
	s_waitcnt lgkmcnt(0)
	v_add3_u32 v24, v24, v0, v1
	s_delay_alu instid0(VALU_DEP_1) | instskip(NEXT) | instid1(VALU_DEP_1)
	v_add3_u32 v3, v24, v2, v3
	v_mov_b32_dpp v24, v3 row_shr:1 row_mask:0xf bank_mask:0xf
	s_delay_alu instid0(VALU_DEP_1) | instskip(NEXT) | instid1(VALU_DEP_1)
	v_cndmask_b32_e64 v24, v24, 0, s0
	v_add_nc_u32_e32 v3, v24, v3
	s_delay_alu instid0(VALU_DEP_1) | instskip(NEXT) | instid1(VALU_DEP_1)
	v_mov_b32_dpp v24, v3 row_shr:2 row_mask:0xf bank_mask:0xf
	v_cndmask_b32_e64 v24, 0, v24, s1
	s_delay_alu instid0(VALU_DEP_1) | instskip(NEXT) | instid1(VALU_DEP_1)
	v_add_nc_u32_e32 v3, v3, v24
	v_mov_b32_dpp v24, v3 row_shr:4 row_mask:0xf bank_mask:0xf
	s_delay_alu instid0(VALU_DEP_1) | instskip(NEXT) | instid1(VALU_DEP_1)
	v_cndmask_b32_e64 v24, 0, v24, s2
	v_add_nc_u32_e32 v3, v3, v24
	s_delay_alu instid0(VALU_DEP_1) | instskip(NEXT) | instid1(VALU_DEP_1)
	v_mov_b32_dpp v24, v3 row_shr:8 row_mask:0xf bank_mask:0xf
	v_cndmask_b32_e64 v24, 0, v24, s3
	s_delay_alu instid0(VALU_DEP_1) | instskip(SKIP_3) | instid1(VALU_DEP_1)
	v_add_nc_u32_e32 v3, v3, v24
	ds_swizzle_b32 v24, v3 offset:swizzle(BROADCAST,32,15)
	s_waitcnt lgkmcnt(0)
	v_cndmask_b32_e64 v24, v24, 0, s4
	v_add_nc_u32_e32 v3, v3, v24
	s_and_saveexec_b32 s12, s11
	s_cbranch_execz .LBB24_22
; %bb.21:                               ;   in Loop: Header=BB24_2 Depth=1
	ds_store_b32 v14, v3
.LBB24_22:                              ;   in Loop: Header=BB24_2 Depth=1
	s_or_b32 exec_lo, exec_lo, s12
	s_waitcnt lgkmcnt(0)
	s_barrier
	buffer_gl0_inv
	s_and_saveexec_b32 s12, s5
	s_cbranch_execz .LBB24_24
; %bb.23:                               ;   in Loop: Header=BB24_2 Depth=1
	ds_load_b32 v24, v20
	s_waitcnt lgkmcnt(0)
	v_mov_b32_dpp v25, v24 row_shr:1 row_mask:0xf bank_mask:0xf
	s_delay_alu instid0(VALU_DEP_1) | instskip(NEXT) | instid1(VALU_DEP_1)
	v_cndmask_b32_e64 v25, v25, 0, s8
	v_add_nc_u32_e32 v24, v25, v24
	s_delay_alu instid0(VALU_DEP_1) | instskip(NEXT) | instid1(VALU_DEP_1)
	v_mov_b32_dpp v25, v24 row_shr:2 row_mask:0xf bank_mask:0xf
	v_cndmask_b32_e64 v25, 0, v25, s9
	s_delay_alu instid0(VALU_DEP_1) | instskip(NEXT) | instid1(VALU_DEP_1)
	v_add_nc_u32_e32 v24, v24, v25
	v_mov_b32_dpp v25, v24 row_shr:4 row_mask:0xf bank_mask:0xf
	s_delay_alu instid0(VALU_DEP_1) | instskip(NEXT) | instid1(VALU_DEP_1)
	v_cndmask_b32_e64 v25, 0, v25, s10
	v_add_nc_u32_e32 v24, v24, v25
	ds_store_b32 v20, v24
.LBB24_24:                              ;   in Loop: Header=BB24_2 Depth=1
	s_or_b32 exec_lo, exec_lo, s12
	v_mov_b32_e32 v24, 0
	s_waitcnt lgkmcnt(0)
	s_barrier
	buffer_gl0_inv
	s_and_saveexec_b32 s12, s6
	s_cbranch_execz .LBB24_26
; %bb.25:                               ;   in Loop: Header=BB24_2 Depth=1
	ds_load_b32 v24, v17
.LBB24_26:                              ;   in Loop: Header=BB24_2 Depth=1
	s_or_b32 exec_lo, exec_lo, s12
	s_waitcnt lgkmcnt(0)
	v_add_nc_u32_e32 v3, v24, v3
	ds_bpermute_b32 v3, v16, v3
	s_waitcnt lgkmcnt(0)
	v_cndmask_b32_e32 v3, v3, v24, vcc_lo
	s_delay_alu instid0(VALU_DEP_1) | instskip(NEXT) | instid1(VALU_DEP_1)
	v_cndmask_b32_e64 v3, v3, 0, s7
	v_add_nc_u32_e32 v4, v3, v4
	s_delay_alu instid0(VALU_DEP_1) | instskip(NEXT) | instid1(VALU_DEP_1)
	v_add_nc_u32_e32 v5, v4, v5
	v_add_nc_u32_e32 v6, v5, v6
	s_delay_alu instid0(VALU_DEP_1) | instskip(NEXT) | instid1(VALU_DEP_1)
	v_add_nc_u32_e32 v24, v6, v7
	;; [unrolled: 3-line block ×3, first 2 shown]
	v_add_nc_u32_e32 v1, v0, v2
	ds_store_2addr_b64 v13, v[3:4], v[5:6] offset0:4 offset1:5
	ds_store_2addr_b64 v15, v[24:25], v[0:1] offset0:2 offset1:3
	s_waitcnt lgkmcnt(0)
	s_barrier
	buffer_gl0_inv
	ds_load_b32 v0, v23
	v_lshlrev_b32_e32 v1, 2, v22
	s_waitcnt lgkmcnt(0)
	s_barrier
	buffer_gl0_inv
	v_lshl_add_u32 v0, v0, 2, v1
	ds_store_b32 v0, v21
	s_waitcnt lgkmcnt(0)
	s_barrier
	buffer_gl0_inv
	ds_load_b32 v21, v18
	s_waitcnt lgkmcnt(0)
	s_barrier
	buffer_gl0_inv
	v_bfe_u32 v0, v21, 24, 1
	v_lshrrev_b32_e32 v5, 24, v21
	s_delay_alu instid0(VALU_DEP_2) | instskip(NEXT) | instid1(VALU_DEP_1)
	v_add_co_u32 v0, s12, v0, -1
	v_cndmask_b32_e64 v1, 0, 1, s12
	s_delay_alu instid0(VALU_DEP_3)
	v_lshlrev_b32_e32 v2, 30, v5
	v_lshlrev_b32_e32 v3, 29, v5
	;; [unrolled: 1-line block ×4, first 2 shown]
	v_cmp_ne_u32_e64 s12, 0, v1
	v_not_b32_e32 v1, v2
	v_cmp_gt_i32_e64 s13, 0, v2
	v_not_b32_e32 v2, v3
	v_lshlrev_b32_e32 v7, 26, v5
	v_xor_b32_e32 v0, s12, v0
	v_ashrrev_i32_e32 v1, 31, v1
	v_cmp_gt_i32_e64 s12, 0, v3
	v_not_b32_e32 v3, v4
	v_ashrrev_i32_e32 v2, 31, v2
	v_and_b32_e32 v0, exec_lo, v0
	v_xor_b32_e32 v1, s13, v1
	v_cmp_gt_i32_e64 s13, 0, v4
	v_not_b32_e32 v4, v6
	v_ashrrev_i32_e32 v3, 31, v3
	v_xor_b32_e32 v2, s12, v2
	v_and_b32_e32 v0, v0, v1
	v_lshlrev_b32_e32 v22, 25, v5
	v_cmp_gt_i32_e64 s12, 0, v6
	v_not_b32_e32 v1, v7
	v_ashrrev_i32_e32 v4, 31, v4
	v_xor_b32_e32 v3, s13, v3
	v_and_b32_e32 v0, v0, v2
	v_cmp_gt_i32_e64 s13, 0, v7
	v_not_b32_e32 v2, v22
	v_ashrrev_i32_e32 v1, 31, v1
	v_xor_b32_e32 v4, s12, v4
	v_and_b32_e32 v0, v0, v3
	v_not_b32_e32 v3, v21
	v_cmp_gt_i32_e64 s12, 0, v22
	v_ashrrev_i32_e32 v2, 31, v2
	v_xor_b32_e32 v1, s13, v1
	v_and_b32_e32 v0, v0, v4
	v_cmp_gt_i32_e64 s13, 0, v21
	v_ashrrev_i32_e32 v3, 31, v3
	v_xor_b32_e32 v2, s12, v2
	s_delay_alu instid0(VALU_DEP_4) | instskip(NEXT) | instid1(VALU_DEP_3)
	v_and_b32_e32 v0, v0, v1
	v_xor_b32_e32 v3, s13, v3
	s_delay_alu instid0(VALU_DEP_2) | instskip(SKIP_1) | instid1(VALU_DEP_2)
	v_dual_mov_b32 v1, s22 :: v_dual_and_b32 v0, v0, v2
	v_mov_b32_e32 v2, s23
	v_dual_mov_b32 v3, s16 :: v_dual_and_b32 v0, v0, v3
	v_mov_b32_e32 v4, s17
	ds_store_2addr_b64 v13, v[1:2], v[3:4] offset0:4 offset1:5
	ds_store_2addr_b64 v15, v[1:2], v[3:4] offset0:2 offset1:3
	v_mbcnt_lo_u32_b32 v22, v0, 0
	v_lshl_add_u32 v1, v5, 3, v19
	v_cmp_ne_u32_e64 s13, 0, v0
	s_waitcnt lgkmcnt(0)
	s_barrier
	v_cmp_eq_u32_e64 s12, 0, v22
	v_lshl_add_u32 v23, v1, 2, 32
	buffer_gl0_inv
	; wave barrier
	s_and_b32 s13, s13, s12
	s_delay_alu instid0(SALU_CYCLE_1)
	s_and_saveexec_b32 s12, s13
	s_cbranch_execz .LBB24_28
; %bb.27:                               ;   in Loop: Header=BB24_2 Depth=1
	v_bcnt_u32_b32 v0, v0, 0
	ds_store_b32 v23, v0
.LBB24_28:                              ;   in Loop: Header=BB24_2 Depth=1
	s_or_b32 exec_lo, exec_lo, s12
	; wave barrier
	s_waitcnt lgkmcnt(0)
	s_barrier
	buffer_gl0_inv
	ds_load_2addr_b64 v[4:7], v13 offset0:4 offset1:5
	ds_load_2addr_b64 v[0:3], v15 offset0:2 offset1:3
	s_waitcnt lgkmcnt(1)
	v_add_nc_u32_e32 v24, v5, v4
	s_delay_alu instid0(VALU_DEP_1) | instskip(SKIP_1) | instid1(VALU_DEP_1)
	v_add3_u32 v24, v24, v6, v7
	s_waitcnt lgkmcnt(0)
	v_add3_u32 v24, v24, v0, v1
	s_delay_alu instid0(VALU_DEP_1) | instskip(NEXT) | instid1(VALU_DEP_1)
	v_add3_u32 v3, v24, v2, v3
	v_mov_b32_dpp v24, v3 row_shr:1 row_mask:0xf bank_mask:0xf
	s_delay_alu instid0(VALU_DEP_1) | instskip(NEXT) | instid1(VALU_DEP_1)
	v_cndmask_b32_e64 v24, v24, 0, s0
	v_add_nc_u32_e32 v3, v24, v3
	s_delay_alu instid0(VALU_DEP_1) | instskip(NEXT) | instid1(VALU_DEP_1)
	v_mov_b32_dpp v24, v3 row_shr:2 row_mask:0xf bank_mask:0xf
	v_cndmask_b32_e64 v24, 0, v24, s1
	s_delay_alu instid0(VALU_DEP_1) | instskip(NEXT) | instid1(VALU_DEP_1)
	v_add_nc_u32_e32 v3, v3, v24
	v_mov_b32_dpp v24, v3 row_shr:4 row_mask:0xf bank_mask:0xf
	s_delay_alu instid0(VALU_DEP_1) | instskip(NEXT) | instid1(VALU_DEP_1)
	v_cndmask_b32_e64 v24, 0, v24, s2
	v_add_nc_u32_e32 v3, v3, v24
	s_delay_alu instid0(VALU_DEP_1) | instskip(NEXT) | instid1(VALU_DEP_1)
	v_mov_b32_dpp v24, v3 row_shr:8 row_mask:0xf bank_mask:0xf
	v_cndmask_b32_e64 v24, 0, v24, s3
	s_delay_alu instid0(VALU_DEP_1) | instskip(SKIP_3) | instid1(VALU_DEP_1)
	v_add_nc_u32_e32 v3, v3, v24
	ds_swizzle_b32 v24, v3 offset:swizzle(BROADCAST,32,15)
	s_waitcnt lgkmcnt(0)
	v_cndmask_b32_e64 v24, v24, 0, s4
	v_add_nc_u32_e32 v3, v3, v24
	s_and_saveexec_b32 s12, s11
	s_cbranch_execz .LBB24_30
; %bb.29:                               ;   in Loop: Header=BB24_2 Depth=1
	ds_store_b32 v14, v3
.LBB24_30:                              ;   in Loop: Header=BB24_2 Depth=1
	s_or_b32 exec_lo, exec_lo, s12
	s_waitcnt lgkmcnt(0)
	s_barrier
	buffer_gl0_inv
	s_and_saveexec_b32 s12, s5
	s_cbranch_execz .LBB24_32
; %bb.31:                               ;   in Loop: Header=BB24_2 Depth=1
	ds_load_b32 v24, v20
	s_waitcnt lgkmcnt(0)
	v_mov_b32_dpp v25, v24 row_shr:1 row_mask:0xf bank_mask:0xf
	s_delay_alu instid0(VALU_DEP_1) | instskip(NEXT) | instid1(VALU_DEP_1)
	v_cndmask_b32_e64 v25, v25, 0, s8
	v_add_nc_u32_e32 v24, v25, v24
	s_delay_alu instid0(VALU_DEP_1) | instskip(NEXT) | instid1(VALU_DEP_1)
	v_mov_b32_dpp v25, v24 row_shr:2 row_mask:0xf bank_mask:0xf
	v_cndmask_b32_e64 v25, 0, v25, s9
	s_delay_alu instid0(VALU_DEP_1) | instskip(NEXT) | instid1(VALU_DEP_1)
	v_add_nc_u32_e32 v24, v24, v25
	v_mov_b32_dpp v25, v24 row_shr:4 row_mask:0xf bank_mask:0xf
	s_delay_alu instid0(VALU_DEP_1) | instskip(NEXT) | instid1(VALU_DEP_1)
	v_cndmask_b32_e64 v25, 0, v25, s10
	v_add_nc_u32_e32 v24, v24, v25
	ds_store_b32 v20, v24
.LBB24_32:                              ;   in Loop: Header=BB24_2 Depth=1
	s_or_b32 exec_lo, exec_lo, s12
	v_mov_b32_e32 v24, 0
	s_waitcnt lgkmcnt(0)
	s_barrier
	buffer_gl0_inv
	s_and_saveexec_b32 s12, s6
	s_cbranch_execz .LBB24_1
; %bb.33:                               ;   in Loop: Header=BB24_2 Depth=1
	ds_load_b32 v24, v17
	s_branch .LBB24_1
.LBB24_34:
	s_waitcnt lgkmcnt(0)
	v_xor_b32_e32 v0, 0x80000000, v21
	v_lshlrev_b32_e32 v1, 2, v8
	s_add_u32 s0, s18, s20
	s_addc_u32 s1, s19, s21
	global_store_b32 v1, v0, s[0:1]
	s_nop 0
	s_sendmsg sendmsg(MSG_DEALLOC_VGPRS)
	s_endpgm
	.section	.rodata,"a",@progbits
	.p2align	6, 0x0
	.amdhsa_kernel _Z16sort_keys_kernelI22helper_blocked_blockediLj256ELj1ELj10EEvPKT0_PS1_
		.amdhsa_group_segment_fixed_size 8224
		.amdhsa_private_segment_fixed_size 0
		.amdhsa_kernarg_size 272
		.amdhsa_user_sgpr_count 15
		.amdhsa_user_sgpr_dispatch_ptr 0
		.amdhsa_user_sgpr_queue_ptr 0
		.amdhsa_user_sgpr_kernarg_segment_ptr 1
		.amdhsa_user_sgpr_dispatch_id 0
		.amdhsa_user_sgpr_private_segment_size 0
		.amdhsa_wavefront_size32 1
		.amdhsa_uses_dynamic_stack 0
		.amdhsa_enable_private_segment 0
		.amdhsa_system_sgpr_workgroup_id_x 1
		.amdhsa_system_sgpr_workgroup_id_y 0
		.amdhsa_system_sgpr_workgroup_id_z 0
		.amdhsa_system_sgpr_workgroup_info 0
		.amdhsa_system_vgpr_workitem_id 2
		.amdhsa_next_free_vgpr 26
		.amdhsa_next_free_sgpr 24
		.amdhsa_reserve_vcc 1
		.amdhsa_float_round_mode_32 0
		.amdhsa_float_round_mode_16_64 0
		.amdhsa_float_denorm_mode_32 3
		.amdhsa_float_denorm_mode_16_64 3
		.amdhsa_dx10_clamp 1
		.amdhsa_ieee_mode 1
		.amdhsa_fp16_overflow 0
		.amdhsa_workgroup_processor_mode 1
		.amdhsa_memory_ordered 1
		.amdhsa_forward_progress 0
		.amdhsa_shared_vgpr_count 0
		.amdhsa_exception_fp_ieee_invalid_op 0
		.amdhsa_exception_fp_denorm_src 0
		.amdhsa_exception_fp_ieee_div_zero 0
		.amdhsa_exception_fp_ieee_overflow 0
		.amdhsa_exception_fp_ieee_underflow 0
		.amdhsa_exception_fp_ieee_inexact 0
		.amdhsa_exception_int_div_zero 0
	.end_amdhsa_kernel
	.section	.text._Z16sort_keys_kernelI22helper_blocked_blockediLj256ELj1ELj10EEvPKT0_PS1_,"axG",@progbits,_Z16sort_keys_kernelI22helper_blocked_blockediLj256ELj1ELj10EEvPKT0_PS1_,comdat
.Lfunc_end24:
	.size	_Z16sort_keys_kernelI22helper_blocked_blockediLj256ELj1ELj10EEvPKT0_PS1_, .Lfunc_end24-_Z16sort_keys_kernelI22helper_blocked_blockediLj256ELj1ELj10EEvPKT0_PS1_
                                        ; -- End function
	.section	.AMDGPU.csdata,"",@progbits
; Kernel info:
; codeLenInByte = 4256
; NumSgprs: 26
; NumVgprs: 26
; ScratchSize: 0
; MemoryBound: 0
; FloatMode: 240
; IeeeMode: 1
; LDSByteSize: 8224 bytes/workgroup (compile time only)
; SGPRBlocks: 3
; VGPRBlocks: 3
; NumSGPRsForWavesPerEU: 26
; NumVGPRsForWavesPerEU: 26
; Occupancy: 16
; WaveLimiterHint : 0
; COMPUTE_PGM_RSRC2:SCRATCH_EN: 0
; COMPUTE_PGM_RSRC2:USER_SGPR: 15
; COMPUTE_PGM_RSRC2:TRAP_HANDLER: 0
; COMPUTE_PGM_RSRC2:TGID_X_EN: 1
; COMPUTE_PGM_RSRC2:TGID_Y_EN: 0
; COMPUTE_PGM_RSRC2:TGID_Z_EN: 0
; COMPUTE_PGM_RSRC2:TIDIG_COMP_CNT: 2
	.section	.text._Z17sort_pairs_kernelI22helper_blocked_blockediLj256ELj1ELj10EEvPKT0_PS1_,"axG",@progbits,_Z17sort_pairs_kernelI22helper_blocked_blockediLj256ELj1ELj10EEvPKT0_PS1_,comdat
	.protected	_Z17sort_pairs_kernelI22helper_blocked_blockediLj256ELj1ELj10EEvPKT0_PS1_ ; -- Begin function _Z17sort_pairs_kernelI22helper_blocked_blockediLj256ELj1ELj10EEvPKT0_PS1_
	.globl	_Z17sort_pairs_kernelI22helper_blocked_blockediLj256ELj1ELj10EEvPKT0_PS1_
	.p2align	8
	.type	_Z17sort_pairs_kernelI22helper_blocked_blockediLj256ELj1ELj10EEvPKT0_PS1_,@function
_Z17sort_pairs_kernelI22helper_blocked_blockediLj256ELj1ELj10EEvPKT0_PS1_: ; @_Z17sort_pairs_kernelI22helper_blocked_blockediLj256ELj1ELj10EEvPKT0_PS1_
; %bb.0:
	s_clause 0x1
	s_load_b128 s[16:19], s[0:1], 0x0
	s_load_b32 s11, s[0:1], 0x1c
	s_mov_b32 s23, 0
	s_lshl_b32 s22, s15, 8
	v_mbcnt_lo_u32_b32 v3, -1, 0
	s_lshl_b64 s[20:21], s[22:23], 2
	s_mov_b32 s22, s23
	s_mov_b32 s15, 10
	s_delay_alu instid0(VALU_DEP_1) | instskip(SKIP_3) | instid1(VALU_DEP_4)
	v_dual_mov_b32 v11, s22 :: v_dual_add_nc_u32 v6, -1, v3
	v_and_b32_e32 v4, 15, v3
	v_dual_mov_b32 v12, s23 :: v_dual_and_b32 v5, 16, v3
	v_and_b32_e32 v7, 7, v3
	v_cmp_gt_i32_e64 s7, 0, v6
	s_delay_alu instid0(VALU_DEP_4)
	v_cmp_lt_u32_e64 s2, 3, v4
	v_cmp_lt_u32_e64 s3, 7, v4
	v_cmp_eq_u32_e64 s4, 0, v5
	v_cmp_eq_u32_e64 s8, 0, v7
	v_cndmask_b32_e64 v5, v6, v3, s7
	s_waitcnt lgkmcnt(0)
	s_add_u32 s0, s16, s20
	s_addc_u32 s1, s17, s21
	s_mov_b32 s16, s23
	s_mov_b32 s17, s23
	v_dual_mov_b32 v9, s16 :: v_dual_and_b32 v8, 0x3ff, v0
	v_mov_b32_e32 v10, s17
	s_lshr_b32 s10, s11, 16
	s_and_b32 s11, s11, 0xffff
	s_delay_alu instid0(VALU_DEP_2)
	v_lshlrev_b32_e32 v1, 2, v8
	v_lshrrev_b32_e32 v6, 3, v8
	v_lshlrev_b32_e32 v13, 5, v8
	v_mul_i32_i24_e32 v20, 0xffffffe4, v8
	v_cmp_lt_u32_e64 s9, 1, v7
	global_load_b32 v2, v1, s[0:1]
	v_bfe_u32 v1, v0, 10, 10
	v_bfe_u32 v0, v0, 20, 10
	v_cmp_eq_u32_e64 s0, 0, v4
	v_cmp_lt_u32_e64 s1, 1, v4
	v_and_b32_e32 v4, 0xe0, v8
	v_cmp_eq_u32_e32 vcc_lo, 0, v3
	v_mad_u32_u24 v14, v0, s10, v1
	v_cmp_lt_u32_e64 s10, 3, v7
	v_cmp_gt_u32_e64 s5, 8, v8
	v_or_b32_e32 v7, 31, v4
	v_cmp_lt_u32_e64 s6, 31, v8
	v_mad_u64_u32 v[0:1], null, v14, s11, v[8:9]
	v_and_b32_e32 v14, 28, v6
	v_or_b32_e32 v1, v3, v4
	v_cmp_eq_u32_e64 s7, 0, v8
	v_add_nc_u32_e32 v15, 32, v13
	v_lshlrev_b32_e32 v16, 2, v5
	v_cmp_eq_u32_e64 s11, v7, v8
	v_add_nc_u32_e32 v17, -4, v14
	v_lshlrev_b32_e32 v18, 2, v1
	v_lshrrev_b32_e32 v19, 5, v0
	v_add_nc_u32_e32 v20, v13, v20
	s_waitcnt vmcnt(0)
	v_add_nc_u32_e32 v21, 1, v2
	v_xor_b32_e32 v22, 0x80000000, v2
	s_branch .LBB25_2
.LBB25_1:                               ;   in Loop: Header=BB25_2 Depth=1
	s_or_b32 exec_lo, exec_lo, s12
	s_waitcnt lgkmcnt(0)
	v_add_nc_u32_e32 v3, v25, v3
	s_add_i32 s15, s15, -1
	s_delay_alu instid0(SALU_CYCLE_1) | instskip(SKIP_3) | instid1(VALU_DEP_1)
	s_cmp_lg_u32 s15, 0
	ds_bpermute_b32 v3, v16, v3
	s_waitcnt lgkmcnt(0)
	v_cndmask_b32_e32 v3, v3, v25, vcc_lo
	v_cndmask_b32_e64 v3, v3, 0, s7
	s_delay_alu instid0(VALU_DEP_1) | instskip(NEXT) | instid1(VALU_DEP_1)
	v_add_nc_u32_e32 v4, v3, v4
	v_add_nc_u32_e32 v5, v4, v5
	s_delay_alu instid0(VALU_DEP_1) | instskip(NEXT) | instid1(VALU_DEP_1)
	v_add_nc_u32_e32 v6, v5, v6
	v_add_nc_u32_e32 v25, v6, v7
	;; [unrolled: 3-line block ×3, first 2 shown]
	s_delay_alu instid0(VALU_DEP_1)
	v_add_nc_u32_e32 v1, v0, v2
	ds_store_2addr_b64 v13, v[3:4], v[5:6] offset0:4 offset1:5
	ds_store_2addr_b64 v15, v[25:26], v[0:1] offset0:2 offset1:3
	s_waitcnt lgkmcnt(0)
	s_barrier
	buffer_gl0_inv
	ds_load_b32 v0, v24
	v_lshlrev_b32_e32 v1, 2, v22
	s_waitcnt lgkmcnt(0)
	s_barrier
	buffer_gl0_inv
	v_lshl_add_u32 v0, v0, 2, v1
	ds_store_b32 v0, v21
	s_waitcnt lgkmcnt(0)
	s_barrier
	buffer_gl0_inv
	ds_load_b32 v22, v20
	s_waitcnt lgkmcnt(0)
	s_barrier
	buffer_gl0_inv
	ds_store_b32 v0, v23
	s_waitcnt lgkmcnt(0)
	s_barrier
	buffer_gl0_inv
	ds_load_b32 v21, v20
	s_cbranch_scc0 .LBB25_34
.LBB25_2:                               ; =>This Inner Loop Header: Depth=1
	s_delay_alu instid0(VALU_DEP_1)
	v_and_b32_e32 v0, 1, v22
	v_lshlrev_b32_e32 v1, 30, v22
	v_lshlrev_b32_e32 v2, 29, v22
	;; [unrolled: 1-line block ×4, first 2 shown]
	v_add_co_u32 v0, s12, v0, -1
	s_delay_alu instid0(VALU_DEP_1)
	v_cndmask_b32_e64 v3, 0, 1, s12
	v_not_b32_e32 v7, v1
	v_cmp_gt_i32_e64 s13, 0, v1
	v_not_b32_e32 v1, v2
	v_lshlrev_b32_e32 v6, 26, v22
	v_cmp_ne_u32_e64 s12, 0, v3
	v_ashrrev_i32_e32 v7, 31, v7
	v_lshlrev_b32_e32 v3, 25, v22
	v_ashrrev_i32_e32 v1, 31, v1
	v_cmp_gt_i32_e64 s14, 0, v5
	v_xor_b32_e32 v0, s12, v0
	v_cmp_gt_i32_e64 s12, 0, v2
	v_not_b32_e32 v2, v4
	v_xor_b32_e32 v7, s13, v7
	v_cmp_gt_i32_e64 s13, 0, v4
	v_and_b32_e32 v0, exec_lo, v0
	v_xor_b32_e32 v1, s12, v1
	v_ashrrev_i32_e32 v2, 31, v2
	v_not_b32_e32 v4, v5
	v_not_b32_e32 v5, v6
	v_and_b32_e32 v0, v0, v7
	v_cmp_gt_i32_e64 s12, 0, v6
	v_xor_b32_e32 v2, s13, v2
	v_not_b32_e32 v6, v3
	ds_store_2addr_b64 v13, v[11:12], v[9:10] offset0:4 offset1:5
	ds_store_2addr_b64 v15, v[11:12], v[9:10] offset0:2 offset1:3
	v_and_b32_e32 v0, v0, v1
	v_ashrrev_i32_e32 v1, 31, v4
	v_ashrrev_i32_e32 v4, 31, v5
	v_lshlrev_b32_e32 v5, 24, v22
	s_waitcnt lgkmcnt(0)
	v_and_b32_e32 v0, v0, v2
	v_xor_b32_e32 v1, s14, v1
	v_xor_b32_e32 v2, s12, v4
	v_cmp_gt_i32_e64 s12, 0, v3
	v_not_b32_e32 v3, v5
	v_ashrrev_i32_e32 v4, 31, v6
	v_and_b32_e32 v0, v0, v1
	v_cmp_gt_i32_e64 s13, 0, v5
	s_barrier
	v_ashrrev_i32_e32 v1, 31, v3
	v_xor_b32_e32 v3, s12, v4
	v_and_b32_e32 v0, v0, v2
	buffer_gl0_inv
	v_xor_b32_e32 v1, s13, v1
	; wave barrier
	v_and_b32_e32 v0, v0, v3
	s_delay_alu instid0(VALU_DEP_1) | instskip(SKIP_1) | instid1(VALU_DEP_2)
	v_and_b32_e32 v0, v0, v1
	v_and_b32_e32 v1, 0xff, v22
	v_mbcnt_lo_u32_b32 v23, v0, 0
	s_delay_alu instid0(VALU_DEP_2) | instskip(SKIP_1) | instid1(VALU_DEP_3)
	v_lshl_add_u32 v1, v1, 3, v19
	v_cmp_ne_u32_e64 s13, 0, v0
	v_cmp_eq_u32_e64 s12, 0, v23
	s_delay_alu instid0(VALU_DEP_3) | instskip(NEXT) | instid1(VALU_DEP_2)
	v_lshl_add_u32 v24, v1, 2, 32
	s_and_b32 s13, s13, s12
	s_delay_alu instid0(SALU_CYCLE_1)
	s_and_saveexec_b32 s12, s13
	s_cbranch_execz .LBB25_4
; %bb.3:                                ;   in Loop: Header=BB25_2 Depth=1
	v_bcnt_u32_b32 v0, v0, 0
	ds_store_b32 v24, v0
.LBB25_4:                               ;   in Loop: Header=BB25_2 Depth=1
	s_or_b32 exec_lo, exec_lo, s12
	; wave barrier
	s_waitcnt lgkmcnt(0)
	s_barrier
	buffer_gl0_inv
	ds_load_2addr_b64 v[4:7], v13 offset0:4 offset1:5
	ds_load_2addr_b64 v[0:3], v15 offset0:2 offset1:3
	s_waitcnt lgkmcnt(1)
	v_add_nc_u32_e32 v25, v5, v4
	s_delay_alu instid0(VALU_DEP_1) | instskip(SKIP_1) | instid1(VALU_DEP_1)
	v_add3_u32 v25, v25, v6, v7
	s_waitcnt lgkmcnt(0)
	v_add3_u32 v25, v25, v0, v1
	s_delay_alu instid0(VALU_DEP_1) | instskip(NEXT) | instid1(VALU_DEP_1)
	v_add3_u32 v3, v25, v2, v3
	v_mov_b32_dpp v25, v3 row_shr:1 row_mask:0xf bank_mask:0xf
	s_delay_alu instid0(VALU_DEP_1) | instskip(NEXT) | instid1(VALU_DEP_1)
	v_cndmask_b32_e64 v25, v25, 0, s0
	v_add_nc_u32_e32 v3, v25, v3
	s_delay_alu instid0(VALU_DEP_1) | instskip(NEXT) | instid1(VALU_DEP_1)
	v_mov_b32_dpp v25, v3 row_shr:2 row_mask:0xf bank_mask:0xf
	v_cndmask_b32_e64 v25, 0, v25, s1
	s_delay_alu instid0(VALU_DEP_1) | instskip(NEXT) | instid1(VALU_DEP_1)
	v_add_nc_u32_e32 v3, v3, v25
	v_mov_b32_dpp v25, v3 row_shr:4 row_mask:0xf bank_mask:0xf
	s_delay_alu instid0(VALU_DEP_1) | instskip(NEXT) | instid1(VALU_DEP_1)
	v_cndmask_b32_e64 v25, 0, v25, s2
	v_add_nc_u32_e32 v3, v3, v25
	s_delay_alu instid0(VALU_DEP_1) | instskip(NEXT) | instid1(VALU_DEP_1)
	v_mov_b32_dpp v25, v3 row_shr:8 row_mask:0xf bank_mask:0xf
	v_cndmask_b32_e64 v25, 0, v25, s3
	s_delay_alu instid0(VALU_DEP_1) | instskip(SKIP_3) | instid1(VALU_DEP_1)
	v_add_nc_u32_e32 v3, v3, v25
	ds_swizzle_b32 v25, v3 offset:swizzle(BROADCAST,32,15)
	s_waitcnt lgkmcnt(0)
	v_cndmask_b32_e64 v25, v25, 0, s4
	v_add_nc_u32_e32 v3, v3, v25
	s_and_saveexec_b32 s12, s11
	s_cbranch_execz .LBB25_6
; %bb.5:                                ;   in Loop: Header=BB25_2 Depth=1
	ds_store_b32 v14, v3
.LBB25_6:                               ;   in Loop: Header=BB25_2 Depth=1
	s_or_b32 exec_lo, exec_lo, s12
	s_waitcnt lgkmcnt(0)
	s_barrier
	buffer_gl0_inv
	s_and_saveexec_b32 s12, s5
	s_cbranch_execz .LBB25_8
; %bb.7:                                ;   in Loop: Header=BB25_2 Depth=1
	ds_load_b32 v25, v20
	s_waitcnt lgkmcnt(0)
	v_mov_b32_dpp v26, v25 row_shr:1 row_mask:0xf bank_mask:0xf
	s_delay_alu instid0(VALU_DEP_1) | instskip(NEXT) | instid1(VALU_DEP_1)
	v_cndmask_b32_e64 v26, v26, 0, s8
	v_add_nc_u32_e32 v25, v26, v25
	s_delay_alu instid0(VALU_DEP_1) | instskip(NEXT) | instid1(VALU_DEP_1)
	v_mov_b32_dpp v26, v25 row_shr:2 row_mask:0xf bank_mask:0xf
	v_cndmask_b32_e64 v26, 0, v26, s9
	s_delay_alu instid0(VALU_DEP_1) | instskip(NEXT) | instid1(VALU_DEP_1)
	v_add_nc_u32_e32 v25, v25, v26
	v_mov_b32_dpp v26, v25 row_shr:4 row_mask:0xf bank_mask:0xf
	s_delay_alu instid0(VALU_DEP_1) | instskip(NEXT) | instid1(VALU_DEP_1)
	v_cndmask_b32_e64 v26, 0, v26, s10
	v_add_nc_u32_e32 v25, v25, v26
	ds_store_b32 v20, v25
.LBB25_8:                               ;   in Loop: Header=BB25_2 Depth=1
	s_or_b32 exec_lo, exec_lo, s12
	v_mov_b32_e32 v25, 0
	s_waitcnt lgkmcnt(0)
	s_barrier
	buffer_gl0_inv
	s_and_saveexec_b32 s12, s6
	s_cbranch_execz .LBB25_10
; %bb.9:                                ;   in Loop: Header=BB25_2 Depth=1
	ds_load_b32 v25, v17
.LBB25_10:                              ;   in Loop: Header=BB25_2 Depth=1
	s_or_b32 exec_lo, exec_lo, s12
	s_waitcnt lgkmcnt(0)
	v_add_nc_u32_e32 v3, v25, v3
	ds_bpermute_b32 v3, v16, v3
	s_waitcnt lgkmcnt(0)
	v_cndmask_b32_e32 v3, v3, v25, vcc_lo
	s_delay_alu instid0(VALU_DEP_1) | instskip(NEXT) | instid1(VALU_DEP_1)
	v_cndmask_b32_e64 v3, v3, 0, s7
	v_add_nc_u32_e32 v4, v3, v4
	s_delay_alu instid0(VALU_DEP_1) | instskip(NEXT) | instid1(VALU_DEP_1)
	v_add_nc_u32_e32 v5, v4, v5
	v_add_nc_u32_e32 v6, v5, v6
	s_delay_alu instid0(VALU_DEP_1) | instskip(NEXT) | instid1(VALU_DEP_1)
	v_add_nc_u32_e32 v25, v6, v7
	;; [unrolled: 3-line block ×3, first 2 shown]
	v_add_nc_u32_e32 v1, v0, v2
	ds_store_2addr_b64 v13, v[3:4], v[5:6] offset0:4 offset1:5
	ds_store_2addr_b64 v15, v[25:26], v[0:1] offset0:2 offset1:3
	s_waitcnt lgkmcnt(0)
	s_barrier
	buffer_gl0_inv
	ds_load_b32 v0, v24
	v_lshlrev_b32_e32 v1, 2, v23
	s_waitcnt lgkmcnt(0)
	s_barrier
	buffer_gl0_inv
	v_lshl_add_u32 v0, v0, 2, v1
	ds_store_b32 v0, v22
	s_waitcnt lgkmcnt(0)
	s_barrier
	buffer_gl0_inv
	ds_load_b32 v22, v18
	s_waitcnt lgkmcnt(0)
	s_barrier
	buffer_gl0_inv
	ds_store_b32 v0, v21
	s_waitcnt lgkmcnt(0)
	s_barrier
	buffer_gl0_inv
	v_bfe_u32 v1, v22, 8, 1
	v_lshrrev_b32_e32 v2, 8, v22
	s_delay_alu instid0(VALU_DEP_2) | instskip(NEXT) | instid1(VALU_DEP_1)
	v_add_co_u32 v1, s12, v1, -1
	v_cndmask_b32_e64 v3, 0, 1, s12
	s_delay_alu instid0(VALU_DEP_3)
	v_lshlrev_b32_e32 v4, 30, v2
	v_lshlrev_b32_e32 v5, 29, v2
	;; [unrolled: 1-line block ×4, first 2 shown]
	v_cmp_ne_u32_e64 s12, 0, v3
	v_not_b32_e32 v3, v4
	v_cmp_gt_i32_e64 s13, 0, v4
	v_not_b32_e32 v4, v5
	v_lshlrev_b32_e32 v23, 26, v2
	v_xor_b32_e32 v1, s12, v1
	v_ashrrev_i32_e32 v3, 31, v3
	v_cmp_gt_i32_e64 s12, 0, v5
	v_not_b32_e32 v5, v6
	v_ashrrev_i32_e32 v4, 31, v4
	v_and_b32_e32 v1, exec_lo, v1
	v_xor_b32_e32 v3, s13, v3
	v_cmp_gt_i32_e64 s13, 0, v6
	v_not_b32_e32 v6, v7
	v_ashrrev_i32_e32 v5, 31, v5
	v_xor_b32_e32 v4, s12, v4
	v_and_b32_e32 v1, v1, v3
	v_lshlrev_b32_e32 v24, 25, v2
	v_cmp_gt_i32_e64 s12, 0, v7
	v_not_b32_e32 v3, v23
	v_ashrrev_i32_e32 v6, 31, v6
	v_xor_b32_e32 v5, s13, v5
	v_and_b32_e32 v1, v1, v4
	v_lshlrev_b32_e32 v2, 24, v2
	v_cmp_gt_i32_e64 s13, 0, v23
	v_not_b32_e32 v4, v24
	v_ashrrev_i32_e32 v3, 31, v3
	v_xor_b32_e32 v6, s12, v6
	v_and_b32_e32 v1, v1, v5
	v_cmp_gt_i32_e64 s12, 0, v24
	v_not_b32_e32 v5, v2
	v_ashrrev_i32_e32 v4, 31, v4
	v_xor_b32_e32 v3, s13, v3
	v_and_b32_e32 v1, v1, v6
	v_cmp_gt_i32_e64 s13, 0, v2
	v_ashrrev_i32_e32 v2, 31, v5
	v_xor_b32_e32 v4, s12, v4
	ds_load_b32 v23, v18
	v_and_b32_e32 v1, v1, v3
	s_waitcnt lgkmcnt(0)
	v_xor_b32_e32 v0, s13, v2
	v_lshrrev_b32_e32 v2, 5, v22
	s_barrier
	v_and_b32_e32 v1, v1, v4
	buffer_gl0_inv
	ds_store_2addr_b64 v13, v[11:12], v[9:10] offset0:4 offset1:5
	ds_store_2addr_b64 v15, v[11:12], v[9:10] offset0:2 offset1:3
	s_waitcnt lgkmcnt(0)
	s_barrier
	v_and_b32_e32 v0, v1, v0
	v_and_b32_e32 v1, 0x7f8, v2
	buffer_gl0_inv
	; wave barrier
	v_mbcnt_lo_u32_b32 v21, v0, 0
	v_add_nc_u32_e32 v1, v1, v19
	v_cmp_ne_u32_e64 s13, 0, v0
	s_delay_alu instid0(VALU_DEP_3) | instskip(NEXT) | instid1(VALU_DEP_3)
	v_cmp_eq_u32_e64 s12, 0, v21
	v_lshl_add_u32 v24, v1, 2, 32
	s_delay_alu instid0(VALU_DEP_2) | instskip(NEXT) | instid1(SALU_CYCLE_1)
	s_and_b32 s13, s13, s12
	s_and_saveexec_b32 s12, s13
	s_cbranch_execz .LBB25_12
; %bb.11:                               ;   in Loop: Header=BB25_2 Depth=1
	v_bcnt_u32_b32 v0, v0, 0
	ds_store_b32 v24, v0
.LBB25_12:                              ;   in Loop: Header=BB25_2 Depth=1
	s_or_b32 exec_lo, exec_lo, s12
	; wave barrier
	s_waitcnt lgkmcnt(0)
	s_barrier
	buffer_gl0_inv
	ds_load_2addr_b64 v[4:7], v13 offset0:4 offset1:5
	ds_load_2addr_b64 v[0:3], v15 offset0:2 offset1:3
	s_waitcnt lgkmcnt(1)
	v_add_nc_u32_e32 v25, v5, v4
	s_delay_alu instid0(VALU_DEP_1) | instskip(SKIP_1) | instid1(VALU_DEP_1)
	v_add3_u32 v25, v25, v6, v7
	s_waitcnt lgkmcnt(0)
	v_add3_u32 v25, v25, v0, v1
	s_delay_alu instid0(VALU_DEP_1) | instskip(NEXT) | instid1(VALU_DEP_1)
	v_add3_u32 v3, v25, v2, v3
	v_mov_b32_dpp v25, v3 row_shr:1 row_mask:0xf bank_mask:0xf
	s_delay_alu instid0(VALU_DEP_1) | instskip(NEXT) | instid1(VALU_DEP_1)
	v_cndmask_b32_e64 v25, v25, 0, s0
	v_add_nc_u32_e32 v3, v25, v3
	s_delay_alu instid0(VALU_DEP_1) | instskip(NEXT) | instid1(VALU_DEP_1)
	v_mov_b32_dpp v25, v3 row_shr:2 row_mask:0xf bank_mask:0xf
	v_cndmask_b32_e64 v25, 0, v25, s1
	s_delay_alu instid0(VALU_DEP_1) | instskip(NEXT) | instid1(VALU_DEP_1)
	v_add_nc_u32_e32 v3, v3, v25
	v_mov_b32_dpp v25, v3 row_shr:4 row_mask:0xf bank_mask:0xf
	s_delay_alu instid0(VALU_DEP_1) | instskip(NEXT) | instid1(VALU_DEP_1)
	v_cndmask_b32_e64 v25, 0, v25, s2
	v_add_nc_u32_e32 v3, v3, v25
	s_delay_alu instid0(VALU_DEP_1) | instskip(NEXT) | instid1(VALU_DEP_1)
	v_mov_b32_dpp v25, v3 row_shr:8 row_mask:0xf bank_mask:0xf
	v_cndmask_b32_e64 v25, 0, v25, s3
	s_delay_alu instid0(VALU_DEP_1) | instskip(SKIP_3) | instid1(VALU_DEP_1)
	v_add_nc_u32_e32 v3, v3, v25
	ds_swizzle_b32 v25, v3 offset:swizzle(BROADCAST,32,15)
	s_waitcnt lgkmcnt(0)
	v_cndmask_b32_e64 v25, v25, 0, s4
	v_add_nc_u32_e32 v3, v3, v25
	s_and_saveexec_b32 s12, s11
	s_cbranch_execz .LBB25_14
; %bb.13:                               ;   in Loop: Header=BB25_2 Depth=1
	ds_store_b32 v14, v3
.LBB25_14:                              ;   in Loop: Header=BB25_2 Depth=1
	s_or_b32 exec_lo, exec_lo, s12
	s_waitcnt lgkmcnt(0)
	s_barrier
	buffer_gl0_inv
	s_and_saveexec_b32 s12, s5
	s_cbranch_execz .LBB25_16
; %bb.15:                               ;   in Loop: Header=BB25_2 Depth=1
	ds_load_b32 v25, v20
	s_waitcnt lgkmcnt(0)
	v_mov_b32_dpp v26, v25 row_shr:1 row_mask:0xf bank_mask:0xf
	s_delay_alu instid0(VALU_DEP_1) | instskip(NEXT) | instid1(VALU_DEP_1)
	v_cndmask_b32_e64 v26, v26, 0, s8
	v_add_nc_u32_e32 v25, v26, v25
	s_delay_alu instid0(VALU_DEP_1) | instskip(NEXT) | instid1(VALU_DEP_1)
	v_mov_b32_dpp v26, v25 row_shr:2 row_mask:0xf bank_mask:0xf
	v_cndmask_b32_e64 v26, 0, v26, s9
	s_delay_alu instid0(VALU_DEP_1) | instskip(NEXT) | instid1(VALU_DEP_1)
	v_add_nc_u32_e32 v25, v25, v26
	v_mov_b32_dpp v26, v25 row_shr:4 row_mask:0xf bank_mask:0xf
	s_delay_alu instid0(VALU_DEP_1) | instskip(NEXT) | instid1(VALU_DEP_1)
	v_cndmask_b32_e64 v26, 0, v26, s10
	v_add_nc_u32_e32 v25, v25, v26
	ds_store_b32 v20, v25
.LBB25_16:                              ;   in Loop: Header=BB25_2 Depth=1
	s_or_b32 exec_lo, exec_lo, s12
	v_mov_b32_e32 v25, 0
	s_waitcnt lgkmcnt(0)
	s_barrier
	buffer_gl0_inv
	s_and_saveexec_b32 s12, s6
	s_cbranch_execz .LBB25_18
; %bb.17:                               ;   in Loop: Header=BB25_2 Depth=1
	ds_load_b32 v25, v17
.LBB25_18:                              ;   in Loop: Header=BB25_2 Depth=1
	s_or_b32 exec_lo, exec_lo, s12
	s_waitcnt lgkmcnt(0)
	v_add_nc_u32_e32 v3, v25, v3
	ds_bpermute_b32 v3, v16, v3
	s_waitcnt lgkmcnt(0)
	v_cndmask_b32_e32 v3, v3, v25, vcc_lo
	s_delay_alu instid0(VALU_DEP_1) | instskip(NEXT) | instid1(VALU_DEP_1)
	v_cndmask_b32_e64 v3, v3, 0, s7
	v_add_nc_u32_e32 v4, v3, v4
	s_delay_alu instid0(VALU_DEP_1) | instskip(NEXT) | instid1(VALU_DEP_1)
	v_add_nc_u32_e32 v5, v4, v5
	v_add_nc_u32_e32 v6, v5, v6
	s_delay_alu instid0(VALU_DEP_1) | instskip(NEXT) | instid1(VALU_DEP_1)
	v_add_nc_u32_e32 v25, v6, v7
	;; [unrolled: 3-line block ×3, first 2 shown]
	v_add_nc_u32_e32 v1, v0, v2
	ds_store_2addr_b64 v13, v[3:4], v[5:6] offset0:4 offset1:5
	ds_store_2addr_b64 v15, v[25:26], v[0:1] offset0:2 offset1:3
	s_waitcnt lgkmcnt(0)
	s_barrier
	buffer_gl0_inv
	ds_load_b32 v0, v24
	v_lshlrev_b32_e32 v1, 2, v21
	s_waitcnt lgkmcnt(0)
	s_barrier
	buffer_gl0_inv
	v_lshl_add_u32 v0, v0, 2, v1
	v_dual_mov_b32 v1, s22 :: v_dual_mov_b32 v2, s23
	ds_store_b32 v0, v22
	s_waitcnt lgkmcnt(0)
	s_barrier
	buffer_gl0_inv
	ds_load_b32 v21, v18
	s_waitcnt lgkmcnt(0)
	s_barrier
	buffer_gl0_inv
	ds_store_b32 v0, v23
	s_waitcnt lgkmcnt(0)
	s_barrier
	buffer_gl0_inv
	v_bfe_u32 v3, v21, 16, 1
	v_lshrrev_b32_e32 v4, 16, v21
	s_delay_alu instid0(VALU_DEP_2) | instskip(NEXT) | instid1(VALU_DEP_1)
	v_add_co_u32 v3, s12, v3, -1
	v_cndmask_b32_e64 v5, 0, 1, s12
	s_delay_alu instid0(VALU_DEP_3)
	v_lshlrev_b32_e32 v6, 30, v4
	v_lshlrev_b32_e32 v7, 29, v4
	;; [unrolled: 1-line block ×4, first 2 shown]
	v_cmp_ne_u32_e64 s12, 0, v5
	v_not_b32_e32 v5, v6
	v_cmp_gt_i32_e64 s13, 0, v6
	v_not_b32_e32 v6, v7
	v_lshlrev_b32_e32 v25, 26, v4
	v_xor_b32_e32 v3, s12, v3
	v_ashrrev_i32_e32 v5, 31, v5
	v_cmp_gt_i32_e64 s12, 0, v7
	v_not_b32_e32 v7, v22
	v_ashrrev_i32_e32 v6, 31, v6
	v_and_b32_e32 v3, exec_lo, v3
	v_xor_b32_e32 v5, s13, v5
	v_cmp_gt_i32_e64 s13, 0, v22
	v_not_b32_e32 v22, v24
	v_ashrrev_i32_e32 v7, 31, v7
	v_xor_b32_e32 v6, s12, v6
	v_and_b32_e32 v3, v3, v5
	v_lshlrev_b32_e32 v26, 25, v4
	v_cmp_gt_i32_e64 s12, 0, v24
	v_not_b32_e32 v5, v25
	v_ashrrev_i32_e32 v22, 31, v22
	v_xor_b32_e32 v7, s13, v7
	v_and_b32_e32 v3, v3, v6
	v_lshlrev_b32_e32 v4, 24, v4
	v_cmp_gt_i32_e64 s13, 0, v25
	v_not_b32_e32 v6, v26
	v_ashrrev_i32_e32 v5, 31, v5
	v_xor_b32_e32 v22, s12, v22
	v_and_b32_e32 v3, v3, v7
	v_cmp_gt_i32_e64 s12, 0, v26
	v_not_b32_e32 v7, v4
	v_ashrrev_i32_e32 v6, 31, v6
	v_xor_b32_e32 v5, s13, v5
	v_and_b32_e32 v3, v3, v22
	v_cmp_gt_i32_e64 s13, 0, v4
	v_ashrrev_i32_e32 v4, 31, v7
	v_xor_b32_e32 v6, s12, v6
	ds_load_b32 v22, v18
	v_and_b32_e32 v3, v3, v5
	s_waitcnt lgkmcnt(0)
	v_xor_b32_e32 v0, s13, v4
	s_barrier
	buffer_gl0_inv
	v_and_b32_e32 v5, v3, v6
	v_mov_b32_e32 v3, s16
	v_lshrrev_b32_e32 v6, 13, v21
	v_mov_b32_e32 v4, s17
	ds_store_2addr_b64 v13, v[1:2], v[3:4] offset0:4 offset1:5
	ds_store_2addr_b64 v15, v[1:2], v[3:4] offset0:2 offset1:3
	v_and_b32_e32 v0, v5, v0
	v_and_b32_e32 v5, 0x7f8, v6
	s_waitcnt lgkmcnt(0)
	s_barrier
	buffer_gl0_inv
	v_mbcnt_lo_u32_b32 v23, v0, 0
	v_add_nc_u32_e32 v1, v5, v19
	v_cmp_ne_u32_e64 s13, 0, v0
	; wave barrier
	s_delay_alu instid0(VALU_DEP_3) | instskip(NEXT) | instid1(VALU_DEP_3)
	v_cmp_eq_u32_e64 s12, 0, v23
	v_lshl_add_u32 v24, v1, 2, 32
	s_delay_alu instid0(VALU_DEP_2) | instskip(NEXT) | instid1(SALU_CYCLE_1)
	s_and_b32 s13, s13, s12
	s_and_saveexec_b32 s12, s13
	s_cbranch_execz .LBB25_20
; %bb.19:                               ;   in Loop: Header=BB25_2 Depth=1
	v_bcnt_u32_b32 v0, v0, 0
	ds_store_b32 v24, v0
.LBB25_20:                              ;   in Loop: Header=BB25_2 Depth=1
	s_or_b32 exec_lo, exec_lo, s12
	; wave barrier
	s_waitcnt lgkmcnt(0)
	s_barrier
	buffer_gl0_inv
	ds_load_2addr_b64 v[4:7], v13 offset0:4 offset1:5
	ds_load_2addr_b64 v[0:3], v15 offset0:2 offset1:3
	s_waitcnt lgkmcnt(1)
	v_add_nc_u32_e32 v25, v5, v4
	s_delay_alu instid0(VALU_DEP_1) | instskip(SKIP_1) | instid1(VALU_DEP_1)
	v_add3_u32 v25, v25, v6, v7
	s_waitcnt lgkmcnt(0)
	v_add3_u32 v25, v25, v0, v1
	s_delay_alu instid0(VALU_DEP_1) | instskip(NEXT) | instid1(VALU_DEP_1)
	v_add3_u32 v3, v25, v2, v3
	v_mov_b32_dpp v25, v3 row_shr:1 row_mask:0xf bank_mask:0xf
	s_delay_alu instid0(VALU_DEP_1) | instskip(NEXT) | instid1(VALU_DEP_1)
	v_cndmask_b32_e64 v25, v25, 0, s0
	v_add_nc_u32_e32 v3, v25, v3
	s_delay_alu instid0(VALU_DEP_1) | instskip(NEXT) | instid1(VALU_DEP_1)
	v_mov_b32_dpp v25, v3 row_shr:2 row_mask:0xf bank_mask:0xf
	v_cndmask_b32_e64 v25, 0, v25, s1
	s_delay_alu instid0(VALU_DEP_1) | instskip(NEXT) | instid1(VALU_DEP_1)
	v_add_nc_u32_e32 v3, v3, v25
	v_mov_b32_dpp v25, v3 row_shr:4 row_mask:0xf bank_mask:0xf
	s_delay_alu instid0(VALU_DEP_1) | instskip(NEXT) | instid1(VALU_DEP_1)
	v_cndmask_b32_e64 v25, 0, v25, s2
	v_add_nc_u32_e32 v3, v3, v25
	s_delay_alu instid0(VALU_DEP_1) | instskip(NEXT) | instid1(VALU_DEP_1)
	v_mov_b32_dpp v25, v3 row_shr:8 row_mask:0xf bank_mask:0xf
	v_cndmask_b32_e64 v25, 0, v25, s3
	s_delay_alu instid0(VALU_DEP_1) | instskip(SKIP_3) | instid1(VALU_DEP_1)
	v_add_nc_u32_e32 v3, v3, v25
	ds_swizzle_b32 v25, v3 offset:swizzle(BROADCAST,32,15)
	s_waitcnt lgkmcnt(0)
	v_cndmask_b32_e64 v25, v25, 0, s4
	v_add_nc_u32_e32 v3, v3, v25
	s_and_saveexec_b32 s12, s11
	s_cbranch_execz .LBB25_22
; %bb.21:                               ;   in Loop: Header=BB25_2 Depth=1
	ds_store_b32 v14, v3
.LBB25_22:                              ;   in Loop: Header=BB25_2 Depth=1
	s_or_b32 exec_lo, exec_lo, s12
	s_waitcnt lgkmcnt(0)
	s_barrier
	buffer_gl0_inv
	s_and_saveexec_b32 s12, s5
	s_cbranch_execz .LBB25_24
; %bb.23:                               ;   in Loop: Header=BB25_2 Depth=1
	ds_load_b32 v25, v20
	s_waitcnt lgkmcnt(0)
	v_mov_b32_dpp v26, v25 row_shr:1 row_mask:0xf bank_mask:0xf
	s_delay_alu instid0(VALU_DEP_1) | instskip(NEXT) | instid1(VALU_DEP_1)
	v_cndmask_b32_e64 v26, v26, 0, s8
	v_add_nc_u32_e32 v25, v26, v25
	s_delay_alu instid0(VALU_DEP_1) | instskip(NEXT) | instid1(VALU_DEP_1)
	v_mov_b32_dpp v26, v25 row_shr:2 row_mask:0xf bank_mask:0xf
	v_cndmask_b32_e64 v26, 0, v26, s9
	s_delay_alu instid0(VALU_DEP_1) | instskip(NEXT) | instid1(VALU_DEP_1)
	v_add_nc_u32_e32 v25, v25, v26
	v_mov_b32_dpp v26, v25 row_shr:4 row_mask:0xf bank_mask:0xf
	s_delay_alu instid0(VALU_DEP_1) | instskip(NEXT) | instid1(VALU_DEP_1)
	v_cndmask_b32_e64 v26, 0, v26, s10
	v_add_nc_u32_e32 v25, v25, v26
	ds_store_b32 v20, v25
.LBB25_24:                              ;   in Loop: Header=BB25_2 Depth=1
	s_or_b32 exec_lo, exec_lo, s12
	v_mov_b32_e32 v25, 0
	s_waitcnt lgkmcnt(0)
	s_barrier
	buffer_gl0_inv
	s_and_saveexec_b32 s12, s6
	s_cbranch_execz .LBB25_26
; %bb.25:                               ;   in Loop: Header=BB25_2 Depth=1
	ds_load_b32 v25, v17
.LBB25_26:                              ;   in Loop: Header=BB25_2 Depth=1
	s_or_b32 exec_lo, exec_lo, s12
	s_waitcnt lgkmcnt(0)
	v_add_nc_u32_e32 v3, v25, v3
	ds_bpermute_b32 v3, v16, v3
	s_waitcnt lgkmcnt(0)
	v_cndmask_b32_e32 v3, v3, v25, vcc_lo
	s_delay_alu instid0(VALU_DEP_1) | instskip(NEXT) | instid1(VALU_DEP_1)
	v_cndmask_b32_e64 v3, v3, 0, s7
	v_add_nc_u32_e32 v4, v3, v4
	s_delay_alu instid0(VALU_DEP_1) | instskip(NEXT) | instid1(VALU_DEP_1)
	v_add_nc_u32_e32 v5, v4, v5
	v_add_nc_u32_e32 v6, v5, v6
	s_delay_alu instid0(VALU_DEP_1) | instskip(NEXT) | instid1(VALU_DEP_1)
	v_add_nc_u32_e32 v25, v6, v7
	;; [unrolled: 3-line block ×3, first 2 shown]
	v_add_nc_u32_e32 v1, v0, v2
	ds_store_2addr_b64 v13, v[3:4], v[5:6] offset0:4 offset1:5
	ds_store_2addr_b64 v15, v[25:26], v[0:1] offset0:2 offset1:3
	s_waitcnt lgkmcnt(0)
	s_barrier
	buffer_gl0_inv
	ds_load_b32 v0, v24
	v_lshlrev_b32_e32 v1, 2, v23
	s_waitcnt lgkmcnt(0)
	s_barrier
	buffer_gl0_inv
	v_lshl_add_u32 v0, v0, 2, v1
	ds_store_b32 v0, v21
	s_waitcnt lgkmcnt(0)
	s_barrier
	buffer_gl0_inv
	ds_load_b32 v21, v18
	s_waitcnt lgkmcnt(0)
	s_barrier
	buffer_gl0_inv
	ds_store_b32 v0, v22
	s_waitcnt lgkmcnt(0)
	s_barrier
	buffer_gl0_inv
	v_bfe_u32 v1, v21, 24, 1
	v_lshrrev_b32_e32 v5, 24, v21
	s_delay_alu instid0(VALU_DEP_2) | instskip(NEXT) | instid1(VALU_DEP_1)
	v_add_co_u32 v1, s12, v1, -1
	v_cndmask_b32_e64 v2, 0, 1, s12
	s_delay_alu instid0(VALU_DEP_3)
	v_lshlrev_b32_e32 v3, 30, v5
	v_lshlrev_b32_e32 v4, 29, v5
	;; [unrolled: 1-line block ×4, first 2 shown]
	v_cmp_ne_u32_e64 s12, 0, v2
	v_not_b32_e32 v2, v3
	v_cmp_gt_i32_e64 s13, 0, v3
	v_not_b32_e32 v3, v4
	v_lshlrev_b32_e32 v23, 26, v5
	v_xor_b32_e32 v1, s12, v1
	v_ashrrev_i32_e32 v2, 31, v2
	v_cmp_gt_i32_e64 s12, 0, v4
	v_not_b32_e32 v4, v6
	v_ashrrev_i32_e32 v3, 31, v3
	v_and_b32_e32 v1, exec_lo, v1
	v_xor_b32_e32 v2, s13, v2
	v_cmp_gt_i32_e64 s13, 0, v6
	v_not_b32_e32 v6, v7
	v_ashrrev_i32_e32 v4, 31, v4
	v_xor_b32_e32 v3, s12, v3
	v_and_b32_e32 v1, v1, v2
	v_lshlrev_b32_e32 v24, 25, v5
	v_cmp_gt_i32_e64 s12, 0, v7
	v_not_b32_e32 v2, v23
	v_ashrrev_i32_e32 v6, 31, v6
	v_xor_b32_e32 v4, s13, v4
	v_and_b32_e32 v1, v1, v3
	v_cmp_gt_i32_e64 s13, 0, v23
	v_not_b32_e32 v3, v24
	v_ashrrev_i32_e32 v2, 31, v2
	v_xor_b32_e32 v6, s12, v6
	v_and_b32_e32 v1, v1, v4
	v_not_b32_e32 v4, v21
	v_cmp_gt_i32_e64 s12, 0, v24
	v_ashrrev_i32_e32 v3, 31, v3
	v_xor_b32_e32 v2, s13, v2
	v_and_b32_e32 v1, v1, v6
	v_cmp_gt_i32_e64 s13, 0, v21
	v_ashrrev_i32_e32 v4, 31, v4
	v_xor_b32_e32 v3, s12, v3
	ds_load_b32 v23, v18
	v_and_b32_e32 v1, v1, v2
	s_waitcnt lgkmcnt(0)
	v_xor_b32_e32 v0, s13, v4
	s_barrier
	buffer_gl0_inv
	v_and_b32_e32 v3, v1, v3
	v_dual_mov_b32 v1, s22 :: v_dual_mov_b32 v2, s23
	s_delay_alu instid0(VALU_DEP_2)
	v_dual_mov_b32 v3, s16 :: v_dual_and_b32 v0, v3, v0
	v_mov_b32_e32 v4, s17
	ds_store_2addr_b64 v13, v[1:2], v[3:4] offset0:4 offset1:5
	ds_store_2addr_b64 v15, v[1:2], v[3:4] offset0:2 offset1:3
	v_mbcnt_lo_u32_b32 v22, v0, 0
	v_lshl_add_u32 v1, v5, 3, v19
	v_cmp_ne_u32_e64 s13, 0, v0
	s_waitcnt lgkmcnt(0)
	s_barrier
	v_cmp_eq_u32_e64 s12, 0, v22
	v_lshl_add_u32 v24, v1, 2, 32
	buffer_gl0_inv
	; wave barrier
	s_and_b32 s13, s13, s12
	s_delay_alu instid0(SALU_CYCLE_1)
	s_and_saveexec_b32 s12, s13
	s_cbranch_execz .LBB25_28
; %bb.27:                               ;   in Loop: Header=BB25_2 Depth=1
	v_bcnt_u32_b32 v0, v0, 0
	ds_store_b32 v24, v0
.LBB25_28:                              ;   in Loop: Header=BB25_2 Depth=1
	s_or_b32 exec_lo, exec_lo, s12
	; wave barrier
	s_waitcnt lgkmcnt(0)
	s_barrier
	buffer_gl0_inv
	ds_load_2addr_b64 v[4:7], v13 offset0:4 offset1:5
	ds_load_2addr_b64 v[0:3], v15 offset0:2 offset1:3
	s_waitcnt lgkmcnt(1)
	v_add_nc_u32_e32 v25, v5, v4
	s_delay_alu instid0(VALU_DEP_1) | instskip(SKIP_1) | instid1(VALU_DEP_1)
	v_add3_u32 v25, v25, v6, v7
	s_waitcnt lgkmcnt(0)
	v_add3_u32 v25, v25, v0, v1
	s_delay_alu instid0(VALU_DEP_1) | instskip(NEXT) | instid1(VALU_DEP_1)
	v_add3_u32 v3, v25, v2, v3
	v_mov_b32_dpp v25, v3 row_shr:1 row_mask:0xf bank_mask:0xf
	s_delay_alu instid0(VALU_DEP_1) | instskip(NEXT) | instid1(VALU_DEP_1)
	v_cndmask_b32_e64 v25, v25, 0, s0
	v_add_nc_u32_e32 v3, v25, v3
	s_delay_alu instid0(VALU_DEP_1) | instskip(NEXT) | instid1(VALU_DEP_1)
	v_mov_b32_dpp v25, v3 row_shr:2 row_mask:0xf bank_mask:0xf
	v_cndmask_b32_e64 v25, 0, v25, s1
	s_delay_alu instid0(VALU_DEP_1) | instskip(NEXT) | instid1(VALU_DEP_1)
	v_add_nc_u32_e32 v3, v3, v25
	v_mov_b32_dpp v25, v3 row_shr:4 row_mask:0xf bank_mask:0xf
	s_delay_alu instid0(VALU_DEP_1) | instskip(NEXT) | instid1(VALU_DEP_1)
	v_cndmask_b32_e64 v25, 0, v25, s2
	v_add_nc_u32_e32 v3, v3, v25
	s_delay_alu instid0(VALU_DEP_1) | instskip(NEXT) | instid1(VALU_DEP_1)
	v_mov_b32_dpp v25, v3 row_shr:8 row_mask:0xf bank_mask:0xf
	v_cndmask_b32_e64 v25, 0, v25, s3
	s_delay_alu instid0(VALU_DEP_1) | instskip(SKIP_3) | instid1(VALU_DEP_1)
	v_add_nc_u32_e32 v3, v3, v25
	ds_swizzle_b32 v25, v3 offset:swizzle(BROADCAST,32,15)
	s_waitcnt lgkmcnt(0)
	v_cndmask_b32_e64 v25, v25, 0, s4
	v_add_nc_u32_e32 v3, v3, v25
	s_and_saveexec_b32 s12, s11
	s_cbranch_execz .LBB25_30
; %bb.29:                               ;   in Loop: Header=BB25_2 Depth=1
	ds_store_b32 v14, v3
.LBB25_30:                              ;   in Loop: Header=BB25_2 Depth=1
	s_or_b32 exec_lo, exec_lo, s12
	s_waitcnt lgkmcnt(0)
	s_barrier
	buffer_gl0_inv
	s_and_saveexec_b32 s12, s5
	s_cbranch_execz .LBB25_32
; %bb.31:                               ;   in Loop: Header=BB25_2 Depth=1
	ds_load_b32 v25, v20
	s_waitcnt lgkmcnt(0)
	v_mov_b32_dpp v26, v25 row_shr:1 row_mask:0xf bank_mask:0xf
	s_delay_alu instid0(VALU_DEP_1) | instskip(NEXT) | instid1(VALU_DEP_1)
	v_cndmask_b32_e64 v26, v26, 0, s8
	v_add_nc_u32_e32 v25, v26, v25
	s_delay_alu instid0(VALU_DEP_1) | instskip(NEXT) | instid1(VALU_DEP_1)
	v_mov_b32_dpp v26, v25 row_shr:2 row_mask:0xf bank_mask:0xf
	v_cndmask_b32_e64 v26, 0, v26, s9
	s_delay_alu instid0(VALU_DEP_1) | instskip(NEXT) | instid1(VALU_DEP_1)
	v_add_nc_u32_e32 v25, v25, v26
	v_mov_b32_dpp v26, v25 row_shr:4 row_mask:0xf bank_mask:0xf
	s_delay_alu instid0(VALU_DEP_1) | instskip(NEXT) | instid1(VALU_DEP_1)
	v_cndmask_b32_e64 v26, 0, v26, s10
	v_add_nc_u32_e32 v25, v25, v26
	ds_store_b32 v20, v25
.LBB25_32:                              ;   in Loop: Header=BB25_2 Depth=1
	s_or_b32 exec_lo, exec_lo, s12
	v_mov_b32_e32 v25, 0
	s_waitcnt lgkmcnt(0)
	s_barrier
	buffer_gl0_inv
	s_and_saveexec_b32 s12, s6
	s_cbranch_execz .LBB25_1
; %bb.33:                               ;   in Loop: Header=BB25_2 Depth=1
	ds_load_b32 v25, v17
	s_branch .LBB25_1
.LBB25_34:
	s_waitcnt lgkmcnt(0)
	v_add3_u32 v0, v21, v22, 0x80000000
	v_lshlrev_b32_e32 v1, 2, v8
	s_add_u32 s0, s18, s20
	s_addc_u32 s1, s19, s21
	global_store_b32 v1, v0, s[0:1]
	s_nop 0
	s_sendmsg sendmsg(MSG_DEALLOC_VGPRS)
	s_endpgm
	.section	.rodata,"a",@progbits
	.p2align	6, 0x0
	.amdhsa_kernel _Z17sort_pairs_kernelI22helper_blocked_blockediLj256ELj1ELj10EEvPKT0_PS1_
		.amdhsa_group_segment_fixed_size 8224
		.amdhsa_private_segment_fixed_size 0
		.amdhsa_kernarg_size 272
		.amdhsa_user_sgpr_count 15
		.amdhsa_user_sgpr_dispatch_ptr 0
		.amdhsa_user_sgpr_queue_ptr 0
		.amdhsa_user_sgpr_kernarg_segment_ptr 1
		.amdhsa_user_sgpr_dispatch_id 0
		.amdhsa_user_sgpr_private_segment_size 0
		.amdhsa_wavefront_size32 1
		.amdhsa_uses_dynamic_stack 0
		.amdhsa_enable_private_segment 0
		.amdhsa_system_sgpr_workgroup_id_x 1
		.amdhsa_system_sgpr_workgroup_id_y 0
		.amdhsa_system_sgpr_workgroup_id_z 0
		.amdhsa_system_sgpr_workgroup_info 0
		.amdhsa_system_vgpr_workitem_id 2
		.amdhsa_next_free_vgpr 27
		.amdhsa_next_free_sgpr 24
		.amdhsa_reserve_vcc 1
		.amdhsa_float_round_mode_32 0
		.amdhsa_float_round_mode_16_64 0
		.amdhsa_float_denorm_mode_32 3
		.amdhsa_float_denorm_mode_16_64 3
		.amdhsa_dx10_clamp 1
		.amdhsa_ieee_mode 1
		.amdhsa_fp16_overflow 0
		.amdhsa_workgroup_processor_mode 1
		.amdhsa_memory_ordered 1
		.amdhsa_forward_progress 0
		.amdhsa_shared_vgpr_count 0
		.amdhsa_exception_fp_ieee_invalid_op 0
		.amdhsa_exception_fp_denorm_src 0
		.amdhsa_exception_fp_ieee_div_zero 0
		.amdhsa_exception_fp_ieee_overflow 0
		.amdhsa_exception_fp_ieee_underflow 0
		.amdhsa_exception_fp_ieee_inexact 0
		.amdhsa_exception_int_div_zero 0
	.end_amdhsa_kernel
	.section	.text._Z17sort_pairs_kernelI22helper_blocked_blockediLj256ELj1ELj10EEvPKT0_PS1_,"axG",@progbits,_Z17sort_pairs_kernelI22helper_blocked_blockediLj256ELj1ELj10EEvPKT0_PS1_,comdat
.Lfunc_end25:
	.size	_Z17sort_pairs_kernelI22helper_blocked_blockediLj256ELj1ELj10EEvPKT0_PS1_, .Lfunc_end25-_Z17sort_pairs_kernelI22helper_blocked_blockediLj256ELj1ELj10EEvPKT0_PS1_
                                        ; -- End function
	.section	.AMDGPU.csdata,"",@progbits
; Kernel info:
; codeLenInByte = 4428
; NumSgprs: 26
; NumVgprs: 27
; ScratchSize: 0
; MemoryBound: 0
; FloatMode: 240
; IeeeMode: 1
; LDSByteSize: 8224 bytes/workgroup (compile time only)
; SGPRBlocks: 3
; VGPRBlocks: 3
; NumSGPRsForWavesPerEU: 26
; NumVGPRsForWavesPerEU: 27
; Occupancy: 16
; WaveLimiterHint : 0
; COMPUTE_PGM_RSRC2:SCRATCH_EN: 0
; COMPUTE_PGM_RSRC2:USER_SGPR: 15
; COMPUTE_PGM_RSRC2:TRAP_HANDLER: 0
; COMPUTE_PGM_RSRC2:TGID_X_EN: 1
; COMPUTE_PGM_RSRC2:TGID_Y_EN: 0
; COMPUTE_PGM_RSRC2:TGID_Z_EN: 0
; COMPUTE_PGM_RSRC2:TIDIG_COMP_CNT: 2
	.section	.text._Z16sort_keys_kernelI22helper_blocked_blockediLj256ELj3ELj10EEvPKT0_PS1_,"axG",@progbits,_Z16sort_keys_kernelI22helper_blocked_blockediLj256ELj3ELj10EEvPKT0_PS1_,comdat
	.protected	_Z16sort_keys_kernelI22helper_blocked_blockediLj256ELj3ELj10EEvPKT0_PS1_ ; -- Begin function _Z16sort_keys_kernelI22helper_blocked_blockediLj256ELj3ELj10EEvPKT0_PS1_
	.globl	_Z16sort_keys_kernelI22helper_blocked_blockediLj256ELj3ELj10EEvPKT0_PS1_
	.p2align	8
	.type	_Z16sort_keys_kernelI22helper_blocked_blockediLj256ELj3ELj10EEvPKT0_PS1_,@function
_Z16sort_keys_kernelI22helper_blocked_blockediLj256ELj3ELj10EEvPKT0_PS1_: ; @_Z16sort_keys_kernelI22helper_blocked_blockediLj256ELj3ELj10EEvPKT0_PS1_
; %bb.0:
	s_clause 0x1
	s_load_b128 s[16:19], s[0:1], 0x0
	s_load_b32 s2, s[0:1], 0x1c
	s_mov_b32 s21, 0
	s_mul_i32 s20, s15, 0x300
	v_mbcnt_lo_u32_b32 v7, -1, 0
	s_lshl_b64 s[14:15], s[20:21], 2
	s_mov_b32 s20, s21
	v_and_b32_e32 v8, 0x3ff, v0
	v_bfe_u32 v4, v0, 10, 10
	v_bfe_u32 v0, v0, 20, 10
	v_cmp_eq_u32_e64 s8, 0, v7
	s_delay_alu instid0(VALU_DEP_4) | instskip(SKIP_1) | instid1(VALU_DEP_1)
	v_lshlrev_b32_e32 v1, 2, v8
	v_lshrrev_b32_e32 v6, 5, v8
	v_mul_u32_u24_e32 v5, 0x60, v6
	v_lshlrev_b32_e32 v19, 2, v6
	s_waitcnt lgkmcnt(0)
	s_add_u32 s0, s16, s14
	s_addc_u32 s1, s17, s15
	s_mov_b32 s16, s21
	s_clause 0x2
	global_load_b32 v2, v1, s[0:1]
	global_load_b32 v3, v1, s[0:1] offset:1024
	global_load_b32 v1, v1, s[0:1] offset:2048
	s_lshr_b32 s0, s2, 16
	v_lshlrev_b32_e32 v9, 2, v5
	v_mad_u32_u24 v0, v0, s0, v4
	s_and_b32 s0, s2, 0xffff
	v_or_b32_e32 v10, v7, v5
	s_mov_b32 s17, s21
	v_mad_u32_u24 v14, v7, 12, v9
	v_mad_u64_u32 v[4:5], null, v0, s0, v[8:9]
	v_add_nc_u32_e32 v9, -1, v7
	v_and_b32_e32 v0, 15, v7
	v_lshlrev_b32_e32 v15, 2, v10
	v_and_b32_e32 v10, 16, v7
	v_add_nc_u32_e32 v21, -4, v19
	v_cmp_gt_i32_e32 vcc_lo, 0, v9
	v_lshrrev_b32_e32 v17, 5, v4
	v_cmp_eq_u32_e64 s0, 0, v0
	v_cmp_lt_u32_e64 s1, 1, v0
	v_cmp_lt_u32_e64 s2, 3, v0
	;; [unrolled: 1-line block ×3, first 2 shown]
	v_cndmask_b32_e32 v0, v9, v7, vcc_lo
	v_cmp_eq_u32_e64 s4, 0, v10
	v_dual_mov_b32 v9, s20 :: v_dual_and_b32 v4, 0xe0, v8
	v_lshlrev_b32_e32 v13, 5, v8
	s_delay_alu instid0(VALU_DEP_4)
	v_lshlrev_b32_e32 v18, 2, v0
	v_lshlrev_b32_e32 v5, 3, v8
	v_cmp_gt_u32_e64 s6, 8, v8
	v_or_b32_e32 v11, 31, v4
	v_mul_u32_u24_e32 v0, 3, v4
	v_and_b32_e32 v4, 7, v7
	v_cmp_lt_u32_e64 s7, 31, v8
	v_cmp_eq_u32_e64 s9, 0, v8
	v_cmp_eq_u32_e64 s5, v11, v8
	v_dual_mov_b32 v11, s16 :: v_dual_mov_b32 v12, s17
	v_mad_i32_i24 v20, 0xffffffe4, v8, v13
	v_or_b32_e32 v0, v7, v0
	v_add_nc_u32_e32 v16, 32, v13
	v_cmp_eq_u32_e64 s10, 0, v4
	v_cmp_lt_u32_e64 s11, 1, v4
	v_cmp_lt_u32_e64 s12, 3, v4
	v_lshlrev_b32_e32 v22, 2, v0
	v_dual_mov_b32 v10, s21 :: v_dual_add_nc_u32 v23, v20, v5
	s_branch .LBB26_2
.LBB26_1:                               ;   in Loop: Header=BB26_2 Depth=1
	v_lshlrev_b32_e32 v0, 2, v5
	v_lshlrev_b32_e32 v1, 2, v4
	;; [unrolled: 1-line block ×3, first 2 shown]
	s_barrier
	buffer_gl0_inv
	ds_store_b32 v0, v24
	ds_store_b32 v1, v26
	;; [unrolled: 1-line block ×3, first 2 shown]
	s_waitcnt lgkmcnt(0)
	s_barrier
	buffer_gl0_inv
	ds_load_2addr_b32 v[0:1], v23 offset1:1
	ds_load_b32 v4, v23 offset:8
	s_add_i32 s21, s21, 1
	s_delay_alu instid0(SALU_CYCLE_1)
	s_cmp_eq_u32 s21, 10
	s_waitcnt lgkmcnt(1)
	v_xor_b32_e32 v2, 0x80000000, v0
	v_xor_b32_e32 v3, 0x80000000, v1
	s_waitcnt lgkmcnt(0)
	v_xor_b32_e32 v1, 0x80000000, v4
	s_cbranch_scc1 .LBB26_18
.LBB26_2:                               ; =>This Loop Header: Depth=1
                                        ;     Child Loop BB26_4 Depth 2
	s_waitcnt vmcnt(2)
	v_xor_b32_e32 v0, 0x80000000, v2
	s_waitcnt vmcnt(1)
	v_xor_b32_e32 v2, 0x80000000, v3
	;; [unrolled: 2-line block ×3, first 2 shown]
	s_mov_b32 s16, 0
	ds_store_2addr_b32 v14, v0, v2 offset1:1
	ds_store_b32 v14, v1 offset:8
	; wave barrier
	ds_load_2addr_b32 v[0:1], v15 offset1:32
	ds_load_b32 v2, v15 offset:256
	s_waitcnt lgkmcnt(0)
	s_barrier
	buffer_gl0_inv
	; wave barrier
	s_barrier
	s_branch .LBB26_4
.LBB26_3:                               ;   in Loop: Header=BB26_4 Depth=2
	v_lshlrev_b32_e32 v0, 2, v5
	v_lshlrev_b32_e32 v1, 2, v4
	s_delay_alu instid0(VALU_DEP_3)
	v_lshlrev_b32_e32 v2, 2, v3
	s_barrier
	buffer_gl0_inv
	ds_store_b32 v0, v24
	ds_store_b32 v1, v26
	;; [unrolled: 1-line block ×3, first 2 shown]
	s_waitcnt lgkmcnt(0)
	s_barrier
	buffer_gl0_inv
	ds_load_2addr_b32 v[0:1], v22 offset1:32
	ds_load_b32 v2, v22 offset:256
	s_add_i32 s16, s16, 8
	s_waitcnt lgkmcnt(0)
	s_barrier
	s_cbranch_execz .LBB26_1
.LBB26_4:                               ;   Parent Loop BB26_2 Depth=1
                                        ; =>  This Inner Loop Header: Depth=2
	v_mov_b32_e32 v24, v0
	buffer_gl0_inv
	ds_store_2addr_b64 v13, v[9:10], v[11:12] offset0:4 offset1:5
	ds_store_2addr_b64 v16, v[9:10], v[11:12] offset0:2 offset1:3
	s_waitcnt lgkmcnt(0)
	s_barrier
	v_lshrrev_b32_e32 v3, s16, v24
	buffer_gl0_inv
	; wave barrier
	v_lshlrev_b32_e32 v5, 30, v3
	v_bfe_u32 v0, v24, s16, 1
	v_lshlrev_b32_e32 v6, 29, v3
	v_lshlrev_b32_e32 v7, 28, v3
	;; [unrolled: 1-line block ×4, first 2 shown]
	v_add_co_u32 v0, s13, v0, -1
	s_delay_alu instid0(VALU_DEP_1) | instskip(SKIP_3) | instid1(VALU_DEP_4)
	v_cndmask_b32_e64 v4, 0, 1, s13
	v_cmp_gt_i32_e64 s13, 0, v5
	v_lshlrev_b32_e32 v27, 25, v3
	v_lshlrev_b32_e32 v3, 24, v3
	v_cmp_ne_u32_e32 vcc_lo, 0, v4
	v_not_b32_e32 v4, v5
	v_not_b32_e32 v5, v6
	v_xor_b32_e32 v0, vcc_lo, v0
	s_delay_alu instid0(VALU_DEP_3)
	v_ashrrev_i32_e32 v4, 31, v4
	v_cmp_gt_i32_e32 vcc_lo, 0, v6
	v_not_b32_e32 v6, v7
	v_ashrrev_i32_e32 v5, 31, v5
	v_and_b32_e32 v0, exec_lo, v0
	v_xor_b32_e32 v4, s13, v4
	v_cmp_gt_i32_e64 s13, 0, v7
	v_not_b32_e32 v7, v25
	v_ashrrev_i32_e32 v6, 31, v6
	v_xor_b32_e32 v5, vcc_lo, v5
	v_and_b32_e32 v0, v0, v4
	v_cmp_gt_i32_e32 vcc_lo, 0, v25
	v_not_b32_e32 v4, v26
	v_ashrrev_i32_e32 v7, 31, v7
	v_xor_b32_e32 v6, s13, v6
	v_and_b32_e32 v0, v0, v5
	v_cmp_gt_i32_e64 s13, 0, v26
	v_mov_b32_e32 v26, v1
	v_not_b32_e32 v5, v27
	v_ashrrev_i32_e32 v4, 31, v4
	v_xor_b32_e32 v7, vcc_lo, v7
	v_and_b32_e32 v0, v0, v6
	v_cmp_gt_i32_e32 vcc_lo, 0, v27
	v_not_b32_e32 v6, v3
	v_ashrrev_i32_e32 v5, 31, v5
	v_xor_b32_e32 v4, s13, v4
	v_and_b32_e32 v0, v0, v7
	v_cmp_gt_i32_e64 s13, 0, v3
	v_ashrrev_i32_e32 v3, 31, v6
	v_xor_b32_e32 v5, vcc_lo, v5
	v_bfe_u32 v1, v24, s16, 8
	v_dual_mov_b32 v25, v2 :: v_dual_and_b32 v0, v0, v4
	s_delay_alu instid0(VALU_DEP_4) | instskip(NEXT) | instid1(VALU_DEP_3)
	v_xor_b32_e32 v3, s13, v3
	v_lshl_add_u32 v1, v1, 3, v17
	s_delay_alu instid0(VALU_DEP_3) | instskip(NEXT) | instid1(VALU_DEP_2)
	v_and_b32_e32 v0, v0, v5
	v_lshl_add_u32 v28, v1, 2, 32
	s_delay_alu instid0(VALU_DEP_2) | instskip(NEXT) | instid1(VALU_DEP_1)
	v_and_b32_e32 v0, v0, v3
	v_mbcnt_lo_u32_b32 v27, v0, 0
	v_cmp_ne_u32_e64 s13, 0, v0
	s_delay_alu instid0(VALU_DEP_2) | instskip(NEXT) | instid1(VALU_DEP_2)
	v_cmp_eq_u32_e32 vcc_lo, 0, v27
	s_and_b32 s17, s13, vcc_lo
	s_delay_alu instid0(SALU_CYCLE_1)
	s_and_saveexec_b32 s13, s17
	s_cbranch_execz .LBB26_6
; %bb.5:                                ;   in Loop: Header=BB26_4 Depth=2
	v_bcnt_u32_b32 v0, v0, 0
	ds_store_b32 v28, v0
.LBB26_6:                               ;   in Loop: Header=BB26_4 Depth=2
	s_or_b32 exec_lo, exec_lo, s13
	v_bfe_u32 v0, v26, s16, 1
	v_lshrrev_b32_e32 v1, s16, v26
	; wave barrier
	s_delay_alu instid0(VALU_DEP_2) | instskip(NEXT) | instid1(VALU_DEP_1)
	v_add_co_u32 v0, s13, v0, -1
	v_cndmask_b32_e64 v2, 0, 1, s13
	s_delay_alu instid0(VALU_DEP_3)
	v_lshlrev_b32_e32 v3, 30, v1
	v_lshlrev_b32_e32 v4, 29, v1
	v_lshlrev_b32_e32 v5, 28, v1
	v_lshlrev_b32_e32 v6, 27, v1
	v_cmp_ne_u32_e32 vcc_lo, 0, v2
	v_not_b32_e32 v2, v3
	v_cmp_gt_i32_e64 s13, 0, v3
	v_not_b32_e32 v3, v4
	v_lshlrev_b32_e32 v7, 26, v1
	v_xor_b32_e32 v0, vcc_lo, v0
	v_ashrrev_i32_e32 v2, 31, v2
	v_cmp_gt_i32_e32 vcc_lo, 0, v4
	v_not_b32_e32 v4, v5
	v_ashrrev_i32_e32 v3, 31, v3
	v_and_b32_e32 v0, exec_lo, v0
	v_xor_b32_e32 v2, s13, v2
	v_cmp_gt_i32_e64 s13, 0, v5
	v_not_b32_e32 v5, v6
	v_ashrrev_i32_e32 v4, 31, v4
	v_xor_b32_e32 v3, vcc_lo, v3
	v_and_b32_e32 v0, v0, v2
	v_cmp_gt_i32_e32 vcc_lo, 0, v6
	v_not_b32_e32 v2, v7
	v_ashrrev_i32_e32 v5, 31, v5
	v_xor_b32_e32 v4, s13, v4
	v_and_b32_e32 v0, v0, v3
	v_lshlrev_b32_e32 v3, 25, v1
	v_cmp_gt_i32_e64 s13, 0, v7
	v_ashrrev_i32_e32 v2, 31, v2
	v_xor_b32_e32 v5, vcc_lo, v5
	v_and_b32_e32 v0, v0, v4
	v_not_b32_e32 v6, v3
	v_lshlrev_b32_e32 v1, 24, v1
	v_bfe_u32 v4, v26, s16, 8
	v_xor_b32_e32 v2, s13, v2
	v_and_b32_e32 v0, v0, v5
	v_cmp_gt_i32_e32 vcc_lo, 0, v3
	v_ashrrev_i32_e32 v3, 31, v6
	v_not_b32_e32 v5, v1
	v_lshlrev_b32_e32 v4, 3, v4
	v_and_b32_e32 v0, v0, v2
	s_delay_alu instid0(VALU_DEP_4) | instskip(SKIP_3) | instid1(VALU_DEP_4)
	v_xor_b32_e32 v2, vcc_lo, v3
	v_cmp_gt_i32_e32 vcc_lo, 0, v1
	v_ashrrev_i32_e32 v1, 31, v5
	v_add_lshl_u32 v3, v4, v17, 2
	v_and_b32_e32 v0, v0, v2
	s_delay_alu instid0(VALU_DEP_3) | instskip(SKIP_3) | instid1(VALU_DEP_1)
	v_xor_b32_e32 v1, vcc_lo, v1
	ds_load_b32 v29, v3 offset:32
	v_add_nc_u32_e32 v31, 32, v3
	; wave barrier
	v_and_b32_e32 v0, v0, v1
	v_mbcnt_lo_u32_b32 v30, v0, 0
	v_cmp_ne_u32_e64 s13, 0, v0
	s_delay_alu instid0(VALU_DEP_2) | instskip(NEXT) | instid1(VALU_DEP_2)
	v_cmp_eq_u32_e32 vcc_lo, 0, v30
	s_and_b32 s17, s13, vcc_lo
	s_delay_alu instid0(SALU_CYCLE_1)
	s_and_saveexec_b32 s13, s17
	s_cbranch_execz .LBB26_8
; %bb.7:                                ;   in Loop: Header=BB26_4 Depth=2
	s_waitcnt lgkmcnt(0)
	v_bcnt_u32_b32 v0, v0, v29
	ds_store_b32 v31, v0
.LBB26_8:                               ;   in Loop: Header=BB26_4 Depth=2
	s_or_b32 exec_lo, exec_lo, s13
	v_bfe_u32 v0, v25, s16, 1
	v_lshrrev_b32_e32 v1, s16, v25
	; wave barrier
	s_delay_alu instid0(VALU_DEP_2) | instskip(NEXT) | instid1(VALU_DEP_1)
	v_add_co_u32 v0, s13, v0, -1
	v_cndmask_b32_e64 v2, 0, 1, s13
	s_delay_alu instid0(VALU_DEP_3)
	v_lshlrev_b32_e32 v3, 30, v1
	v_lshlrev_b32_e32 v4, 29, v1
	;; [unrolled: 1-line block ×4, first 2 shown]
	v_cmp_ne_u32_e32 vcc_lo, 0, v2
	v_not_b32_e32 v2, v3
	v_cmp_gt_i32_e64 s13, 0, v3
	v_not_b32_e32 v3, v4
	v_lshlrev_b32_e32 v7, 26, v1
	v_xor_b32_e32 v0, vcc_lo, v0
	v_ashrrev_i32_e32 v2, 31, v2
	v_cmp_gt_i32_e32 vcc_lo, 0, v4
	v_not_b32_e32 v4, v5
	v_ashrrev_i32_e32 v3, 31, v3
	v_and_b32_e32 v0, exec_lo, v0
	v_xor_b32_e32 v2, s13, v2
	v_cmp_gt_i32_e64 s13, 0, v5
	v_not_b32_e32 v5, v6
	v_ashrrev_i32_e32 v4, 31, v4
	v_xor_b32_e32 v3, vcc_lo, v3
	v_and_b32_e32 v0, v0, v2
	v_cmp_gt_i32_e32 vcc_lo, 0, v6
	v_not_b32_e32 v2, v7
	v_ashrrev_i32_e32 v5, 31, v5
	v_xor_b32_e32 v4, s13, v4
	v_and_b32_e32 v0, v0, v3
	v_lshlrev_b32_e32 v3, 25, v1
	v_cmp_gt_i32_e64 s13, 0, v7
	v_ashrrev_i32_e32 v2, 31, v2
	v_xor_b32_e32 v5, vcc_lo, v5
	v_and_b32_e32 v0, v0, v4
	v_not_b32_e32 v6, v3
	v_lshlrev_b32_e32 v1, 24, v1
	v_bfe_u32 v4, v25, s16, 8
	v_xor_b32_e32 v2, s13, v2
	v_and_b32_e32 v0, v0, v5
	v_cmp_gt_i32_e32 vcc_lo, 0, v3
	v_ashrrev_i32_e32 v3, 31, v6
	v_not_b32_e32 v5, v1
	v_lshlrev_b32_e32 v4, 3, v4
	v_and_b32_e32 v0, v0, v2
	s_delay_alu instid0(VALU_DEP_4) | instskip(SKIP_3) | instid1(VALU_DEP_4)
	v_xor_b32_e32 v2, vcc_lo, v3
	v_cmp_gt_i32_e32 vcc_lo, 0, v1
	v_ashrrev_i32_e32 v1, 31, v5
	v_add_lshl_u32 v3, v4, v17, 2
	v_and_b32_e32 v0, v0, v2
	s_delay_alu instid0(VALU_DEP_3) | instskip(SKIP_3) | instid1(VALU_DEP_1)
	v_xor_b32_e32 v1, vcc_lo, v1
	ds_load_b32 v32, v3 offset:32
	v_add_nc_u32_e32 v34, 32, v3
	; wave barrier
	v_and_b32_e32 v0, v0, v1
	v_mbcnt_lo_u32_b32 v33, v0, 0
	v_cmp_ne_u32_e64 s13, 0, v0
	s_delay_alu instid0(VALU_DEP_2) | instskip(NEXT) | instid1(VALU_DEP_2)
	v_cmp_eq_u32_e32 vcc_lo, 0, v33
	s_and_b32 s17, s13, vcc_lo
	s_delay_alu instid0(SALU_CYCLE_1)
	s_and_saveexec_b32 s13, s17
	s_cbranch_execz .LBB26_10
; %bb.9:                                ;   in Loop: Header=BB26_4 Depth=2
	s_waitcnt lgkmcnt(0)
	v_bcnt_u32_b32 v0, v0, v32
	ds_store_b32 v34, v0
.LBB26_10:                              ;   in Loop: Header=BB26_4 Depth=2
	s_or_b32 exec_lo, exec_lo, s13
	; wave barrier
	s_waitcnt lgkmcnt(0)
	s_barrier
	buffer_gl0_inv
	ds_load_2addr_b64 v[4:7], v13 offset0:4 offset1:5
	ds_load_2addr_b64 v[0:3], v16 offset0:2 offset1:3
	s_waitcnt lgkmcnt(1)
	v_add_nc_u32_e32 v35, v5, v4
	s_delay_alu instid0(VALU_DEP_1) | instskip(SKIP_1) | instid1(VALU_DEP_1)
	v_add3_u32 v35, v35, v6, v7
	s_waitcnt lgkmcnt(0)
	v_add3_u32 v35, v35, v0, v1
	s_delay_alu instid0(VALU_DEP_1) | instskip(NEXT) | instid1(VALU_DEP_1)
	v_add3_u32 v3, v35, v2, v3
	v_mov_b32_dpp v35, v3 row_shr:1 row_mask:0xf bank_mask:0xf
	s_delay_alu instid0(VALU_DEP_1) | instskip(NEXT) | instid1(VALU_DEP_1)
	v_cndmask_b32_e64 v35, v35, 0, s0
	v_add_nc_u32_e32 v3, v35, v3
	s_delay_alu instid0(VALU_DEP_1) | instskip(NEXT) | instid1(VALU_DEP_1)
	v_mov_b32_dpp v35, v3 row_shr:2 row_mask:0xf bank_mask:0xf
	v_cndmask_b32_e64 v35, 0, v35, s1
	s_delay_alu instid0(VALU_DEP_1) | instskip(NEXT) | instid1(VALU_DEP_1)
	v_add_nc_u32_e32 v3, v3, v35
	v_mov_b32_dpp v35, v3 row_shr:4 row_mask:0xf bank_mask:0xf
	s_delay_alu instid0(VALU_DEP_1) | instskip(NEXT) | instid1(VALU_DEP_1)
	v_cndmask_b32_e64 v35, 0, v35, s2
	v_add_nc_u32_e32 v3, v3, v35
	s_delay_alu instid0(VALU_DEP_1) | instskip(NEXT) | instid1(VALU_DEP_1)
	v_mov_b32_dpp v35, v3 row_shr:8 row_mask:0xf bank_mask:0xf
	v_cndmask_b32_e64 v35, 0, v35, s3
	s_delay_alu instid0(VALU_DEP_1) | instskip(SKIP_3) | instid1(VALU_DEP_1)
	v_add_nc_u32_e32 v3, v3, v35
	ds_swizzle_b32 v35, v3 offset:swizzle(BROADCAST,32,15)
	s_waitcnt lgkmcnt(0)
	v_cndmask_b32_e64 v35, v35, 0, s4
	v_add_nc_u32_e32 v3, v3, v35
	s_and_saveexec_b32 s13, s5
	s_cbranch_execz .LBB26_12
; %bb.11:                               ;   in Loop: Header=BB26_4 Depth=2
	ds_store_b32 v19, v3
.LBB26_12:                              ;   in Loop: Header=BB26_4 Depth=2
	s_or_b32 exec_lo, exec_lo, s13
	s_waitcnt lgkmcnt(0)
	s_barrier
	buffer_gl0_inv
	s_and_saveexec_b32 s13, s6
	s_cbranch_execz .LBB26_14
; %bb.13:                               ;   in Loop: Header=BB26_4 Depth=2
	ds_load_b32 v35, v20
	s_waitcnt lgkmcnt(0)
	v_mov_b32_dpp v36, v35 row_shr:1 row_mask:0xf bank_mask:0xf
	s_delay_alu instid0(VALU_DEP_1) | instskip(NEXT) | instid1(VALU_DEP_1)
	v_cndmask_b32_e64 v36, v36, 0, s10
	v_add_nc_u32_e32 v35, v36, v35
	s_delay_alu instid0(VALU_DEP_1) | instskip(NEXT) | instid1(VALU_DEP_1)
	v_mov_b32_dpp v36, v35 row_shr:2 row_mask:0xf bank_mask:0xf
	v_cndmask_b32_e64 v36, 0, v36, s11
	s_delay_alu instid0(VALU_DEP_1) | instskip(NEXT) | instid1(VALU_DEP_1)
	v_add_nc_u32_e32 v35, v35, v36
	v_mov_b32_dpp v36, v35 row_shr:4 row_mask:0xf bank_mask:0xf
	s_delay_alu instid0(VALU_DEP_1) | instskip(NEXT) | instid1(VALU_DEP_1)
	v_cndmask_b32_e64 v36, 0, v36, s12
	v_add_nc_u32_e32 v35, v35, v36
	ds_store_b32 v20, v35
.LBB26_14:                              ;   in Loop: Header=BB26_4 Depth=2
	s_or_b32 exec_lo, exec_lo, s13
	v_mov_b32_e32 v35, 0
	s_waitcnt lgkmcnt(0)
	s_barrier
	buffer_gl0_inv
	s_and_saveexec_b32 s13, s7
	s_cbranch_execz .LBB26_16
; %bb.15:                               ;   in Loop: Header=BB26_4 Depth=2
	ds_load_b32 v35, v21
.LBB26_16:                              ;   in Loop: Header=BB26_4 Depth=2
	s_or_b32 exec_lo, exec_lo, s13
	s_waitcnt lgkmcnt(0)
	v_add_nc_u32_e32 v3, v35, v3
	s_cmp_gt_u32 s16, 23
	ds_bpermute_b32 v3, v18, v3
	s_waitcnt lgkmcnt(0)
	v_cndmask_b32_e64 v3, v3, v35, s8
	s_delay_alu instid0(VALU_DEP_1) | instskip(NEXT) | instid1(VALU_DEP_1)
	v_cndmask_b32_e64 v3, v3, 0, s9
	v_add_nc_u32_e32 v4, v3, v4
	s_delay_alu instid0(VALU_DEP_1) | instskip(NEXT) | instid1(VALU_DEP_1)
	v_add_nc_u32_e32 v5, v4, v5
	v_add_nc_u32_e32 v6, v5, v6
	s_delay_alu instid0(VALU_DEP_1) | instskip(NEXT) | instid1(VALU_DEP_1)
	v_add_nc_u32_e32 v35, v6, v7
	;; [unrolled: 3-line block ×3, first 2 shown]
	v_add_nc_u32_e32 v1, v0, v2
	ds_store_2addr_b64 v13, v[3:4], v[5:6] offset0:4 offset1:5
	ds_store_2addr_b64 v16, v[35:36], v[0:1] offset0:2 offset1:3
	s_waitcnt lgkmcnt(0)
	s_barrier
	buffer_gl0_inv
	ds_load_b32 v0, v28
	ds_load_b32 v1, v31
	;; [unrolled: 1-line block ×3, first 2 shown]
	s_waitcnt lgkmcnt(2)
	v_add_nc_u32_e32 v5, v0, v27
	s_waitcnt lgkmcnt(1)
	v_add3_u32 v4, v30, v29, v1
	s_waitcnt lgkmcnt(0)
	v_add3_u32 v3, v33, v32, v2
	s_cbranch_scc0 .LBB26_3
; %bb.17:                               ;   in Loop: Header=BB26_2 Depth=1
                                        ; implicit-def: $vgpr2
                                        ; implicit-def: $vgpr1
                                        ; implicit-def: $sgpr16
	s_branch .LBB26_1
.LBB26_18:
	v_lshlrev_b32_e32 v0, 2, v8
	s_add_u32 s0, s18, s14
	s_addc_u32 s1, s19, s15
	s_clause 0x2
	global_store_b32 v0, v2, s[0:1]
	global_store_b32 v0, v3, s[0:1] offset:1024
	global_store_b32 v0, v1, s[0:1] offset:2048
	s_nop 0
	s_sendmsg sendmsg(MSG_DEALLOC_VGPRS)
	s_endpgm
	.section	.rodata,"a",@progbits
	.p2align	6, 0x0
	.amdhsa_kernel _Z16sort_keys_kernelI22helper_blocked_blockediLj256ELj3ELj10EEvPKT0_PS1_
		.amdhsa_group_segment_fixed_size 8224
		.amdhsa_private_segment_fixed_size 0
		.amdhsa_kernarg_size 272
		.amdhsa_user_sgpr_count 15
		.amdhsa_user_sgpr_dispatch_ptr 0
		.amdhsa_user_sgpr_queue_ptr 0
		.amdhsa_user_sgpr_kernarg_segment_ptr 1
		.amdhsa_user_sgpr_dispatch_id 0
		.amdhsa_user_sgpr_private_segment_size 0
		.amdhsa_wavefront_size32 1
		.amdhsa_uses_dynamic_stack 0
		.amdhsa_enable_private_segment 0
		.amdhsa_system_sgpr_workgroup_id_x 1
		.amdhsa_system_sgpr_workgroup_id_y 0
		.amdhsa_system_sgpr_workgroup_id_z 0
		.amdhsa_system_sgpr_workgroup_info 0
		.amdhsa_system_vgpr_workitem_id 2
		.amdhsa_next_free_vgpr 37
		.amdhsa_next_free_sgpr 22
		.amdhsa_reserve_vcc 1
		.amdhsa_float_round_mode_32 0
		.amdhsa_float_round_mode_16_64 0
		.amdhsa_float_denorm_mode_32 3
		.amdhsa_float_denorm_mode_16_64 3
		.amdhsa_dx10_clamp 1
		.amdhsa_ieee_mode 1
		.amdhsa_fp16_overflow 0
		.amdhsa_workgroup_processor_mode 1
		.amdhsa_memory_ordered 1
		.amdhsa_forward_progress 0
		.amdhsa_shared_vgpr_count 0
		.amdhsa_exception_fp_ieee_invalid_op 0
		.amdhsa_exception_fp_denorm_src 0
		.amdhsa_exception_fp_ieee_div_zero 0
		.amdhsa_exception_fp_ieee_overflow 0
		.amdhsa_exception_fp_ieee_underflow 0
		.amdhsa_exception_fp_ieee_inexact 0
		.amdhsa_exception_int_div_zero 0
	.end_amdhsa_kernel
	.section	.text._Z16sort_keys_kernelI22helper_blocked_blockediLj256ELj3ELj10EEvPKT0_PS1_,"axG",@progbits,_Z16sort_keys_kernelI22helper_blocked_blockediLj256ELj3ELj10EEvPKT0_PS1_,comdat
.Lfunc_end26:
	.size	_Z16sort_keys_kernelI22helper_blocked_blockediLj256ELj3ELj10EEvPKT0_PS1_, .Lfunc_end26-_Z16sort_keys_kernelI22helper_blocked_blockediLj256ELj3ELj10EEvPKT0_PS1_
                                        ; -- End function
	.section	.AMDGPU.csdata,"",@progbits
; Kernel info:
; codeLenInByte = 2396
; NumSgprs: 24
; NumVgprs: 37
; ScratchSize: 0
; MemoryBound: 0
; FloatMode: 240
; IeeeMode: 1
; LDSByteSize: 8224 bytes/workgroup (compile time only)
; SGPRBlocks: 2
; VGPRBlocks: 4
; NumSGPRsForWavesPerEU: 24
; NumVGPRsForWavesPerEU: 37
; Occupancy: 16
; WaveLimiterHint : 1
; COMPUTE_PGM_RSRC2:SCRATCH_EN: 0
; COMPUTE_PGM_RSRC2:USER_SGPR: 15
; COMPUTE_PGM_RSRC2:TRAP_HANDLER: 0
; COMPUTE_PGM_RSRC2:TGID_X_EN: 1
; COMPUTE_PGM_RSRC2:TGID_Y_EN: 0
; COMPUTE_PGM_RSRC2:TGID_Z_EN: 0
; COMPUTE_PGM_RSRC2:TIDIG_COMP_CNT: 2
	.section	.text._Z17sort_pairs_kernelI22helper_blocked_blockediLj256ELj3ELj10EEvPKT0_PS1_,"axG",@progbits,_Z17sort_pairs_kernelI22helper_blocked_blockediLj256ELj3ELj10EEvPKT0_PS1_,comdat
	.protected	_Z17sort_pairs_kernelI22helper_blocked_blockediLj256ELj3ELj10EEvPKT0_PS1_ ; -- Begin function _Z17sort_pairs_kernelI22helper_blocked_blockediLj256ELj3ELj10EEvPKT0_PS1_
	.globl	_Z17sort_pairs_kernelI22helper_blocked_blockediLj256ELj3ELj10EEvPKT0_PS1_
	.p2align	8
	.type	_Z17sort_pairs_kernelI22helper_blocked_blockediLj256ELj3ELj10EEvPKT0_PS1_,@function
_Z17sort_pairs_kernelI22helper_blocked_blockediLj256ELj3ELj10EEvPKT0_PS1_: ; @_Z17sort_pairs_kernelI22helper_blocked_blockediLj256ELj3ELj10EEvPKT0_PS1_
; %bb.0:
	s_clause 0x1
	s_load_b128 s[16:19], s[0:1], 0x0
	s_load_b32 s12, s[0:1], 0x1c
	v_and_b32_e32 v8, 0x3ff, v0
	s_mov_b32 s21, 0
	s_mul_i32 s20, s15, 0x300
	v_mbcnt_lo_u32_b32 v6, -1, 0
	s_lshl_b64 s[14:15], s[20:21], 2
	v_lshlrev_b32_e32 v1, 2, v8
	s_mov_b32 s20, s21
	v_bfe_u32 v2, v0, 10, 10
	v_dual_mov_b32 v11, s20 :: v_dual_add_nc_u32 v14, -1, v6
	v_dual_mov_b32 v12, s21 :: v_dual_and_b32 v3, 15, v6
	v_and_b32_e32 v7, 16, v6
	s_delay_alu instid0(VALU_DEP_3)
	v_cmp_gt_i32_e32 vcc_lo, 0, v14
	v_bfe_u32 v0, v0, 20, 10
	v_and_b32_e32 v15, 7, v6
	v_cmp_lt_u32_e64 s2, 1, v3
	v_cmp_lt_u32_e64 s3, 3, v3
	s_waitcnt lgkmcnt(0)
	s_add_u32 s0, s16, s14
	s_addc_u32 s1, s17, s15
	v_cmp_lt_u32_e64 s4, 7, v3
	s_clause 0x2
	global_load_b32 v4, v1, s[0:1]
	global_load_b32 v5, v1, s[0:1] offset:1024
	global_load_b32 v1, v1, s[0:1] offset:2048
	s_mov_b32 s1, s21
	s_mov_b32 s0, s21
	s_delay_alu instid0(SALU_CYCLE_1)
	v_dual_mov_b32 v10, s1 :: v_dual_mov_b32 v9, s0
	v_lshrrev_b32_e32 v16, 5, v8
	v_lshlrev_b32_e32 v13, 5, v8
	v_cmp_eq_u32_e64 s1, 0, v3
	v_cmp_eq_u32_e64 s5, 0, v7
	v_and_b32_e32 v3, 0xe0, v8
	s_delay_alu instid0(VALU_DEP_4)
	v_dual_cndmask_b32 v7, v14, v6 :: v_dual_add_nc_u32 v14, 32, v13
	s_lshr_b32 s13, s12, 16
	v_cmp_eq_u32_e64 s9, 0, v15
	v_mad_u32_u24 v0, v0, s13, v2
	v_cmp_lt_u32_e64 s10, 1, v15
	v_cmp_lt_u32_e64 s11, 3, v15
	v_mul_u32_u24_e32 v18, 0x60, v16
	v_lshlrev_b32_e32 v15, 2, v7
	v_mul_u32_u24_e32 v7, 3, v3
	s_and_b32 s12, s12, 0xffff
	v_or_b32_e32 v19, 31, v3
	v_mad_u64_u32 v[2:3], null, v0, s12, v[8:9]
	v_lshlrev_b32_e32 v23, 3, v8
	v_lshlrev_b32_e32 v16, 2, v16
	v_mad_i32_i24 v17, 0xffffffe4, v8, v13
	v_lshlrev_b32_e32 v20, 2, v18
	v_or_b32_e32 v0, v6, v18
	v_or_b32_e32 v3, v6, v7
	v_cmp_eq_u32_e64 s0, 0, v6
	v_cmp_gt_u32_e64 s6, 8, v8
	v_cmp_lt_u32_e64 s7, 31, v8
	v_cmp_eq_u32_e64 s8, 0, v8
	v_cmp_eq_u32_e64 s12, v19, v8
	v_add_nc_u32_e32 v18, -4, v16
	v_mad_u32_u24 v19, v6, 12, v20
	v_lshlrev_b32_e32 v20, 2, v0
	v_lshlrev_b32_e32 v21, 2, v3
	v_lshrrev_b32_e32 v22, 5, v2
	v_add_nc_u32_e32 v23, v17, v23
	s_waitcnt vmcnt(2)
	v_add_nc_u32_e32 v2, 1, v4
	s_waitcnt vmcnt(1)
	;; [unrolled: 2-line block ×3, first 2 shown]
	v_add_nc_u32_e32 v6, 1, v1
	s_branch .LBB27_2
.LBB27_1:                               ;   in Loop: Header=BB27_2 Depth=1
	v_lshlrev_b32_e32 v2, 2, v30
	v_lshlrev_b32_e32 v3, 2, v7
	;; [unrolled: 1-line block ×3, first 2 shown]
	s_barrier
	buffer_gl0_inv
	ds_store_b32 v2, v24
	ds_store_b32 v3, v29
	;; [unrolled: 1-line block ×3, first 2 shown]
	s_waitcnt lgkmcnt(0)
	s_barrier
	buffer_gl0_inv
	ds_load_2addr_b32 v[0:1], v23 offset1:1
	ds_load_b32 v7, v23 offset:8
	s_waitcnt lgkmcnt(0)
	s_barrier
	buffer_gl0_inv
	ds_store_b32 v2, v27
	ds_store_b32 v3, v26
	;; [unrolled: 1-line block ×3, first 2 shown]
	s_waitcnt lgkmcnt(0)
	s_barrier
	buffer_gl0_inv
	ds_load_2addr_b32 v[2:3], v23 offset1:1
	ds_load_b32 v6, v23 offset:8
	s_add_i32 s21, s21, 1
	s_delay_alu instid0(SALU_CYCLE_1)
	s_cmp_eq_u32 s21, 10
	v_xor_b32_e32 v4, 0x80000000, v0
	v_xor_b32_e32 v5, 0x80000000, v1
	;; [unrolled: 1-line block ×3, first 2 shown]
	s_cbranch_scc1 .LBB27_18
.LBB27_2:                               ; =>This Loop Header: Depth=1
                                        ;     Child Loop BB27_4 Depth 2
	s_delay_alu instid0(VALU_DEP_3) | instskip(NEXT) | instid1(VALU_DEP_3)
	v_xor_b32_e32 v0, 0x80000000, v4
	v_xor_b32_e32 v4, 0x80000000, v5
	s_delay_alu instid0(VALU_DEP_3)
	v_xor_b32_e32 v1, 0x80000000, v1
	s_mov_b32 s16, 0
	ds_store_2addr_b32 v19, v0, v4 offset1:1
	ds_store_b32 v19, v1 offset:8
	; wave barrier
	ds_load_2addr_b32 v[0:1], v20 offset1:32
	ds_load_b32 v4, v20 offset:256
	; wave barrier
	s_waitcnt lgkmcnt(5)
	ds_store_2addr_b32 v19, v2, v3 offset1:1
	s_waitcnt lgkmcnt(5)
	ds_store_b32 v19, v6 offset:8
	; wave barrier
	ds_load_2addr_b32 v[2:3], v20 offset1:32
	ds_load_b32 v5, v20 offset:256
	s_waitcnt lgkmcnt(0)
	s_barrier
	s_branch .LBB27_4
.LBB27_3:                               ;   in Loop: Header=BB27_4 Depth=2
	v_lshlrev_b32_e32 v2, 2, v30
	v_lshlrev_b32_e32 v3, 2, v7
	s_delay_alu instid0(VALU_DEP_3)
	v_lshlrev_b32_e32 v5, 2, v6
	s_barrier
	buffer_gl0_inv
	ds_store_b32 v2, v24
	ds_store_b32 v3, v29
	;; [unrolled: 1-line block ×3, first 2 shown]
	s_waitcnt lgkmcnt(0)
	s_barrier
	buffer_gl0_inv
	ds_load_2addr_b32 v[0:1], v21 offset1:32
	ds_load_b32 v4, v21 offset:256
	s_waitcnt lgkmcnt(0)
	s_barrier
	buffer_gl0_inv
	ds_store_b32 v2, v27
	ds_store_b32 v3, v26
	;; [unrolled: 1-line block ×3, first 2 shown]
	s_waitcnt lgkmcnt(0)
	s_barrier
	buffer_gl0_inv
	ds_load_2addr_b32 v[2:3], v21 offset1:32
	ds_load_b32 v5, v21 offset:256
	s_add_i32 s16, s16, 8
	s_waitcnt lgkmcnt(0)
	s_barrier
	s_cbranch_execz .LBB27_1
.LBB27_4:                               ;   Parent Loop BB27_2 Depth=1
                                        ; =>  This Inner Loop Header: Depth=2
	v_mov_b32_e32 v24, v0
	buffer_gl0_inv
	ds_store_2addr_b64 v13, v[11:12], v[9:10] offset0:4 offset1:5
	ds_store_2addr_b64 v14, v[11:12], v[9:10] offset0:2 offset1:3
	s_waitcnt lgkmcnt(0)
	s_barrier
	v_lshrrev_b32_e32 v6, s16, v24
	buffer_gl0_inv
	; wave barrier
	v_lshlrev_b32_e32 v25, 30, v6
	v_bfe_u32 v0, v24, s16, 1
	v_lshlrev_b32_e32 v26, 29, v6
	v_lshlrev_b32_e32 v27, 28, v6
	;; [unrolled: 1-line block ×4, first 2 shown]
	v_add_co_u32 v0, s13, v0, -1
	s_delay_alu instid0(VALU_DEP_1) | instskip(SKIP_3) | instid1(VALU_DEP_4)
	v_cndmask_b32_e64 v7, 0, 1, s13
	v_cmp_gt_i32_e64 s13, 0, v25
	v_lshlrev_b32_e32 v30, 25, v6
	v_lshlrev_b32_e32 v6, 24, v6
	v_cmp_ne_u32_e32 vcc_lo, 0, v7
	v_not_b32_e32 v7, v25
	v_not_b32_e32 v25, v26
	v_xor_b32_e32 v0, vcc_lo, v0
	s_delay_alu instid0(VALU_DEP_3)
	v_ashrrev_i32_e32 v7, 31, v7
	v_cmp_gt_i32_e32 vcc_lo, 0, v26
	v_not_b32_e32 v26, v27
	v_ashrrev_i32_e32 v25, 31, v25
	v_and_b32_e32 v0, exec_lo, v0
	v_xor_b32_e32 v7, s13, v7
	v_cmp_gt_i32_e64 s13, 0, v27
	v_not_b32_e32 v27, v28
	v_ashrrev_i32_e32 v26, 31, v26
	v_xor_b32_e32 v25, vcc_lo, v25
	v_and_b32_e32 v0, v0, v7
	v_cmp_gt_i32_e32 vcc_lo, 0, v28
	v_ashrrev_i32_e32 v27, 31, v27
	v_xor_b32_e32 v26, s13, v26
	v_not_b32_e32 v7, v29
	v_and_b32_e32 v0, v0, v25
	v_cmp_gt_i32_e64 s13, 0, v29
	v_xor_b32_e32 v27, vcc_lo, v27
	v_mov_b32_e32 v29, v1
	v_ashrrev_i32_e32 v7, 31, v7
	v_and_b32_e32 v0, v0, v26
	v_not_b32_e32 v26, v6
	v_bfe_u32 v1, v24, s16, 8
	v_mov_b32_e32 v28, v4
	v_xor_b32_e32 v7, s13, v7
	v_dual_mov_b32 v27, v2 :: v_dual_and_b32 v0, v0, v27
	v_not_b32_e32 v25, v30
	v_cmp_gt_i32_e32 vcc_lo, 0, v30
	v_cmp_gt_i32_e64 s13, 0, v6
	v_ashrrev_i32_e32 v6, 31, v26
	v_and_b32_e32 v0, v0, v7
	v_ashrrev_i32_e32 v25, 31, v25
	v_lshl_add_u32 v1, v1, 3, v22
	v_mov_b32_e32 v26, v3
	v_xor_b32_e32 v6, s13, v6
	s_delay_alu instid0(VALU_DEP_4) | instskip(NEXT) | instid1(VALU_DEP_4)
	v_xor_b32_e32 v25, vcc_lo, v25
	v_lshl_add_u32 v31, v1, 2, 32
	s_delay_alu instid0(VALU_DEP_2) | instskip(NEXT) | instid1(VALU_DEP_1)
	v_dual_mov_b32 v25, v5 :: v_dual_and_b32 v0, v0, v25
	v_and_b32_e32 v0, v0, v6
	s_delay_alu instid0(VALU_DEP_1) | instskip(SKIP_1) | instid1(VALU_DEP_2)
	v_mbcnt_lo_u32_b32 v30, v0, 0
	v_cmp_ne_u32_e64 s13, 0, v0
	v_cmp_eq_u32_e32 vcc_lo, 0, v30
	s_delay_alu instid0(VALU_DEP_2) | instskip(NEXT) | instid1(SALU_CYCLE_1)
	s_and_b32 s17, s13, vcc_lo
	s_and_saveexec_b32 s13, s17
	s_cbranch_execz .LBB27_6
; %bb.5:                                ;   in Loop: Header=BB27_4 Depth=2
	v_bcnt_u32_b32 v0, v0, 0
	ds_store_b32 v31, v0
.LBB27_6:                               ;   in Loop: Header=BB27_4 Depth=2
	s_or_b32 exec_lo, exec_lo, s13
	v_bfe_u32 v0, v29, s16, 1
	v_lshrrev_b32_e32 v1, s16, v29
	; wave barrier
	s_delay_alu instid0(VALU_DEP_2) | instskip(NEXT) | instid1(VALU_DEP_1)
	v_add_co_u32 v0, s13, v0, -1
	v_cndmask_b32_e64 v2, 0, 1, s13
	s_delay_alu instid0(VALU_DEP_3)
	v_lshlrev_b32_e32 v3, 30, v1
	v_lshlrev_b32_e32 v4, 29, v1
	;; [unrolled: 1-line block ×4, first 2 shown]
	v_cmp_ne_u32_e32 vcc_lo, 0, v2
	v_not_b32_e32 v2, v3
	v_cmp_gt_i32_e64 s13, 0, v3
	v_not_b32_e32 v3, v4
	v_lshlrev_b32_e32 v7, 26, v1
	v_xor_b32_e32 v0, vcc_lo, v0
	v_ashrrev_i32_e32 v2, 31, v2
	v_cmp_gt_i32_e32 vcc_lo, 0, v4
	v_not_b32_e32 v4, v5
	v_ashrrev_i32_e32 v3, 31, v3
	v_and_b32_e32 v0, exec_lo, v0
	v_xor_b32_e32 v2, s13, v2
	v_cmp_gt_i32_e64 s13, 0, v5
	v_not_b32_e32 v5, v6
	v_ashrrev_i32_e32 v4, 31, v4
	v_xor_b32_e32 v3, vcc_lo, v3
	v_and_b32_e32 v0, v0, v2
	v_cmp_gt_i32_e32 vcc_lo, 0, v6
	v_not_b32_e32 v2, v7
	v_ashrrev_i32_e32 v5, 31, v5
	v_xor_b32_e32 v4, s13, v4
	v_and_b32_e32 v0, v0, v3
	v_lshlrev_b32_e32 v3, 25, v1
	v_cmp_gt_i32_e64 s13, 0, v7
	v_ashrrev_i32_e32 v2, 31, v2
	v_xor_b32_e32 v5, vcc_lo, v5
	v_and_b32_e32 v0, v0, v4
	v_not_b32_e32 v6, v3
	v_lshlrev_b32_e32 v1, 24, v1
	v_bfe_u32 v4, v29, s16, 8
	v_xor_b32_e32 v2, s13, v2
	v_and_b32_e32 v0, v0, v5
	v_cmp_gt_i32_e32 vcc_lo, 0, v3
	v_ashrrev_i32_e32 v3, 31, v6
	v_not_b32_e32 v5, v1
	v_lshlrev_b32_e32 v4, 3, v4
	v_and_b32_e32 v0, v0, v2
	s_delay_alu instid0(VALU_DEP_4) | instskip(SKIP_3) | instid1(VALU_DEP_4)
	v_xor_b32_e32 v2, vcc_lo, v3
	v_cmp_gt_i32_e32 vcc_lo, 0, v1
	v_ashrrev_i32_e32 v1, 31, v5
	v_add_lshl_u32 v3, v4, v22, 2
	v_and_b32_e32 v0, v0, v2
	s_delay_alu instid0(VALU_DEP_3) | instskip(SKIP_3) | instid1(VALU_DEP_1)
	v_xor_b32_e32 v1, vcc_lo, v1
	ds_load_b32 v32, v3 offset:32
	v_add_nc_u32_e32 v34, 32, v3
	; wave barrier
	v_and_b32_e32 v0, v0, v1
	v_mbcnt_lo_u32_b32 v33, v0, 0
	v_cmp_ne_u32_e64 s13, 0, v0
	s_delay_alu instid0(VALU_DEP_2) | instskip(NEXT) | instid1(VALU_DEP_2)
	v_cmp_eq_u32_e32 vcc_lo, 0, v33
	s_and_b32 s17, s13, vcc_lo
	s_delay_alu instid0(SALU_CYCLE_1)
	s_and_saveexec_b32 s13, s17
	s_cbranch_execz .LBB27_8
; %bb.7:                                ;   in Loop: Header=BB27_4 Depth=2
	s_waitcnt lgkmcnt(0)
	v_bcnt_u32_b32 v0, v0, v32
	ds_store_b32 v34, v0
.LBB27_8:                               ;   in Loop: Header=BB27_4 Depth=2
	s_or_b32 exec_lo, exec_lo, s13
	v_bfe_u32 v0, v28, s16, 1
	v_lshrrev_b32_e32 v1, s16, v28
	; wave barrier
	s_delay_alu instid0(VALU_DEP_2) | instskip(NEXT) | instid1(VALU_DEP_1)
	v_add_co_u32 v0, s13, v0, -1
	v_cndmask_b32_e64 v2, 0, 1, s13
	s_delay_alu instid0(VALU_DEP_3)
	v_lshlrev_b32_e32 v3, 30, v1
	v_lshlrev_b32_e32 v4, 29, v1
	;; [unrolled: 1-line block ×4, first 2 shown]
	v_cmp_ne_u32_e32 vcc_lo, 0, v2
	v_not_b32_e32 v2, v3
	v_cmp_gt_i32_e64 s13, 0, v3
	v_not_b32_e32 v3, v4
	v_lshlrev_b32_e32 v7, 26, v1
	v_xor_b32_e32 v0, vcc_lo, v0
	v_ashrrev_i32_e32 v2, 31, v2
	v_cmp_gt_i32_e32 vcc_lo, 0, v4
	v_not_b32_e32 v4, v5
	v_ashrrev_i32_e32 v3, 31, v3
	v_and_b32_e32 v0, exec_lo, v0
	v_xor_b32_e32 v2, s13, v2
	v_cmp_gt_i32_e64 s13, 0, v5
	v_not_b32_e32 v5, v6
	v_ashrrev_i32_e32 v4, 31, v4
	v_xor_b32_e32 v3, vcc_lo, v3
	v_and_b32_e32 v0, v0, v2
	v_cmp_gt_i32_e32 vcc_lo, 0, v6
	v_not_b32_e32 v2, v7
	v_ashrrev_i32_e32 v5, 31, v5
	v_xor_b32_e32 v4, s13, v4
	v_and_b32_e32 v0, v0, v3
	v_lshlrev_b32_e32 v3, 25, v1
	v_cmp_gt_i32_e64 s13, 0, v7
	v_ashrrev_i32_e32 v2, 31, v2
	v_xor_b32_e32 v5, vcc_lo, v5
	v_and_b32_e32 v0, v0, v4
	v_not_b32_e32 v6, v3
	v_lshlrev_b32_e32 v1, 24, v1
	v_bfe_u32 v4, v28, s16, 8
	v_xor_b32_e32 v2, s13, v2
	v_and_b32_e32 v0, v0, v5
	v_cmp_gt_i32_e32 vcc_lo, 0, v3
	v_ashrrev_i32_e32 v3, 31, v6
	v_not_b32_e32 v5, v1
	v_lshlrev_b32_e32 v4, 3, v4
	v_and_b32_e32 v0, v0, v2
	s_delay_alu instid0(VALU_DEP_4) | instskip(SKIP_3) | instid1(VALU_DEP_4)
	v_xor_b32_e32 v2, vcc_lo, v3
	v_cmp_gt_i32_e32 vcc_lo, 0, v1
	v_ashrrev_i32_e32 v1, 31, v5
	v_add_lshl_u32 v3, v4, v22, 2
	v_and_b32_e32 v0, v0, v2
	s_delay_alu instid0(VALU_DEP_3) | instskip(SKIP_3) | instid1(VALU_DEP_1)
	v_xor_b32_e32 v1, vcc_lo, v1
	ds_load_b32 v35, v3 offset:32
	v_add_nc_u32_e32 v37, 32, v3
	; wave barrier
	v_and_b32_e32 v0, v0, v1
	v_mbcnt_lo_u32_b32 v36, v0, 0
	v_cmp_ne_u32_e64 s13, 0, v0
	s_delay_alu instid0(VALU_DEP_2) | instskip(NEXT) | instid1(VALU_DEP_2)
	v_cmp_eq_u32_e32 vcc_lo, 0, v36
	s_and_b32 s17, s13, vcc_lo
	s_delay_alu instid0(SALU_CYCLE_1)
	s_and_saveexec_b32 s13, s17
	s_cbranch_execz .LBB27_10
; %bb.9:                                ;   in Loop: Header=BB27_4 Depth=2
	s_waitcnt lgkmcnt(0)
	v_bcnt_u32_b32 v0, v0, v35
	ds_store_b32 v37, v0
.LBB27_10:                              ;   in Loop: Header=BB27_4 Depth=2
	s_or_b32 exec_lo, exec_lo, s13
	; wave barrier
	s_waitcnt lgkmcnt(0)
	s_barrier
	buffer_gl0_inv
	ds_load_2addr_b64 v[4:7], v13 offset0:4 offset1:5
	ds_load_2addr_b64 v[0:3], v14 offset0:2 offset1:3
	s_waitcnt lgkmcnt(1)
	v_add_nc_u32_e32 v38, v5, v4
	s_delay_alu instid0(VALU_DEP_1) | instskip(SKIP_1) | instid1(VALU_DEP_1)
	v_add3_u32 v38, v38, v6, v7
	s_waitcnt lgkmcnt(0)
	v_add3_u32 v38, v38, v0, v1
	s_delay_alu instid0(VALU_DEP_1) | instskip(NEXT) | instid1(VALU_DEP_1)
	v_add3_u32 v3, v38, v2, v3
	v_mov_b32_dpp v38, v3 row_shr:1 row_mask:0xf bank_mask:0xf
	s_delay_alu instid0(VALU_DEP_1) | instskip(NEXT) | instid1(VALU_DEP_1)
	v_cndmask_b32_e64 v38, v38, 0, s1
	v_add_nc_u32_e32 v3, v38, v3
	s_delay_alu instid0(VALU_DEP_1) | instskip(NEXT) | instid1(VALU_DEP_1)
	v_mov_b32_dpp v38, v3 row_shr:2 row_mask:0xf bank_mask:0xf
	v_cndmask_b32_e64 v38, 0, v38, s2
	s_delay_alu instid0(VALU_DEP_1) | instskip(NEXT) | instid1(VALU_DEP_1)
	v_add_nc_u32_e32 v3, v3, v38
	v_mov_b32_dpp v38, v3 row_shr:4 row_mask:0xf bank_mask:0xf
	s_delay_alu instid0(VALU_DEP_1) | instskip(NEXT) | instid1(VALU_DEP_1)
	v_cndmask_b32_e64 v38, 0, v38, s3
	v_add_nc_u32_e32 v3, v3, v38
	s_delay_alu instid0(VALU_DEP_1) | instskip(NEXT) | instid1(VALU_DEP_1)
	v_mov_b32_dpp v38, v3 row_shr:8 row_mask:0xf bank_mask:0xf
	v_cndmask_b32_e64 v38, 0, v38, s4
	s_delay_alu instid0(VALU_DEP_1) | instskip(SKIP_3) | instid1(VALU_DEP_1)
	v_add_nc_u32_e32 v3, v3, v38
	ds_swizzle_b32 v38, v3 offset:swizzle(BROADCAST,32,15)
	s_waitcnt lgkmcnt(0)
	v_cndmask_b32_e64 v38, v38, 0, s5
	v_add_nc_u32_e32 v3, v3, v38
	s_and_saveexec_b32 s13, s12
	s_cbranch_execz .LBB27_12
; %bb.11:                               ;   in Loop: Header=BB27_4 Depth=2
	ds_store_b32 v16, v3
.LBB27_12:                              ;   in Loop: Header=BB27_4 Depth=2
	s_or_b32 exec_lo, exec_lo, s13
	s_waitcnt lgkmcnt(0)
	s_barrier
	buffer_gl0_inv
	s_and_saveexec_b32 s13, s6
	s_cbranch_execz .LBB27_14
; %bb.13:                               ;   in Loop: Header=BB27_4 Depth=2
	ds_load_b32 v38, v17
	s_waitcnt lgkmcnt(0)
	v_mov_b32_dpp v39, v38 row_shr:1 row_mask:0xf bank_mask:0xf
	s_delay_alu instid0(VALU_DEP_1) | instskip(NEXT) | instid1(VALU_DEP_1)
	v_cndmask_b32_e64 v39, v39, 0, s9
	v_add_nc_u32_e32 v38, v39, v38
	s_delay_alu instid0(VALU_DEP_1) | instskip(NEXT) | instid1(VALU_DEP_1)
	v_mov_b32_dpp v39, v38 row_shr:2 row_mask:0xf bank_mask:0xf
	v_cndmask_b32_e64 v39, 0, v39, s10
	s_delay_alu instid0(VALU_DEP_1) | instskip(NEXT) | instid1(VALU_DEP_1)
	v_add_nc_u32_e32 v38, v38, v39
	v_mov_b32_dpp v39, v38 row_shr:4 row_mask:0xf bank_mask:0xf
	s_delay_alu instid0(VALU_DEP_1) | instskip(NEXT) | instid1(VALU_DEP_1)
	v_cndmask_b32_e64 v39, 0, v39, s11
	v_add_nc_u32_e32 v38, v38, v39
	ds_store_b32 v17, v38
.LBB27_14:                              ;   in Loop: Header=BB27_4 Depth=2
	s_or_b32 exec_lo, exec_lo, s13
	v_mov_b32_e32 v38, 0
	s_waitcnt lgkmcnt(0)
	s_barrier
	buffer_gl0_inv
	s_and_saveexec_b32 s13, s7
	s_cbranch_execz .LBB27_16
; %bb.15:                               ;   in Loop: Header=BB27_4 Depth=2
	ds_load_b32 v38, v18
.LBB27_16:                              ;   in Loop: Header=BB27_4 Depth=2
	s_or_b32 exec_lo, exec_lo, s13
	s_waitcnt lgkmcnt(0)
	v_add_nc_u32_e32 v3, v38, v3
	s_cmp_gt_u32 s16, 23
	ds_bpermute_b32 v3, v15, v3
	s_waitcnt lgkmcnt(0)
	v_cndmask_b32_e64 v3, v3, v38, s0
	s_delay_alu instid0(VALU_DEP_1) | instskip(NEXT) | instid1(VALU_DEP_1)
	v_cndmask_b32_e64 v3, v3, 0, s8
	v_add_nc_u32_e32 v4, v3, v4
	s_delay_alu instid0(VALU_DEP_1) | instskip(NEXT) | instid1(VALU_DEP_1)
	v_add_nc_u32_e32 v5, v4, v5
	v_add_nc_u32_e32 v6, v5, v6
	s_delay_alu instid0(VALU_DEP_1) | instskip(NEXT) | instid1(VALU_DEP_1)
	v_add_nc_u32_e32 v38, v6, v7
	;; [unrolled: 3-line block ×3, first 2 shown]
	v_add_nc_u32_e32 v1, v0, v2
	ds_store_2addr_b64 v13, v[3:4], v[5:6] offset0:4 offset1:5
	ds_store_2addr_b64 v14, v[38:39], v[0:1] offset0:2 offset1:3
	s_waitcnt lgkmcnt(0)
	s_barrier
	buffer_gl0_inv
	ds_load_b32 v0, v31
	ds_load_b32 v1, v34
	;; [unrolled: 1-line block ×3, first 2 shown]
	s_waitcnt lgkmcnt(2)
	v_add_nc_u32_e32 v30, v0, v30
	s_waitcnt lgkmcnt(1)
	v_add3_u32 v7, v33, v32, v1
	s_waitcnt lgkmcnt(0)
	v_add3_u32 v6, v36, v35, v2
	s_cbranch_scc0 .LBB27_3
; %bb.17:                               ;   in Loop: Header=BB27_2 Depth=1
                                        ; implicit-def: $vgpr4
                                        ; implicit-def: $vgpr1
                                        ; implicit-def: $vgpr5
                                        ; implicit-def: $vgpr3
                                        ; implicit-def: $sgpr16
	s_branch .LBB27_1
.LBB27_18:
	s_waitcnt lgkmcnt(1)
	v_add_nc_u32_e32 v0, v4, v2
	v_add_nc_u32_e32 v2, v5, v3
	v_lshlrev_b32_e32 v3, 2, v8
	s_waitcnt lgkmcnt(0)
	v_add_nc_u32_e32 v1, v1, v6
	s_add_u32 s0, s18, s14
	s_addc_u32 s1, s19, s15
	s_clause 0x2
	global_store_b32 v3, v0, s[0:1]
	global_store_b32 v3, v2, s[0:1] offset:1024
	global_store_b32 v3, v1, s[0:1] offset:2048
	s_nop 0
	s_sendmsg sendmsg(MSG_DEALLOC_VGPRS)
	s_endpgm
	.section	.rodata,"a",@progbits
	.p2align	6, 0x0
	.amdhsa_kernel _Z17sort_pairs_kernelI22helper_blocked_blockediLj256ELj3ELj10EEvPKT0_PS1_
		.amdhsa_group_segment_fixed_size 8224
		.amdhsa_private_segment_fixed_size 0
		.amdhsa_kernarg_size 272
		.amdhsa_user_sgpr_count 15
		.amdhsa_user_sgpr_dispatch_ptr 0
		.amdhsa_user_sgpr_queue_ptr 0
		.amdhsa_user_sgpr_kernarg_segment_ptr 1
		.amdhsa_user_sgpr_dispatch_id 0
		.amdhsa_user_sgpr_private_segment_size 0
		.amdhsa_wavefront_size32 1
		.amdhsa_uses_dynamic_stack 0
		.amdhsa_enable_private_segment 0
		.amdhsa_system_sgpr_workgroup_id_x 1
		.amdhsa_system_sgpr_workgroup_id_y 0
		.amdhsa_system_sgpr_workgroup_id_z 0
		.amdhsa_system_sgpr_workgroup_info 0
		.amdhsa_system_vgpr_workitem_id 2
		.amdhsa_next_free_vgpr 40
		.amdhsa_next_free_sgpr 22
		.amdhsa_reserve_vcc 1
		.amdhsa_float_round_mode_32 0
		.amdhsa_float_round_mode_16_64 0
		.amdhsa_float_denorm_mode_32 3
		.amdhsa_float_denorm_mode_16_64 3
		.amdhsa_dx10_clamp 1
		.amdhsa_ieee_mode 1
		.amdhsa_fp16_overflow 0
		.amdhsa_workgroup_processor_mode 1
		.amdhsa_memory_ordered 1
		.amdhsa_forward_progress 0
		.amdhsa_shared_vgpr_count 0
		.amdhsa_exception_fp_ieee_invalid_op 0
		.amdhsa_exception_fp_denorm_src 0
		.amdhsa_exception_fp_ieee_div_zero 0
		.amdhsa_exception_fp_ieee_overflow 0
		.amdhsa_exception_fp_ieee_underflow 0
		.amdhsa_exception_fp_ieee_inexact 0
		.amdhsa_exception_int_div_zero 0
	.end_amdhsa_kernel
	.section	.text._Z17sort_pairs_kernelI22helper_blocked_blockediLj256ELj3ELj10EEvPKT0_PS1_,"axG",@progbits,_Z17sort_pairs_kernelI22helper_blocked_blockediLj256ELj3ELj10EEvPKT0_PS1_,comdat
.Lfunc_end27:
	.size	_Z17sort_pairs_kernelI22helper_blocked_blockediLj256ELj3ELj10EEvPKT0_PS1_, .Lfunc_end27-_Z17sort_pairs_kernelI22helper_blocked_blockediLj256ELj3ELj10EEvPKT0_PS1_
                                        ; -- End function
	.section	.AMDGPU.csdata,"",@progbits
; Kernel info:
; codeLenInByte = 2612
; NumSgprs: 24
; NumVgprs: 40
; ScratchSize: 0
; MemoryBound: 0
; FloatMode: 240
; IeeeMode: 1
; LDSByteSize: 8224 bytes/workgroup (compile time only)
; SGPRBlocks: 2
; VGPRBlocks: 4
; NumSGPRsForWavesPerEU: 24
; NumVGPRsForWavesPerEU: 40
; Occupancy: 16
; WaveLimiterHint : 1
; COMPUTE_PGM_RSRC2:SCRATCH_EN: 0
; COMPUTE_PGM_RSRC2:USER_SGPR: 15
; COMPUTE_PGM_RSRC2:TRAP_HANDLER: 0
; COMPUTE_PGM_RSRC2:TGID_X_EN: 1
; COMPUTE_PGM_RSRC2:TGID_Y_EN: 0
; COMPUTE_PGM_RSRC2:TGID_Z_EN: 0
; COMPUTE_PGM_RSRC2:TIDIG_COMP_CNT: 2
	.section	.text._Z16sort_keys_kernelI22helper_blocked_blockediLj256ELj4ELj10EEvPKT0_PS1_,"axG",@progbits,_Z16sort_keys_kernelI22helper_blocked_blockediLj256ELj4ELj10EEvPKT0_PS1_,comdat
	.protected	_Z16sort_keys_kernelI22helper_blocked_blockediLj256ELj4ELj10EEvPKT0_PS1_ ; -- Begin function _Z16sort_keys_kernelI22helper_blocked_blockediLj256ELj4ELj10EEvPKT0_PS1_
	.globl	_Z16sort_keys_kernelI22helper_blocked_blockediLj256ELj4ELj10EEvPKT0_PS1_
	.p2align	8
	.type	_Z16sort_keys_kernelI22helper_blocked_blockediLj256ELj4ELj10EEvPKT0_PS1_,@function
_Z16sort_keys_kernelI22helper_blocked_blockediLj256ELj4ELj10EEvPKT0_PS1_: ; @_Z16sort_keys_kernelI22helper_blocked_blockediLj256ELj4ELj10EEvPKT0_PS1_
; %bb.0:
	s_clause 0x1
	s_load_b128 s[16:19], s[0:1], 0x0
	s_load_b32 s2, s[0:1], 0x1c
	s_mov_b32 s23, 0
	s_lshl_b32 s22, s15, 10
	v_mbcnt_lo_u32_b32 v9, -1, 0
	s_lshl_b64 s[20:21], s[22:23], 2
	s_mov_b32 s22, s23
	v_and_b32_e32 v8, 0x3ff, v0
	v_bfe_u32 v5, v0, 10, 10
	v_bfe_u32 v0, v0, 20, 10
	v_and_b32_e32 v13, 28, v9
	v_cmp_eq_u32_e64 s11, 0, v9
	v_lshlrev_b32_e32 v7, 2, v8
	s_waitcnt lgkmcnt(0)
	s_add_u32 s0, s16, s20
	s_addc_u32 s1, s17, s21
	s_mov_b32 s16, s23
	s_clause 0x3
	global_load_b32 v2, v7, s[0:1]
	global_load_b32 v3, v7, s[0:1] offset:1024
	global_load_b32 v4, v7, s[0:1] offset:2048
	;; [unrolled: 1-line block ×3, first 2 shown]
	s_lshr_b32 s1, s2, 16
	s_and_b32 s2, s2, 0xffff
	v_mad_u32_u24 v0, v0, s1, v5
	s_mov_b32 s17, s23
	v_dual_mov_b32 v11, s16 :: v_dual_and_b32 v10, 3, v9
	v_mov_b32_e32 v12, s17
	s_delay_alu instid0(VALU_DEP_3)
	v_mad_u64_u32 v[5:6], null, v0, s2, v[8:9]
	v_add_nc_u32_e32 v6, -1, v9
	v_and_b32_e32 v0, 15, v9
	v_cmp_eq_u32_e64 s0, 3, v10
	v_cmp_eq_u32_e64 s1, 2, v10
	;; [unrolled: 1-line block ×3, first 2 shown]
	v_cmp_gt_i32_e32 vcc_lo, 0, v6
	v_lshrrev_b32_e32 v19, 5, v5
	v_and_b32_e32 v5, 16, v9
	v_cmp_eq_u32_e64 s3, 0, v0
	v_cmp_lt_u32_e64 s4, 1, v0
	v_cmp_lt_u32_e64 s5, 3, v0
	v_or_b32_e32 v10, 31, v8
	v_cmp_lt_u32_e64 s6, 7, v0
	v_cmp_eq_u32_e64 s7, 0, v5
	v_cndmask_b32_e32 v0, v6, v9, vcc_lo
	v_lshrrev_b32_e32 v5, 3, v8
	v_cmp_eq_u32_e64 s8, v10, v8
	s_delay_alu instid0(VALU_DEP_3) | instskip(SKIP_1) | instid1(VALU_DEP_4)
	v_lshlrev_b32_e32 v20, 2, v0
	v_and_b32_e32 v0, 7, v9
	v_and_b32_e32 v21, 28, v5
	v_and_or_b32 v5, 0x380, v7, v9
	v_dual_mov_b32 v9, s22 :: v_dual_lshlrev_b32 v14, 5, v8
	s_delay_alu instid0(VALU_DEP_4)
	v_cmp_eq_u32_e64 s13, 0, v0
	v_cmp_lt_u32_e64 s14, 1, v0
	v_cmp_lt_u32_e64 s15, 3, v0
	v_mul_u32_u24_e32 v0, 12, v8
	v_mad_i32_i24 v22, 0xffffffe4, v8, v14
	v_add_nc_u32_e32 v18, 32, v14
	v_cmp_gt_u32_e64 s9, 8, v8
	v_cmp_lt_u32_e64 s10, 31, v8
	v_cmp_eq_u32_e64 s12, 0, v8
	v_add_nc_u32_e32 v23, -4, v21
	v_lshlrev_b32_e32 v24, 2, v5
	v_mov_b32_e32 v10, s23
	v_or_b32_e32 v15, 32, v13
	v_or_b32_e32 v16, 64, v13
	;; [unrolled: 1-line block ×3, first 2 shown]
	v_add_nc_u32_e32 v25, v22, v0
	s_branch .LBB28_2
.LBB28_1:                               ;   in Loop: Header=BB28_2 Depth=1
	v_lshlrev_b32_e32 v0, 2, v7
	v_lshlrev_b32_e32 v1, 2, v6
	;; [unrolled: 1-line block ×4, first 2 shown]
	s_barrier
	buffer_gl0_inv
	ds_store_b32 v0, v26
	ds_store_b32 v1, v29
	;; [unrolled: 1-line block ×4, first 2 shown]
	s_waitcnt lgkmcnt(0)
	s_barrier
	buffer_gl0_inv
	ds_load_2addr_b64 v[2:5], v25 offset1:1
	s_add_i32 s23, s23, 1
	s_delay_alu instid0(SALU_CYCLE_1)
	s_cmp_eq_u32 s23, 10
	s_waitcnt lgkmcnt(0)
	v_xor_b32_e32 v2, 0x80000000, v2
	v_xor_b32_e32 v3, 0x80000000, v3
	;; [unrolled: 1-line block ×4, first 2 shown]
	s_cbranch_scc1 .LBB28_20
.LBB28_2:                               ; =>This Loop Header: Depth=1
                                        ;     Child Loop BB28_4 Depth 2
	s_waitcnt vmcnt(3)
	v_xor_b32_e32 v0, 0x80000000, v2
	s_waitcnt vmcnt(2)
	v_xor_b32_e32 v2, 0x80000000, v3
	;; [unrolled: 2-line block ×4, first 2 shown]
	s_mov_b32 s17, 0
	ds_bpermute_b32 v4, v13, v0
	ds_bpermute_b32 v5, v13, v2
	;; [unrolled: 1-line block ×16, first 2 shown]
	s_waitcnt lgkmcnt(0)
	s_barrier
	v_cndmask_b32_e64 v1, v4, v5, s2
	v_cndmask_b32_e64 v4, v6, v7, s2
	;; [unrolled: 1-line block ×4, first 2 shown]
	s_delay_alu instid0(VALU_DEP_4) | instskip(NEXT) | instid1(VALU_DEP_4)
	v_cndmask_b32_e64 v1, v1, v28, s1
	v_cndmask_b32_e64 v2, v4, v29, s1
	s_delay_alu instid0(VALU_DEP_4) | instskip(NEXT) | instid1(VALU_DEP_4)
	v_cndmask_b32_e64 v4, v5, v30, s1
	v_cndmask_b32_e64 v3, v0, v3, s1
	;; [unrolled: 3-line block ×4, first 2 shown]
	s_branch .LBB28_4
.LBB28_3:                               ;   in Loop: Header=BB28_4 Depth=2
	v_lshlrev_b32_e32 v0, 2, v7
	v_lshlrev_b32_e32 v1, 2, v6
	;; [unrolled: 1-line block ×4, first 2 shown]
	s_barrier
	buffer_gl0_inv
	ds_store_b32 v0, v26
	ds_store_b32 v1, v29
	;; [unrolled: 1-line block ×4, first 2 shown]
	s_waitcnt lgkmcnt(0)
	s_barrier
	buffer_gl0_inv
	ds_load_2addr_b32 v[0:1], v24 offset1:32
	ds_load_2addr_b32 v[2:3], v24 offset0:64 offset1:96
	s_add_i32 s17, s17, 8
	s_waitcnt lgkmcnt(0)
	s_barrier
	s_cbranch_execz .LBB28_1
.LBB28_4:                               ;   Parent Loop BB28_2 Depth=1
                                        ; =>  This Inner Loop Header: Depth=2
	v_mov_b32_e32 v26, v0
	buffer_gl0_inv
	ds_store_2addr_b64 v14, v[9:10], v[11:12] offset0:4 offset1:5
	ds_store_2addr_b64 v18, v[9:10], v[11:12] offset0:2 offset1:3
	s_waitcnt lgkmcnt(0)
	s_barrier
	v_lshrrev_b32_e32 v4, s17, v26
	buffer_gl0_inv
	; wave barrier
	v_lshlrev_b32_e32 v7, 29, v4
	v_bfe_u32 v0, v26, s17, 1
	v_lshlrev_b32_e32 v6, 30, v4
	v_lshlrev_b32_e32 v27, 28, v4
	v_lshlrev_b32_e32 v28, 27, v4
	v_lshlrev_b32_e32 v29, 26, v4
	v_add_co_u32 v0, s16, v0, -1
	s_delay_alu instid0(VALU_DEP_1) | instskip(SKIP_3) | instid1(VALU_DEP_4)
	v_cndmask_b32_e64 v5, 0, 1, s16
	v_cmp_gt_i32_e64 s16, 0, v6
	v_lshlrev_b32_e32 v30, 25, v4
	v_lshlrev_b32_e32 v4, 24, v4
	v_cmp_ne_u32_e32 vcc_lo, 0, v5
	v_not_b32_e32 v5, v6
	v_not_b32_e32 v6, v7
	v_xor_b32_e32 v0, vcc_lo, v0
	s_delay_alu instid0(VALU_DEP_3)
	v_ashrrev_i32_e32 v5, 31, v5
	v_cmp_gt_i32_e32 vcc_lo, 0, v7
	v_not_b32_e32 v7, v27
	v_ashrrev_i32_e32 v6, 31, v6
	v_and_b32_e32 v0, exec_lo, v0
	v_xor_b32_e32 v5, s16, v5
	v_cmp_gt_i32_e64 s16, 0, v27
	v_ashrrev_i32_e32 v7, 31, v7
	v_xor_b32_e32 v6, vcc_lo, v6
	s_delay_alu instid0(VALU_DEP_4) | instskip(SKIP_1) | instid1(VALU_DEP_4)
	v_and_b32_e32 v0, v0, v5
	v_not_b32_e32 v5, v29
	v_xor_b32_e32 v7, s16, v7
	v_cmp_gt_i32_e64 s16, 0, v29
	v_mov_b32_e32 v29, v1
	v_not_b32_e32 v27, v28
	v_cmp_gt_i32_e32 vcc_lo, 0, v28
	v_and_b32_e32 v0, v0, v6
	v_not_b32_e32 v6, v30
	v_ashrrev_i32_e32 v5, 31, v5
	v_ashrrev_i32_e32 v27, 31, v27
	v_bfe_u32 v1, v26, s17, 8
	v_and_b32_e32 v0, v0, v7
	v_not_b32_e32 v7, v4
	v_ashrrev_i32_e32 v6, 31, v6
	v_xor_b32_e32 v27, vcc_lo, v27
	v_cmp_gt_i32_e32 vcc_lo, 0, v30
	v_xor_b32_e32 v5, s16, v5
	v_cmp_gt_i32_e64 s16, 0, v4
	v_ashrrev_i32_e32 v4, 31, v7
	v_and_b32_e32 v0, v0, v27
	v_xor_b32_e32 v6, vcc_lo, v6
	v_lshl_add_u32 v1, v1, 3, v19
	v_mov_b32_e32 v27, v3
	v_xor_b32_e32 v4, s16, v4
	v_and_b32_e32 v0, v0, v5
	v_mov_b32_e32 v28, v2
	v_lshl_add_u32 v31, v1, 2, 32
	s_delay_alu instid0(VALU_DEP_3) | instskip(NEXT) | instid1(VALU_DEP_1)
	v_and_b32_e32 v0, v0, v6
	v_and_b32_e32 v0, v0, v4
	s_delay_alu instid0(VALU_DEP_1) | instskip(SKIP_1) | instid1(VALU_DEP_2)
	v_mbcnt_lo_u32_b32 v30, v0, 0
	v_cmp_ne_u32_e64 s16, 0, v0
	v_cmp_eq_u32_e32 vcc_lo, 0, v30
	s_delay_alu instid0(VALU_DEP_2) | instskip(NEXT) | instid1(SALU_CYCLE_1)
	s_and_b32 s22, s16, vcc_lo
	s_and_saveexec_b32 s16, s22
	s_cbranch_execz .LBB28_6
; %bb.5:                                ;   in Loop: Header=BB28_4 Depth=2
	v_bcnt_u32_b32 v0, v0, 0
	ds_store_b32 v31, v0
.LBB28_6:                               ;   in Loop: Header=BB28_4 Depth=2
	s_or_b32 exec_lo, exec_lo, s16
	v_bfe_u32 v0, v29, s17, 1
	v_lshrrev_b32_e32 v1, s17, v29
	; wave barrier
	s_delay_alu instid0(VALU_DEP_2) | instskip(NEXT) | instid1(VALU_DEP_1)
	v_add_co_u32 v0, s16, v0, -1
	v_cndmask_b32_e64 v2, 0, 1, s16
	s_delay_alu instid0(VALU_DEP_3)
	v_lshlrev_b32_e32 v3, 30, v1
	v_lshlrev_b32_e32 v4, 29, v1
	;; [unrolled: 1-line block ×4, first 2 shown]
	v_cmp_ne_u32_e32 vcc_lo, 0, v2
	v_not_b32_e32 v2, v3
	v_cmp_gt_i32_e64 s16, 0, v3
	v_not_b32_e32 v3, v4
	v_lshlrev_b32_e32 v7, 26, v1
	v_xor_b32_e32 v0, vcc_lo, v0
	v_ashrrev_i32_e32 v2, 31, v2
	v_cmp_gt_i32_e32 vcc_lo, 0, v4
	v_not_b32_e32 v4, v5
	v_ashrrev_i32_e32 v3, 31, v3
	v_and_b32_e32 v0, exec_lo, v0
	v_xor_b32_e32 v2, s16, v2
	v_cmp_gt_i32_e64 s16, 0, v5
	v_not_b32_e32 v5, v6
	v_ashrrev_i32_e32 v4, 31, v4
	v_xor_b32_e32 v3, vcc_lo, v3
	v_and_b32_e32 v0, v0, v2
	v_cmp_gt_i32_e32 vcc_lo, 0, v6
	v_not_b32_e32 v2, v7
	v_ashrrev_i32_e32 v5, 31, v5
	v_xor_b32_e32 v4, s16, v4
	v_and_b32_e32 v0, v0, v3
	v_lshlrev_b32_e32 v3, 25, v1
	v_cmp_gt_i32_e64 s16, 0, v7
	v_ashrrev_i32_e32 v2, 31, v2
	v_xor_b32_e32 v5, vcc_lo, v5
	v_and_b32_e32 v0, v0, v4
	v_not_b32_e32 v6, v3
	v_lshlrev_b32_e32 v1, 24, v1
	v_bfe_u32 v4, v29, s17, 8
	v_xor_b32_e32 v2, s16, v2
	v_and_b32_e32 v0, v0, v5
	v_cmp_gt_i32_e32 vcc_lo, 0, v3
	v_ashrrev_i32_e32 v3, 31, v6
	v_not_b32_e32 v5, v1
	v_lshlrev_b32_e32 v4, 3, v4
	v_and_b32_e32 v0, v0, v2
	s_delay_alu instid0(VALU_DEP_4) | instskip(SKIP_3) | instid1(VALU_DEP_4)
	v_xor_b32_e32 v2, vcc_lo, v3
	v_cmp_gt_i32_e32 vcc_lo, 0, v1
	v_ashrrev_i32_e32 v1, 31, v5
	v_add_lshl_u32 v3, v4, v19, 2
	v_and_b32_e32 v0, v0, v2
	s_delay_alu instid0(VALU_DEP_3) | instskip(SKIP_3) | instid1(VALU_DEP_1)
	v_xor_b32_e32 v1, vcc_lo, v1
	ds_load_b32 v32, v3 offset:32
	v_add_nc_u32_e32 v34, 32, v3
	; wave barrier
	v_and_b32_e32 v0, v0, v1
	v_mbcnt_lo_u32_b32 v33, v0, 0
	v_cmp_ne_u32_e64 s16, 0, v0
	s_delay_alu instid0(VALU_DEP_2) | instskip(NEXT) | instid1(VALU_DEP_2)
	v_cmp_eq_u32_e32 vcc_lo, 0, v33
	s_and_b32 s22, s16, vcc_lo
	s_delay_alu instid0(SALU_CYCLE_1)
	s_and_saveexec_b32 s16, s22
	s_cbranch_execz .LBB28_8
; %bb.7:                                ;   in Loop: Header=BB28_4 Depth=2
	s_waitcnt lgkmcnt(0)
	v_bcnt_u32_b32 v0, v0, v32
	ds_store_b32 v34, v0
.LBB28_8:                               ;   in Loop: Header=BB28_4 Depth=2
	s_or_b32 exec_lo, exec_lo, s16
	v_bfe_u32 v0, v28, s17, 1
	v_lshrrev_b32_e32 v1, s17, v28
	; wave barrier
	s_delay_alu instid0(VALU_DEP_2) | instskip(NEXT) | instid1(VALU_DEP_1)
	v_add_co_u32 v0, s16, v0, -1
	v_cndmask_b32_e64 v2, 0, 1, s16
	s_delay_alu instid0(VALU_DEP_3)
	v_lshlrev_b32_e32 v3, 30, v1
	v_lshlrev_b32_e32 v4, 29, v1
	;; [unrolled: 1-line block ×4, first 2 shown]
	v_cmp_ne_u32_e32 vcc_lo, 0, v2
	v_not_b32_e32 v2, v3
	v_cmp_gt_i32_e64 s16, 0, v3
	v_not_b32_e32 v3, v4
	v_lshlrev_b32_e32 v7, 26, v1
	v_xor_b32_e32 v0, vcc_lo, v0
	v_ashrrev_i32_e32 v2, 31, v2
	v_cmp_gt_i32_e32 vcc_lo, 0, v4
	v_not_b32_e32 v4, v5
	v_ashrrev_i32_e32 v3, 31, v3
	v_and_b32_e32 v0, exec_lo, v0
	v_xor_b32_e32 v2, s16, v2
	v_cmp_gt_i32_e64 s16, 0, v5
	v_not_b32_e32 v5, v6
	v_ashrrev_i32_e32 v4, 31, v4
	v_xor_b32_e32 v3, vcc_lo, v3
	v_and_b32_e32 v0, v0, v2
	v_cmp_gt_i32_e32 vcc_lo, 0, v6
	v_not_b32_e32 v2, v7
	v_ashrrev_i32_e32 v5, 31, v5
	v_xor_b32_e32 v4, s16, v4
	v_and_b32_e32 v0, v0, v3
	v_lshlrev_b32_e32 v3, 25, v1
	v_cmp_gt_i32_e64 s16, 0, v7
	v_ashrrev_i32_e32 v2, 31, v2
	v_xor_b32_e32 v5, vcc_lo, v5
	v_and_b32_e32 v0, v0, v4
	v_not_b32_e32 v6, v3
	v_lshlrev_b32_e32 v1, 24, v1
	v_bfe_u32 v4, v28, s17, 8
	v_xor_b32_e32 v2, s16, v2
	v_and_b32_e32 v0, v0, v5
	v_cmp_gt_i32_e32 vcc_lo, 0, v3
	v_ashrrev_i32_e32 v3, 31, v6
	v_not_b32_e32 v5, v1
	v_lshlrev_b32_e32 v4, 3, v4
	v_and_b32_e32 v0, v0, v2
	s_delay_alu instid0(VALU_DEP_4) | instskip(SKIP_3) | instid1(VALU_DEP_4)
	v_xor_b32_e32 v2, vcc_lo, v3
	v_cmp_gt_i32_e32 vcc_lo, 0, v1
	v_ashrrev_i32_e32 v1, 31, v5
	v_add_lshl_u32 v3, v4, v19, 2
	v_and_b32_e32 v0, v0, v2
	s_delay_alu instid0(VALU_DEP_3) | instskip(SKIP_3) | instid1(VALU_DEP_1)
	v_xor_b32_e32 v1, vcc_lo, v1
	ds_load_b32 v35, v3 offset:32
	v_add_nc_u32_e32 v37, 32, v3
	; wave barrier
	v_and_b32_e32 v0, v0, v1
	v_mbcnt_lo_u32_b32 v36, v0, 0
	v_cmp_ne_u32_e64 s16, 0, v0
	s_delay_alu instid0(VALU_DEP_2) | instskip(NEXT) | instid1(VALU_DEP_2)
	v_cmp_eq_u32_e32 vcc_lo, 0, v36
	s_and_b32 s22, s16, vcc_lo
	s_delay_alu instid0(SALU_CYCLE_1)
	s_and_saveexec_b32 s16, s22
	s_cbranch_execz .LBB28_10
; %bb.9:                                ;   in Loop: Header=BB28_4 Depth=2
	s_waitcnt lgkmcnt(0)
	v_bcnt_u32_b32 v0, v0, v35
	ds_store_b32 v37, v0
.LBB28_10:                              ;   in Loop: Header=BB28_4 Depth=2
	s_or_b32 exec_lo, exec_lo, s16
	v_bfe_u32 v0, v27, s17, 1
	v_lshrrev_b32_e32 v1, s17, v27
	; wave barrier
	s_delay_alu instid0(VALU_DEP_2) | instskip(NEXT) | instid1(VALU_DEP_1)
	v_add_co_u32 v0, s16, v0, -1
	v_cndmask_b32_e64 v2, 0, 1, s16
	s_delay_alu instid0(VALU_DEP_3)
	v_lshlrev_b32_e32 v3, 30, v1
	v_lshlrev_b32_e32 v4, 29, v1
	;; [unrolled: 1-line block ×4, first 2 shown]
	v_cmp_ne_u32_e32 vcc_lo, 0, v2
	v_not_b32_e32 v2, v3
	v_cmp_gt_i32_e64 s16, 0, v3
	v_not_b32_e32 v3, v4
	v_lshlrev_b32_e32 v7, 26, v1
	v_xor_b32_e32 v0, vcc_lo, v0
	v_ashrrev_i32_e32 v2, 31, v2
	v_cmp_gt_i32_e32 vcc_lo, 0, v4
	v_not_b32_e32 v4, v5
	v_ashrrev_i32_e32 v3, 31, v3
	v_and_b32_e32 v0, exec_lo, v0
	v_xor_b32_e32 v2, s16, v2
	v_cmp_gt_i32_e64 s16, 0, v5
	v_not_b32_e32 v5, v6
	v_ashrrev_i32_e32 v4, 31, v4
	v_xor_b32_e32 v3, vcc_lo, v3
	v_and_b32_e32 v0, v0, v2
	v_cmp_gt_i32_e32 vcc_lo, 0, v6
	v_not_b32_e32 v2, v7
	v_ashrrev_i32_e32 v5, 31, v5
	v_xor_b32_e32 v4, s16, v4
	v_and_b32_e32 v0, v0, v3
	v_lshlrev_b32_e32 v3, 25, v1
	v_cmp_gt_i32_e64 s16, 0, v7
	v_ashrrev_i32_e32 v2, 31, v2
	v_xor_b32_e32 v5, vcc_lo, v5
	v_and_b32_e32 v0, v0, v4
	v_not_b32_e32 v6, v3
	v_lshlrev_b32_e32 v1, 24, v1
	v_bfe_u32 v4, v27, s17, 8
	v_xor_b32_e32 v2, s16, v2
	v_and_b32_e32 v0, v0, v5
	v_cmp_gt_i32_e32 vcc_lo, 0, v3
	v_ashrrev_i32_e32 v3, 31, v6
	v_not_b32_e32 v5, v1
	v_lshlrev_b32_e32 v4, 3, v4
	v_and_b32_e32 v0, v0, v2
	s_delay_alu instid0(VALU_DEP_4) | instskip(SKIP_3) | instid1(VALU_DEP_4)
	v_xor_b32_e32 v2, vcc_lo, v3
	v_cmp_gt_i32_e32 vcc_lo, 0, v1
	v_ashrrev_i32_e32 v1, 31, v5
	v_add_lshl_u32 v3, v4, v19, 2
	v_and_b32_e32 v0, v0, v2
	s_delay_alu instid0(VALU_DEP_3) | instskip(SKIP_3) | instid1(VALU_DEP_1)
	v_xor_b32_e32 v1, vcc_lo, v1
	ds_load_b32 v38, v3 offset:32
	v_add_nc_u32_e32 v40, 32, v3
	; wave barrier
	v_and_b32_e32 v0, v0, v1
	v_mbcnt_lo_u32_b32 v39, v0, 0
	v_cmp_ne_u32_e64 s16, 0, v0
	s_delay_alu instid0(VALU_DEP_2) | instskip(NEXT) | instid1(VALU_DEP_2)
	v_cmp_eq_u32_e32 vcc_lo, 0, v39
	s_and_b32 s22, s16, vcc_lo
	s_delay_alu instid0(SALU_CYCLE_1)
	s_and_saveexec_b32 s16, s22
	s_cbranch_execz .LBB28_12
; %bb.11:                               ;   in Loop: Header=BB28_4 Depth=2
	s_waitcnt lgkmcnt(0)
	v_bcnt_u32_b32 v0, v0, v38
	ds_store_b32 v40, v0
.LBB28_12:                              ;   in Loop: Header=BB28_4 Depth=2
	s_or_b32 exec_lo, exec_lo, s16
	; wave barrier
	s_waitcnt lgkmcnt(0)
	s_barrier
	buffer_gl0_inv
	ds_load_2addr_b64 v[4:7], v14 offset0:4 offset1:5
	ds_load_2addr_b64 v[0:3], v18 offset0:2 offset1:3
	s_waitcnt lgkmcnt(1)
	v_add_nc_u32_e32 v41, v5, v4
	s_delay_alu instid0(VALU_DEP_1) | instskip(SKIP_1) | instid1(VALU_DEP_1)
	v_add3_u32 v41, v41, v6, v7
	s_waitcnt lgkmcnt(0)
	v_add3_u32 v41, v41, v0, v1
	s_delay_alu instid0(VALU_DEP_1) | instskip(NEXT) | instid1(VALU_DEP_1)
	v_add3_u32 v3, v41, v2, v3
	v_mov_b32_dpp v41, v3 row_shr:1 row_mask:0xf bank_mask:0xf
	s_delay_alu instid0(VALU_DEP_1) | instskip(NEXT) | instid1(VALU_DEP_1)
	v_cndmask_b32_e64 v41, v41, 0, s3
	v_add_nc_u32_e32 v3, v41, v3
	s_delay_alu instid0(VALU_DEP_1) | instskip(NEXT) | instid1(VALU_DEP_1)
	v_mov_b32_dpp v41, v3 row_shr:2 row_mask:0xf bank_mask:0xf
	v_cndmask_b32_e64 v41, 0, v41, s4
	s_delay_alu instid0(VALU_DEP_1) | instskip(NEXT) | instid1(VALU_DEP_1)
	v_add_nc_u32_e32 v3, v3, v41
	v_mov_b32_dpp v41, v3 row_shr:4 row_mask:0xf bank_mask:0xf
	s_delay_alu instid0(VALU_DEP_1) | instskip(NEXT) | instid1(VALU_DEP_1)
	v_cndmask_b32_e64 v41, 0, v41, s5
	v_add_nc_u32_e32 v3, v3, v41
	s_delay_alu instid0(VALU_DEP_1) | instskip(NEXT) | instid1(VALU_DEP_1)
	v_mov_b32_dpp v41, v3 row_shr:8 row_mask:0xf bank_mask:0xf
	v_cndmask_b32_e64 v41, 0, v41, s6
	s_delay_alu instid0(VALU_DEP_1) | instskip(SKIP_3) | instid1(VALU_DEP_1)
	v_add_nc_u32_e32 v3, v3, v41
	ds_swizzle_b32 v41, v3 offset:swizzle(BROADCAST,32,15)
	s_waitcnt lgkmcnt(0)
	v_cndmask_b32_e64 v41, v41, 0, s7
	v_add_nc_u32_e32 v3, v3, v41
	s_and_saveexec_b32 s16, s8
	s_cbranch_execz .LBB28_14
; %bb.13:                               ;   in Loop: Header=BB28_4 Depth=2
	ds_store_b32 v21, v3
.LBB28_14:                              ;   in Loop: Header=BB28_4 Depth=2
	s_or_b32 exec_lo, exec_lo, s16
	s_waitcnt lgkmcnt(0)
	s_barrier
	buffer_gl0_inv
	s_and_saveexec_b32 s16, s9
	s_cbranch_execz .LBB28_16
; %bb.15:                               ;   in Loop: Header=BB28_4 Depth=2
	ds_load_b32 v41, v22
	s_waitcnt lgkmcnt(0)
	v_mov_b32_dpp v42, v41 row_shr:1 row_mask:0xf bank_mask:0xf
	s_delay_alu instid0(VALU_DEP_1) | instskip(NEXT) | instid1(VALU_DEP_1)
	v_cndmask_b32_e64 v42, v42, 0, s13
	v_add_nc_u32_e32 v41, v42, v41
	s_delay_alu instid0(VALU_DEP_1) | instskip(NEXT) | instid1(VALU_DEP_1)
	v_mov_b32_dpp v42, v41 row_shr:2 row_mask:0xf bank_mask:0xf
	v_cndmask_b32_e64 v42, 0, v42, s14
	s_delay_alu instid0(VALU_DEP_1) | instskip(NEXT) | instid1(VALU_DEP_1)
	v_add_nc_u32_e32 v41, v41, v42
	v_mov_b32_dpp v42, v41 row_shr:4 row_mask:0xf bank_mask:0xf
	s_delay_alu instid0(VALU_DEP_1) | instskip(NEXT) | instid1(VALU_DEP_1)
	v_cndmask_b32_e64 v42, 0, v42, s15
	v_add_nc_u32_e32 v41, v41, v42
	ds_store_b32 v22, v41
.LBB28_16:                              ;   in Loop: Header=BB28_4 Depth=2
	s_or_b32 exec_lo, exec_lo, s16
	v_mov_b32_e32 v41, 0
	s_waitcnt lgkmcnt(0)
	s_barrier
	buffer_gl0_inv
	s_and_saveexec_b32 s16, s10
	s_cbranch_execz .LBB28_18
; %bb.17:                               ;   in Loop: Header=BB28_4 Depth=2
	ds_load_b32 v41, v23
.LBB28_18:                              ;   in Loop: Header=BB28_4 Depth=2
	s_or_b32 exec_lo, exec_lo, s16
	s_waitcnt lgkmcnt(0)
	v_add_nc_u32_e32 v3, v41, v3
	s_cmp_gt_u32 s17, 23
	ds_bpermute_b32 v3, v20, v3
	s_waitcnt lgkmcnt(0)
	v_cndmask_b32_e64 v3, v3, v41, s11
	s_delay_alu instid0(VALU_DEP_1) | instskip(NEXT) | instid1(VALU_DEP_1)
	v_cndmask_b32_e64 v3, v3, 0, s12
	v_add_nc_u32_e32 v4, v3, v4
	s_delay_alu instid0(VALU_DEP_1) | instskip(NEXT) | instid1(VALU_DEP_1)
	v_add_nc_u32_e32 v5, v4, v5
	v_add_nc_u32_e32 v6, v5, v6
	s_delay_alu instid0(VALU_DEP_1) | instskip(NEXT) | instid1(VALU_DEP_1)
	v_add_nc_u32_e32 v41, v6, v7
	;; [unrolled: 3-line block ×3, first 2 shown]
	v_add_nc_u32_e32 v1, v0, v2
	ds_store_2addr_b64 v14, v[3:4], v[5:6] offset0:4 offset1:5
	ds_store_2addr_b64 v18, v[41:42], v[0:1] offset0:2 offset1:3
	s_waitcnt lgkmcnt(0)
	s_barrier
	buffer_gl0_inv
	ds_load_b32 v0, v31
	ds_load_b32 v1, v34
	;; [unrolled: 1-line block ×4, first 2 shown]
	s_waitcnt lgkmcnt(3)
	v_add_nc_u32_e32 v7, v0, v30
	s_waitcnt lgkmcnt(2)
	v_add3_u32 v6, v33, v32, v1
	s_waitcnt lgkmcnt(1)
	v_add3_u32 v5, v36, v35, v2
	;; [unrolled: 2-line block ×3, first 2 shown]
	s_cbranch_scc0 .LBB28_3
; %bb.19:                               ;   in Loop: Header=BB28_2 Depth=1
                                        ; implicit-def: $vgpr3
                                        ; implicit-def: $vgpr1
                                        ; implicit-def: $sgpr17
	s_branch .LBB28_1
.LBB28_20:
	v_lshlrev_b32_e32 v0, 2, v8
	s_add_u32 s0, s18, s20
	s_addc_u32 s1, s19, s21
	s_clause 0x3
	global_store_b32 v0, v2, s[0:1]
	global_store_b32 v0, v3, s[0:1] offset:1024
	global_store_b32 v0, v4, s[0:1] offset:2048
	;; [unrolled: 1-line block ×3, first 2 shown]
	s_nop 0
	s_sendmsg sendmsg(MSG_DEALLOC_VGPRS)
	s_endpgm
	.section	.rodata,"a",@progbits
	.p2align	6, 0x0
	.amdhsa_kernel _Z16sort_keys_kernelI22helper_blocked_blockediLj256ELj4ELj10EEvPKT0_PS1_
		.amdhsa_group_segment_fixed_size 8224
		.amdhsa_private_segment_fixed_size 0
		.amdhsa_kernarg_size 272
		.amdhsa_user_sgpr_count 15
		.amdhsa_user_sgpr_dispatch_ptr 0
		.amdhsa_user_sgpr_queue_ptr 0
		.amdhsa_user_sgpr_kernarg_segment_ptr 1
		.amdhsa_user_sgpr_dispatch_id 0
		.amdhsa_user_sgpr_private_segment_size 0
		.amdhsa_wavefront_size32 1
		.amdhsa_uses_dynamic_stack 0
		.amdhsa_enable_private_segment 0
		.amdhsa_system_sgpr_workgroup_id_x 1
		.amdhsa_system_sgpr_workgroup_id_y 0
		.amdhsa_system_sgpr_workgroup_id_z 0
		.amdhsa_system_sgpr_workgroup_info 0
		.amdhsa_system_vgpr_workitem_id 2
		.amdhsa_next_free_vgpr 43
		.amdhsa_next_free_sgpr 24
		.amdhsa_reserve_vcc 1
		.amdhsa_float_round_mode_32 0
		.amdhsa_float_round_mode_16_64 0
		.amdhsa_float_denorm_mode_32 3
		.amdhsa_float_denorm_mode_16_64 3
		.amdhsa_dx10_clamp 1
		.amdhsa_ieee_mode 1
		.amdhsa_fp16_overflow 0
		.amdhsa_workgroup_processor_mode 1
		.amdhsa_memory_ordered 1
		.amdhsa_forward_progress 0
		.amdhsa_shared_vgpr_count 0
		.amdhsa_exception_fp_ieee_invalid_op 0
		.amdhsa_exception_fp_denorm_src 0
		.amdhsa_exception_fp_ieee_div_zero 0
		.amdhsa_exception_fp_ieee_overflow 0
		.amdhsa_exception_fp_ieee_underflow 0
		.amdhsa_exception_fp_ieee_inexact 0
		.amdhsa_exception_int_div_zero 0
	.end_amdhsa_kernel
	.section	.text._Z16sort_keys_kernelI22helper_blocked_blockediLj256ELj4ELj10EEvPKT0_PS1_,"axG",@progbits,_Z16sort_keys_kernelI22helper_blocked_blockediLj256ELj4ELj10EEvPKT0_PS1_,comdat
.Lfunc_end28:
	.size	_Z16sort_keys_kernelI22helper_blocked_blockediLj256ELj4ELj10EEvPKT0_PS1_, .Lfunc_end28-_Z16sort_keys_kernelI22helper_blocked_blockediLj256ELj4ELj10EEvPKT0_PS1_
                                        ; -- End function
	.section	.AMDGPU.csdata,"",@progbits
; Kernel info:
; codeLenInByte = 3004
; NumSgprs: 26
; NumVgprs: 43
; ScratchSize: 0
; MemoryBound: 0
; FloatMode: 240
; IeeeMode: 1
; LDSByteSize: 8224 bytes/workgroup (compile time only)
; SGPRBlocks: 3
; VGPRBlocks: 5
; NumSGPRsForWavesPerEU: 26
; NumVGPRsForWavesPerEU: 43
; Occupancy: 16
; WaveLimiterHint : 1
; COMPUTE_PGM_RSRC2:SCRATCH_EN: 0
; COMPUTE_PGM_RSRC2:USER_SGPR: 15
; COMPUTE_PGM_RSRC2:TRAP_HANDLER: 0
; COMPUTE_PGM_RSRC2:TGID_X_EN: 1
; COMPUTE_PGM_RSRC2:TGID_Y_EN: 0
; COMPUTE_PGM_RSRC2:TGID_Z_EN: 0
; COMPUTE_PGM_RSRC2:TIDIG_COMP_CNT: 2
	.section	.text._Z17sort_pairs_kernelI22helper_blocked_blockediLj256ELj4ELj10EEvPKT0_PS1_,"axG",@progbits,_Z17sort_pairs_kernelI22helper_blocked_blockediLj256ELj4ELj10EEvPKT0_PS1_,comdat
	.protected	_Z17sort_pairs_kernelI22helper_blocked_blockediLj256ELj4ELj10EEvPKT0_PS1_ ; -- Begin function _Z17sort_pairs_kernelI22helper_blocked_blockediLj256ELj4ELj10EEvPKT0_PS1_
	.globl	_Z17sort_pairs_kernelI22helper_blocked_blockediLj256ELj4ELj10EEvPKT0_PS1_
	.p2align	8
	.type	_Z17sort_pairs_kernelI22helper_blocked_blockediLj256ELj4ELj10EEvPKT0_PS1_,@function
_Z17sort_pairs_kernelI22helper_blocked_blockediLj256ELj4ELj10EEvPKT0_PS1_: ; @_Z17sort_pairs_kernelI22helper_blocked_blockediLj256ELj4ELj10EEvPKT0_PS1_
; %bb.0:
	s_load_b128 s[16:19], s[0:1], 0x0
	v_and_b32_e32 v8, 0x3ff, v0
	s_mov_b32 s23, 0
	s_lshl_b32 s22, s15, 10
	s_load_b32 s15, s[0:1], 0x1c
	s_lshl_b64 s[20:21], s[22:23], 2
	s_mov_b32 s22, s23
	s_delay_alu instid0(SALU_CYCLE_1) | instskip(SKIP_3) | instid1(VALU_DEP_3)
	v_dual_mov_b32 v11, s22 :: v_dual_lshlrev_b32 v2, 2, v8
	v_mbcnt_lo_u32_b32 v3, -1, 0
	v_bfe_u32 v18, v0, 10, 10
	v_bfe_u32 v0, v0, 20, 10
	v_dual_mov_b32 v12, s23 :: v_dual_add_nc_u32 v21, -1, v3
	v_and_b32_e32 v22, 7, v3
	v_and_b32_e32 v19, 15, v3
	;; [unrolled: 1-line block ×4, first 2 shown]
	v_cmp_gt_i32_e32 vcc_lo, 0, v21
	s_waitcnt lgkmcnt(0)
	s_add_u32 s0, s16, s20
	s_addc_u32 s1, s17, s21
	v_cmp_eq_u32_e64 s12, 0, v22
	s_clause 0x3
	global_load_b32 v5, v2, s[0:1]
	global_load_b32 v6, v2, s[0:1] offset:1024
	global_load_b32 v7, v2, s[0:1] offset:2048
	;; [unrolled: 1-line block ×3, first 2 shown]
	s_mov_b32 s1, s23
	s_mov_b32 s0, s23
	s_lshr_b32 s16, s15, 16
	v_dual_mov_b32 v10, s1 :: v_dual_and_b32 v1, 3, v3
	v_mov_b32_e32 v9, s0
	v_cmp_lt_u32_e64 s13, 1, v22
	v_cmp_lt_u32_e64 s14, 3, v22
	v_mad_u32_u24 v22, v0, s16, v18
	v_lshlrev_b32_e32 v17, 5, v8
	v_cmp_eq_u32_e64 s4, 0, v19
	v_cmp_lt_u32_e64 s5, 1, v19
	v_cmp_lt_u32_e64 s6, 3, v19
	;; [unrolled: 1-line block ×3, first 2 shown]
	v_cmp_eq_u32_e64 s8, 0, v20
	v_or_b32_e32 v20, 31, v8
	v_dual_cndmask_b32 v21, v21, v3 :: v_dual_add_nc_u32 v18, 32, v17
	v_lshrrev_b32_e32 v19, 3, v8
	s_and_b32 s15, s15, 0xffff
	v_cmp_eq_u32_e64 s1, 3, v1
	v_cmp_eq_u32_e64 s2, 2, v1
	v_cmp_eq_u32_e64 s3, 1, v1
	v_mad_u64_u32 v[0:1], null, v22, s15, v[8:9]
	v_mul_u32_u24_e32 v25, 12, v8
	v_and_b32_e32 v19, 28, v19
	v_and_or_b32 v1, 0x380, v2, v3
	v_cmp_eq_u32_e64 s15, v20, v8
	v_lshlrev_b32_e32 v20, 2, v21
	v_mad_i32_i24 v21, 0xffffffe4, v8, v17
	v_cmp_eq_u32_e64 s0, 0, v3
	v_or_b32_e32 v14, 32, v13
	v_or_b32_e32 v15, 64, v13
	;; [unrolled: 1-line block ×3, first 2 shown]
	v_cmp_gt_u32_e64 s9, 8, v8
	v_cmp_lt_u32_e64 s10, 31, v8
	v_cmp_eq_u32_e64 s11, 0, v8
	v_add_nc_u32_e32 v22, -4, v19
	v_lshlrev_b32_e32 v23, 2, v1
	v_lshrrev_b32_e32 v24, 5, v0
	v_add_nc_u32_e32 v25, v21, v25
	s_waitcnt vmcnt(3)
	v_add_nc_u32_e32 v0, 1, v5
	s_waitcnt vmcnt(2)
	;; [unrolled: 2-line block ×4, first 2 shown]
	v_add_nc_u32_e32 v3, 1, v4
	s_branch .LBB29_2
.LBB29_1:                               ;   in Loop: Header=BB29_2 Depth=1
	v_lshlrev_b32_e32 v0, 2, v38
	v_lshlrev_b32_e32 v1, 2, v36
	v_lshlrev_b32_e32 v2, 2, v35
	v_lshlrev_b32_e32 v3, 2, v34
	s_barrier
	buffer_gl0_inv
	ds_store_b32 v0, v26
	ds_store_b32 v1, v33
	;; [unrolled: 1-line block ×4, first 2 shown]
	s_waitcnt lgkmcnt(0)
	s_barrier
	buffer_gl0_inv
	ds_load_2addr_b64 v[32:35], v25 offset1:1
	s_waitcnt lgkmcnt(0)
	s_barrier
	buffer_gl0_inv
	ds_store_b32 v0, v31
	ds_store_b32 v1, v29
	ds_store_b32 v2, v28
	ds_store_b32 v3, v27
	s_waitcnt lgkmcnt(0)
	s_barrier
	buffer_gl0_inv
	ds_load_2addr_b64 v[0:3], v25 offset1:1
	s_add_i32 s23, s23, 1
	s_delay_alu instid0(SALU_CYCLE_1)
	s_cmp_eq_u32 s23, 10
	v_xor_b32_e32 v5, 0x80000000, v32
	v_xor_b32_e32 v6, 0x80000000, v33
	;; [unrolled: 1-line block ×4, first 2 shown]
	s_cbranch_scc1 .LBB29_20
.LBB29_2:                               ; =>This Loop Header: Depth=1
                                        ;     Child Loop BB29_4 Depth 2
	v_xor_b32_e32 v5, 0x80000000, v5
	v_xor_b32_e32 v6, 0x80000000, v6
	;; [unrolled: 1-line block ×4, first 2 shown]
	s_waitcnt lgkmcnt(0)
	ds_bpermute_b32 v35, v13, v0
	ds_bpermute_b32 v26, v13, v5
	;; [unrolled: 1-line block ×22, first 2 shown]
	s_waitcnt lgkmcnt(19)
	v_cndmask_b32_e64 v26, v26, v27, s3
	ds_bpermute_b32 v4, v16, v4
	s_waitcnt lgkmcnt(18)
	v_cndmask_b32_e64 v27, v28, v29, s3
	ds_bpermute_b32 v29, v16, v1
	s_waitcnt lgkmcnt(17)
	v_cndmask_b32_e64 v28, v30, v31, s3
	s_waitcnt lgkmcnt(16)
	v_cndmask_b32_e64 v26, v26, v32, s2
	ds_bpermute_b32 v30, v13, v2
	s_waitcnt lgkmcnt(16)
	v_cndmask_b32_e64 v27, v27, v33, s2
	ds_bpermute_b32 v31, v14, v2
	ds_bpermute_b32 v32, v15, v2
	;; [unrolled: 1-line block ×3, first 2 shown]
	s_waitcnt lgkmcnt(18)
	v_cndmask_b32_e64 v28, v28, v34, s2
	ds_bpermute_b32 v34, v13, v3
	ds_bpermute_b32 v44, v14, v3
	ds_bpermute_b32 v45, v15, v3
	ds_bpermute_b32 v46, v16, v3
	s_waitcnt lgkmcnt(15)
	v_cndmask_b32_e64 v0, v26, v0, s1
	s_waitcnt lgkmcnt(14)
	v_cndmask_b32_e64 v1, v27, v42, s1
	;; [unrolled: 2-line block ×3, first 2 shown]
	v_cndmask_b32_e64 v5, v35, v36, s3
	v_cndmask_b32_e64 v6, v37, v38, s3
	v_cndmask_b32_e64 v26, v39, v40, s3
	s_waitcnt lgkmcnt(10)
	v_cndmask_b32_e64 v2, v28, v43, s1
	s_waitcnt lgkmcnt(8)
	v_cndmask_b32_e64 v27, v41, v29, s3
	v_cndmask_b32_e64 v3, v3, v7, s2
	s_mov_b32 s17, 0
	s_waitcnt lgkmcnt(7)
	v_cndmask_b32_e64 v5, v5, v30, s2
	s_waitcnt lgkmcnt(0)
	v_cndmask_b32_e64 v6, v6, v31, s2
	v_cndmask_b32_e64 v7, v26, v32, s2
	;; [unrolled: 1-line block ×8, first 2 shown]
	s_barrier
	s_branch .LBB29_4
.LBB29_3:                               ;   in Loop: Header=BB29_4 Depth=2
	v_lshlrev_b32_e32 v4, 2, v38
	v_lshlrev_b32_e32 v5, 2, v36
	;; [unrolled: 1-line block ×4, first 2 shown]
	s_barrier
	buffer_gl0_inv
	ds_store_b32 v4, v26
	ds_store_b32 v5, v33
	;; [unrolled: 1-line block ×4, first 2 shown]
	s_waitcnt lgkmcnt(0)
	s_barrier
	buffer_gl0_inv
	ds_load_2addr_b32 v[0:1], v23 offset1:32
	ds_load_2addr_b32 v[2:3], v23 offset0:64 offset1:96
	s_waitcnt lgkmcnt(0)
	s_barrier
	buffer_gl0_inv
	ds_store_b32 v4, v31
	ds_store_b32 v5, v29
	;; [unrolled: 1-line block ×4, first 2 shown]
	s_waitcnt lgkmcnt(0)
	s_barrier
	buffer_gl0_inv
	ds_load_2addr_b32 v[4:5], v23 offset1:32
	ds_load_2addr_b32 v[6:7], v23 offset0:64 offset1:96
	s_add_i32 s17, s17, 8
	s_waitcnt lgkmcnt(0)
	s_barrier
	s_cbranch_execz .LBB29_1
.LBB29_4:                               ;   Parent Loop BB29_2 Depth=1
                                        ; =>  This Inner Loop Header: Depth=2
	v_mov_b32_e32 v26, v0
	buffer_gl0_inv
	ds_store_2addr_b64 v17, v[11:12], v[9:10] offset0:4 offset1:5
	ds_store_2addr_b64 v18, v[11:12], v[9:10] offset0:2 offset1:3
	s_waitcnt lgkmcnt(0)
	s_barrier
	v_lshrrev_b32_e32 v27, s17, v26
	buffer_gl0_inv
	; wave barrier
	v_lshlrev_b32_e32 v29, 30, v27
	v_bfe_u32 v0, v26, s17, 1
	v_lshlrev_b32_e32 v30, 29, v27
	v_lshlrev_b32_e32 v31, 28, v27
	v_lshlrev_b32_e32 v33, 26, v27
	v_lshlrev_b32_e32 v32, 27, v27
	v_add_co_u32 v0, s16, v0, -1
	s_delay_alu instid0(VALU_DEP_1) | instskip(SKIP_3) | instid1(VALU_DEP_4)
	v_cndmask_b32_e64 v28, 0, 1, s16
	v_cmp_gt_i32_e64 s16, 0, v29
	v_lshlrev_b32_e32 v34, 25, v27
	v_lshlrev_b32_e32 v27, 24, v27
	v_cmp_ne_u32_e32 vcc_lo, 0, v28
	v_not_b32_e32 v28, v29
	v_not_b32_e32 v29, v30
	v_xor_b32_e32 v0, vcc_lo, v0
	s_delay_alu instid0(VALU_DEP_3)
	v_ashrrev_i32_e32 v28, 31, v28
	v_cmp_gt_i32_e32 vcc_lo, 0, v30
	v_not_b32_e32 v30, v31
	v_ashrrev_i32_e32 v29, 31, v29
	v_and_b32_e32 v0, exec_lo, v0
	v_xor_b32_e32 v28, s16, v28
	v_cmp_gt_i32_e64 s16, 0, v31
	v_ashrrev_i32_e32 v30, 31, v30
	v_xor_b32_e32 v29, vcc_lo, v29
	s_delay_alu instid0(VALU_DEP_4) | instskip(SKIP_1) | instid1(VALU_DEP_4)
	v_and_b32_e32 v0, v0, v28
	v_not_b32_e32 v28, v33
	v_xor_b32_e32 v30, s16, v30
	v_cmp_gt_i32_e64 s16, 0, v33
	s_delay_alu instid0(VALU_DEP_4) | instskip(NEXT) | instid1(VALU_DEP_4)
	v_dual_mov_b32 v33, v1 :: v_dual_and_b32 v0, v0, v29
	v_ashrrev_i32_e32 v28, 31, v28
	v_not_b32_e32 v29, v34
	v_bfe_u32 v1, v26, s17, 8
	s_delay_alu instid0(VALU_DEP_4)
	v_and_b32_e32 v0, v0, v30
	v_not_b32_e32 v30, v27
	v_xor_b32_e32 v28, s16, v28
	v_cmp_gt_i32_e64 s16, 0, v27
	v_ashrrev_i32_e32 v29, 31, v29
	v_lshl_add_u32 v1, v1, 3, v24
	v_ashrrev_i32_e32 v27, 31, v30
	v_mov_b32_e32 v30, v3
	s_delay_alu instid0(VALU_DEP_3) | instskip(NEXT) | instid1(VALU_DEP_3)
	v_lshl_add_u32 v35, v1, 2, 32
	v_xor_b32_e32 v3, s16, v27
	v_mov_b32_e32 v27, v7
	v_not_b32_e32 v31, v32
	v_cmp_gt_i32_e32 vcc_lo, 0, v32
	v_mov_b32_e32 v32, v2
	s_delay_alu instid0(VALU_DEP_3) | instskip(NEXT) | instid1(VALU_DEP_1)
	v_ashrrev_i32_e32 v31, 31, v31
	v_xor_b32_e32 v31, vcc_lo, v31
	v_cmp_gt_i32_e32 vcc_lo, 0, v34
	s_delay_alu instid0(VALU_DEP_2) | instskip(SKIP_2) | instid1(VALU_DEP_3)
	v_and_b32_e32 v0, v0, v31
	v_mov_b32_e32 v31, v4
	v_xor_b32_e32 v29, vcc_lo, v29
	v_and_b32_e32 v0, v0, v28
	v_mov_b32_e32 v28, v6
	s_delay_alu instid0(VALU_DEP_2) | instskip(NEXT) | instid1(VALU_DEP_1)
	v_dual_mov_b32 v29, v5 :: v_dual_and_b32 v0, v0, v29
	v_and_b32_e32 v0, v0, v3
	s_delay_alu instid0(VALU_DEP_1) | instskip(SKIP_1) | instid1(VALU_DEP_2)
	v_mbcnt_lo_u32_b32 v34, v0, 0
	v_cmp_ne_u32_e64 s16, 0, v0
	v_cmp_eq_u32_e32 vcc_lo, 0, v34
	s_delay_alu instid0(VALU_DEP_2) | instskip(NEXT) | instid1(SALU_CYCLE_1)
	s_and_b32 s22, s16, vcc_lo
	s_and_saveexec_b32 s16, s22
	s_cbranch_execz .LBB29_6
; %bb.5:                                ;   in Loop: Header=BB29_4 Depth=2
	v_bcnt_u32_b32 v0, v0, 0
	ds_store_b32 v35, v0
.LBB29_6:                               ;   in Loop: Header=BB29_4 Depth=2
	s_or_b32 exec_lo, exec_lo, s16
	v_bfe_u32 v0, v33, s17, 1
	v_lshrrev_b32_e32 v1, s17, v33
	; wave barrier
	s_delay_alu instid0(VALU_DEP_2) | instskip(NEXT) | instid1(VALU_DEP_1)
	v_add_co_u32 v0, s16, v0, -1
	v_cndmask_b32_e64 v2, 0, 1, s16
	s_delay_alu instid0(VALU_DEP_3)
	v_lshlrev_b32_e32 v3, 30, v1
	v_lshlrev_b32_e32 v4, 29, v1
	v_lshlrev_b32_e32 v5, 28, v1
	v_lshlrev_b32_e32 v6, 27, v1
	v_cmp_ne_u32_e32 vcc_lo, 0, v2
	v_not_b32_e32 v2, v3
	v_cmp_gt_i32_e64 s16, 0, v3
	v_not_b32_e32 v3, v4
	v_lshlrev_b32_e32 v7, 26, v1
	v_xor_b32_e32 v0, vcc_lo, v0
	v_ashrrev_i32_e32 v2, 31, v2
	v_cmp_gt_i32_e32 vcc_lo, 0, v4
	v_not_b32_e32 v4, v5
	v_ashrrev_i32_e32 v3, 31, v3
	v_and_b32_e32 v0, exec_lo, v0
	v_xor_b32_e32 v2, s16, v2
	v_cmp_gt_i32_e64 s16, 0, v5
	v_not_b32_e32 v5, v6
	v_ashrrev_i32_e32 v4, 31, v4
	v_xor_b32_e32 v3, vcc_lo, v3
	v_and_b32_e32 v0, v0, v2
	v_cmp_gt_i32_e32 vcc_lo, 0, v6
	v_not_b32_e32 v2, v7
	v_ashrrev_i32_e32 v5, 31, v5
	v_xor_b32_e32 v4, s16, v4
	v_and_b32_e32 v0, v0, v3
	v_lshlrev_b32_e32 v3, 25, v1
	v_cmp_gt_i32_e64 s16, 0, v7
	v_ashrrev_i32_e32 v2, 31, v2
	v_xor_b32_e32 v5, vcc_lo, v5
	v_and_b32_e32 v0, v0, v4
	v_not_b32_e32 v6, v3
	v_lshlrev_b32_e32 v1, 24, v1
	v_bfe_u32 v4, v33, s17, 8
	v_xor_b32_e32 v2, s16, v2
	v_and_b32_e32 v0, v0, v5
	v_cmp_gt_i32_e32 vcc_lo, 0, v3
	v_ashrrev_i32_e32 v3, 31, v6
	v_not_b32_e32 v5, v1
	v_lshlrev_b32_e32 v4, 3, v4
	v_and_b32_e32 v0, v0, v2
	s_delay_alu instid0(VALU_DEP_4) | instskip(SKIP_3) | instid1(VALU_DEP_4)
	v_xor_b32_e32 v2, vcc_lo, v3
	v_cmp_gt_i32_e32 vcc_lo, 0, v1
	v_ashrrev_i32_e32 v1, 31, v5
	v_add_lshl_u32 v3, v4, v24, 2
	v_and_b32_e32 v0, v0, v2
	s_delay_alu instid0(VALU_DEP_3) | instskip(SKIP_3) | instid1(VALU_DEP_1)
	v_xor_b32_e32 v1, vcc_lo, v1
	ds_load_b32 v36, v3 offset:32
	v_add_nc_u32_e32 v38, 32, v3
	; wave barrier
	v_and_b32_e32 v0, v0, v1
	v_mbcnt_lo_u32_b32 v37, v0, 0
	v_cmp_ne_u32_e64 s16, 0, v0
	s_delay_alu instid0(VALU_DEP_2) | instskip(NEXT) | instid1(VALU_DEP_2)
	v_cmp_eq_u32_e32 vcc_lo, 0, v37
	s_and_b32 s22, s16, vcc_lo
	s_delay_alu instid0(SALU_CYCLE_1)
	s_and_saveexec_b32 s16, s22
	s_cbranch_execz .LBB29_8
; %bb.7:                                ;   in Loop: Header=BB29_4 Depth=2
	s_waitcnt lgkmcnt(0)
	v_bcnt_u32_b32 v0, v0, v36
	ds_store_b32 v38, v0
.LBB29_8:                               ;   in Loop: Header=BB29_4 Depth=2
	s_or_b32 exec_lo, exec_lo, s16
	v_bfe_u32 v0, v32, s17, 1
	v_lshrrev_b32_e32 v1, s17, v32
	; wave barrier
	s_delay_alu instid0(VALU_DEP_2) | instskip(NEXT) | instid1(VALU_DEP_1)
	v_add_co_u32 v0, s16, v0, -1
	v_cndmask_b32_e64 v2, 0, 1, s16
	s_delay_alu instid0(VALU_DEP_3)
	v_lshlrev_b32_e32 v3, 30, v1
	v_lshlrev_b32_e32 v4, 29, v1
	;; [unrolled: 1-line block ×4, first 2 shown]
	v_cmp_ne_u32_e32 vcc_lo, 0, v2
	v_not_b32_e32 v2, v3
	v_cmp_gt_i32_e64 s16, 0, v3
	v_not_b32_e32 v3, v4
	v_lshlrev_b32_e32 v7, 26, v1
	v_xor_b32_e32 v0, vcc_lo, v0
	v_ashrrev_i32_e32 v2, 31, v2
	v_cmp_gt_i32_e32 vcc_lo, 0, v4
	v_not_b32_e32 v4, v5
	v_ashrrev_i32_e32 v3, 31, v3
	v_and_b32_e32 v0, exec_lo, v0
	v_xor_b32_e32 v2, s16, v2
	v_cmp_gt_i32_e64 s16, 0, v5
	v_not_b32_e32 v5, v6
	v_ashrrev_i32_e32 v4, 31, v4
	v_xor_b32_e32 v3, vcc_lo, v3
	v_and_b32_e32 v0, v0, v2
	v_cmp_gt_i32_e32 vcc_lo, 0, v6
	v_not_b32_e32 v2, v7
	v_ashrrev_i32_e32 v5, 31, v5
	v_xor_b32_e32 v4, s16, v4
	v_and_b32_e32 v0, v0, v3
	v_lshlrev_b32_e32 v3, 25, v1
	v_cmp_gt_i32_e64 s16, 0, v7
	v_ashrrev_i32_e32 v2, 31, v2
	v_xor_b32_e32 v5, vcc_lo, v5
	v_and_b32_e32 v0, v0, v4
	v_not_b32_e32 v6, v3
	v_lshlrev_b32_e32 v1, 24, v1
	v_bfe_u32 v4, v32, s17, 8
	v_xor_b32_e32 v2, s16, v2
	v_and_b32_e32 v0, v0, v5
	v_cmp_gt_i32_e32 vcc_lo, 0, v3
	v_ashrrev_i32_e32 v3, 31, v6
	v_not_b32_e32 v5, v1
	v_lshlrev_b32_e32 v4, 3, v4
	v_and_b32_e32 v0, v0, v2
	s_delay_alu instid0(VALU_DEP_4) | instskip(SKIP_3) | instid1(VALU_DEP_4)
	v_xor_b32_e32 v2, vcc_lo, v3
	v_cmp_gt_i32_e32 vcc_lo, 0, v1
	v_ashrrev_i32_e32 v1, 31, v5
	v_add_lshl_u32 v3, v4, v24, 2
	v_and_b32_e32 v0, v0, v2
	s_delay_alu instid0(VALU_DEP_3) | instskip(SKIP_3) | instid1(VALU_DEP_1)
	v_xor_b32_e32 v1, vcc_lo, v1
	ds_load_b32 v39, v3 offset:32
	v_add_nc_u32_e32 v41, 32, v3
	; wave barrier
	v_and_b32_e32 v0, v0, v1
	v_mbcnt_lo_u32_b32 v40, v0, 0
	v_cmp_ne_u32_e64 s16, 0, v0
	s_delay_alu instid0(VALU_DEP_2) | instskip(NEXT) | instid1(VALU_DEP_2)
	v_cmp_eq_u32_e32 vcc_lo, 0, v40
	s_and_b32 s22, s16, vcc_lo
	s_delay_alu instid0(SALU_CYCLE_1)
	s_and_saveexec_b32 s16, s22
	s_cbranch_execz .LBB29_10
; %bb.9:                                ;   in Loop: Header=BB29_4 Depth=2
	s_waitcnt lgkmcnt(0)
	v_bcnt_u32_b32 v0, v0, v39
	ds_store_b32 v41, v0
.LBB29_10:                              ;   in Loop: Header=BB29_4 Depth=2
	s_or_b32 exec_lo, exec_lo, s16
	v_bfe_u32 v0, v30, s17, 1
	v_lshrrev_b32_e32 v1, s17, v30
	; wave barrier
	s_delay_alu instid0(VALU_DEP_2) | instskip(NEXT) | instid1(VALU_DEP_1)
	v_add_co_u32 v0, s16, v0, -1
	v_cndmask_b32_e64 v2, 0, 1, s16
	s_delay_alu instid0(VALU_DEP_3)
	v_lshlrev_b32_e32 v3, 30, v1
	v_lshlrev_b32_e32 v4, 29, v1
	;; [unrolled: 1-line block ×4, first 2 shown]
	v_cmp_ne_u32_e32 vcc_lo, 0, v2
	v_not_b32_e32 v2, v3
	v_cmp_gt_i32_e64 s16, 0, v3
	v_not_b32_e32 v3, v4
	v_lshlrev_b32_e32 v7, 26, v1
	v_xor_b32_e32 v0, vcc_lo, v0
	v_ashrrev_i32_e32 v2, 31, v2
	v_cmp_gt_i32_e32 vcc_lo, 0, v4
	v_not_b32_e32 v4, v5
	v_ashrrev_i32_e32 v3, 31, v3
	v_and_b32_e32 v0, exec_lo, v0
	v_xor_b32_e32 v2, s16, v2
	v_cmp_gt_i32_e64 s16, 0, v5
	v_not_b32_e32 v5, v6
	v_ashrrev_i32_e32 v4, 31, v4
	v_xor_b32_e32 v3, vcc_lo, v3
	v_and_b32_e32 v0, v0, v2
	v_cmp_gt_i32_e32 vcc_lo, 0, v6
	v_not_b32_e32 v2, v7
	v_ashrrev_i32_e32 v5, 31, v5
	v_xor_b32_e32 v4, s16, v4
	v_and_b32_e32 v0, v0, v3
	v_lshlrev_b32_e32 v3, 25, v1
	v_cmp_gt_i32_e64 s16, 0, v7
	v_ashrrev_i32_e32 v2, 31, v2
	v_xor_b32_e32 v5, vcc_lo, v5
	v_and_b32_e32 v0, v0, v4
	v_not_b32_e32 v6, v3
	v_lshlrev_b32_e32 v1, 24, v1
	v_bfe_u32 v4, v30, s17, 8
	v_xor_b32_e32 v2, s16, v2
	v_and_b32_e32 v0, v0, v5
	v_cmp_gt_i32_e32 vcc_lo, 0, v3
	v_ashrrev_i32_e32 v3, 31, v6
	v_not_b32_e32 v5, v1
	v_lshlrev_b32_e32 v4, 3, v4
	v_and_b32_e32 v0, v0, v2
	s_delay_alu instid0(VALU_DEP_4) | instskip(SKIP_3) | instid1(VALU_DEP_4)
	v_xor_b32_e32 v2, vcc_lo, v3
	v_cmp_gt_i32_e32 vcc_lo, 0, v1
	v_ashrrev_i32_e32 v1, 31, v5
	v_add_lshl_u32 v3, v4, v24, 2
	v_and_b32_e32 v0, v0, v2
	s_delay_alu instid0(VALU_DEP_3) | instskip(SKIP_3) | instid1(VALU_DEP_1)
	v_xor_b32_e32 v1, vcc_lo, v1
	ds_load_b32 v42, v3 offset:32
	v_add_nc_u32_e32 v44, 32, v3
	; wave barrier
	v_and_b32_e32 v0, v0, v1
	v_mbcnt_lo_u32_b32 v43, v0, 0
	v_cmp_ne_u32_e64 s16, 0, v0
	s_delay_alu instid0(VALU_DEP_2) | instskip(NEXT) | instid1(VALU_DEP_2)
	v_cmp_eq_u32_e32 vcc_lo, 0, v43
	s_and_b32 s22, s16, vcc_lo
	s_delay_alu instid0(SALU_CYCLE_1)
	s_and_saveexec_b32 s16, s22
	s_cbranch_execz .LBB29_12
; %bb.11:                               ;   in Loop: Header=BB29_4 Depth=2
	s_waitcnt lgkmcnt(0)
	v_bcnt_u32_b32 v0, v0, v42
	ds_store_b32 v44, v0
.LBB29_12:                              ;   in Loop: Header=BB29_4 Depth=2
	s_or_b32 exec_lo, exec_lo, s16
	; wave barrier
	s_waitcnt lgkmcnt(0)
	s_barrier
	buffer_gl0_inv
	ds_load_2addr_b64 v[4:7], v17 offset0:4 offset1:5
	ds_load_2addr_b64 v[0:3], v18 offset0:2 offset1:3
	s_waitcnt lgkmcnt(1)
	v_add_nc_u32_e32 v45, v5, v4
	s_delay_alu instid0(VALU_DEP_1) | instskip(SKIP_1) | instid1(VALU_DEP_1)
	v_add3_u32 v45, v45, v6, v7
	s_waitcnt lgkmcnt(0)
	v_add3_u32 v45, v45, v0, v1
	s_delay_alu instid0(VALU_DEP_1) | instskip(NEXT) | instid1(VALU_DEP_1)
	v_add3_u32 v3, v45, v2, v3
	v_mov_b32_dpp v45, v3 row_shr:1 row_mask:0xf bank_mask:0xf
	s_delay_alu instid0(VALU_DEP_1) | instskip(NEXT) | instid1(VALU_DEP_1)
	v_cndmask_b32_e64 v45, v45, 0, s4
	v_add_nc_u32_e32 v3, v45, v3
	s_delay_alu instid0(VALU_DEP_1) | instskip(NEXT) | instid1(VALU_DEP_1)
	v_mov_b32_dpp v45, v3 row_shr:2 row_mask:0xf bank_mask:0xf
	v_cndmask_b32_e64 v45, 0, v45, s5
	s_delay_alu instid0(VALU_DEP_1) | instskip(NEXT) | instid1(VALU_DEP_1)
	v_add_nc_u32_e32 v3, v3, v45
	v_mov_b32_dpp v45, v3 row_shr:4 row_mask:0xf bank_mask:0xf
	s_delay_alu instid0(VALU_DEP_1) | instskip(NEXT) | instid1(VALU_DEP_1)
	v_cndmask_b32_e64 v45, 0, v45, s6
	v_add_nc_u32_e32 v3, v3, v45
	s_delay_alu instid0(VALU_DEP_1) | instskip(NEXT) | instid1(VALU_DEP_1)
	v_mov_b32_dpp v45, v3 row_shr:8 row_mask:0xf bank_mask:0xf
	v_cndmask_b32_e64 v45, 0, v45, s7
	s_delay_alu instid0(VALU_DEP_1) | instskip(SKIP_3) | instid1(VALU_DEP_1)
	v_add_nc_u32_e32 v3, v3, v45
	ds_swizzle_b32 v45, v3 offset:swizzle(BROADCAST,32,15)
	s_waitcnt lgkmcnt(0)
	v_cndmask_b32_e64 v45, v45, 0, s8
	v_add_nc_u32_e32 v3, v3, v45
	s_and_saveexec_b32 s16, s15
	s_cbranch_execz .LBB29_14
; %bb.13:                               ;   in Loop: Header=BB29_4 Depth=2
	ds_store_b32 v19, v3
.LBB29_14:                              ;   in Loop: Header=BB29_4 Depth=2
	s_or_b32 exec_lo, exec_lo, s16
	s_waitcnt lgkmcnt(0)
	s_barrier
	buffer_gl0_inv
	s_and_saveexec_b32 s16, s9
	s_cbranch_execz .LBB29_16
; %bb.15:                               ;   in Loop: Header=BB29_4 Depth=2
	ds_load_b32 v45, v21
	s_waitcnt lgkmcnt(0)
	v_mov_b32_dpp v46, v45 row_shr:1 row_mask:0xf bank_mask:0xf
	s_delay_alu instid0(VALU_DEP_1) | instskip(NEXT) | instid1(VALU_DEP_1)
	v_cndmask_b32_e64 v46, v46, 0, s12
	v_add_nc_u32_e32 v45, v46, v45
	s_delay_alu instid0(VALU_DEP_1) | instskip(NEXT) | instid1(VALU_DEP_1)
	v_mov_b32_dpp v46, v45 row_shr:2 row_mask:0xf bank_mask:0xf
	v_cndmask_b32_e64 v46, 0, v46, s13
	s_delay_alu instid0(VALU_DEP_1) | instskip(NEXT) | instid1(VALU_DEP_1)
	v_add_nc_u32_e32 v45, v45, v46
	v_mov_b32_dpp v46, v45 row_shr:4 row_mask:0xf bank_mask:0xf
	s_delay_alu instid0(VALU_DEP_1) | instskip(NEXT) | instid1(VALU_DEP_1)
	v_cndmask_b32_e64 v46, 0, v46, s14
	v_add_nc_u32_e32 v45, v45, v46
	ds_store_b32 v21, v45
.LBB29_16:                              ;   in Loop: Header=BB29_4 Depth=2
	s_or_b32 exec_lo, exec_lo, s16
	v_mov_b32_e32 v45, 0
	s_waitcnt lgkmcnt(0)
	s_barrier
	buffer_gl0_inv
	s_and_saveexec_b32 s16, s10
	s_cbranch_execz .LBB29_18
; %bb.17:                               ;   in Loop: Header=BB29_4 Depth=2
	ds_load_b32 v45, v22
.LBB29_18:                              ;   in Loop: Header=BB29_4 Depth=2
	s_or_b32 exec_lo, exec_lo, s16
	s_waitcnt lgkmcnt(0)
	v_add_nc_u32_e32 v3, v45, v3
	s_cmp_gt_u32 s17, 23
	ds_bpermute_b32 v3, v20, v3
	s_waitcnt lgkmcnt(0)
	v_cndmask_b32_e64 v3, v3, v45, s0
	s_delay_alu instid0(VALU_DEP_1) | instskip(NEXT) | instid1(VALU_DEP_1)
	v_cndmask_b32_e64 v3, v3, 0, s11
	v_add_nc_u32_e32 v4, v3, v4
	s_delay_alu instid0(VALU_DEP_1) | instskip(NEXT) | instid1(VALU_DEP_1)
	v_add_nc_u32_e32 v5, v4, v5
	v_add_nc_u32_e32 v6, v5, v6
	s_delay_alu instid0(VALU_DEP_1) | instskip(NEXT) | instid1(VALU_DEP_1)
	v_add_nc_u32_e32 v45, v6, v7
	v_add_nc_u32_e32 v46, v45, v0
	s_delay_alu instid0(VALU_DEP_1) | instskip(NEXT) | instid1(VALU_DEP_1)
	v_add_nc_u32_e32 v0, v46, v1
	v_add_nc_u32_e32 v1, v0, v2
	ds_store_2addr_b64 v17, v[3:4], v[5:6] offset0:4 offset1:5
	ds_store_2addr_b64 v18, v[45:46], v[0:1] offset0:2 offset1:3
	s_waitcnt lgkmcnt(0)
	s_barrier
	buffer_gl0_inv
	ds_load_b32 v0, v35
	ds_load_b32 v1, v38
	ds_load_b32 v2, v41
	ds_load_b32 v3, v44
	s_waitcnt lgkmcnt(3)
	v_add_nc_u32_e32 v38, v0, v34
	s_waitcnt lgkmcnt(2)
	v_add3_u32 v36, v37, v36, v1
	s_waitcnt lgkmcnt(1)
	v_add3_u32 v35, v40, v39, v2
	;; [unrolled: 2-line block ×3, first 2 shown]
	s_cbranch_scc0 .LBB29_3
; %bb.19:                               ;   in Loop: Header=BB29_2 Depth=1
                                        ; implicit-def: $vgpr3
                                        ; implicit-def: $vgpr1
                                        ; implicit-def: $vgpr7
                                        ; implicit-def: $vgpr5
                                        ; implicit-def: $sgpr17
	s_branch .LBB29_1
.LBB29_20:
	s_waitcnt lgkmcnt(0)
	v_add_nc_u32_e32 v0, v5, v0
	v_lshlrev_b32_e32 v5, 2, v8
	v_add_nc_u32_e32 v1, v6, v1
	v_add_nc_u32_e32 v2, v7, v2
	s_add_u32 s0, s18, s20
	v_add_nc_u32_e32 v3, v4, v3
	s_addc_u32 s1, s19, s21
	s_clause 0x3
	global_store_b32 v5, v0, s[0:1]
	global_store_b32 v5, v1, s[0:1] offset:1024
	global_store_b32 v5, v2, s[0:1] offset:2048
	;; [unrolled: 1-line block ×3, first 2 shown]
	s_nop 0
	s_sendmsg sendmsg(MSG_DEALLOC_VGPRS)
	s_endpgm
	.section	.rodata,"a",@progbits
	.p2align	6, 0x0
	.amdhsa_kernel _Z17sort_pairs_kernelI22helper_blocked_blockediLj256ELj4ELj10EEvPKT0_PS1_
		.amdhsa_group_segment_fixed_size 8224
		.amdhsa_private_segment_fixed_size 0
		.amdhsa_kernarg_size 272
		.amdhsa_user_sgpr_count 15
		.amdhsa_user_sgpr_dispatch_ptr 0
		.amdhsa_user_sgpr_queue_ptr 0
		.amdhsa_user_sgpr_kernarg_segment_ptr 1
		.amdhsa_user_sgpr_dispatch_id 0
		.amdhsa_user_sgpr_private_segment_size 0
		.amdhsa_wavefront_size32 1
		.amdhsa_uses_dynamic_stack 0
		.amdhsa_enable_private_segment 0
		.amdhsa_system_sgpr_workgroup_id_x 1
		.amdhsa_system_sgpr_workgroup_id_y 0
		.amdhsa_system_sgpr_workgroup_id_z 0
		.amdhsa_system_sgpr_workgroup_info 0
		.amdhsa_system_vgpr_workitem_id 2
		.amdhsa_next_free_vgpr 47
		.amdhsa_next_free_sgpr 24
		.amdhsa_reserve_vcc 1
		.amdhsa_float_round_mode_32 0
		.amdhsa_float_round_mode_16_64 0
		.amdhsa_float_denorm_mode_32 3
		.amdhsa_float_denorm_mode_16_64 3
		.amdhsa_dx10_clamp 1
		.amdhsa_ieee_mode 1
		.amdhsa_fp16_overflow 0
		.amdhsa_workgroup_processor_mode 1
		.amdhsa_memory_ordered 1
		.amdhsa_forward_progress 0
		.amdhsa_shared_vgpr_count 0
		.amdhsa_exception_fp_ieee_invalid_op 0
		.amdhsa_exception_fp_denorm_src 0
		.amdhsa_exception_fp_ieee_div_zero 0
		.amdhsa_exception_fp_ieee_overflow 0
		.amdhsa_exception_fp_ieee_underflow 0
		.amdhsa_exception_fp_ieee_inexact 0
		.amdhsa_exception_int_div_zero 0
	.end_amdhsa_kernel
	.section	.text._Z17sort_pairs_kernelI22helper_blocked_blockediLj256ELj4ELj10EEvPKT0_PS1_,"axG",@progbits,_Z17sort_pairs_kernelI22helper_blocked_blockediLj256ELj4ELj10EEvPKT0_PS1_,comdat
.Lfunc_end29:
	.size	_Z17sort_pairs_kernelI22helper_blocked_blockediLj256ELj4ELj10EEvPKT0_PS1_, .Lfunc_end29-_Z17sort_pairs_kernelI22helper_blocked_blockediLj256ELj4ELj10EEvPKT0_PS1_
                                        ; -- End function
	.section	.AMDGPU.csdata,"",@progbits
; Kernel info:
; codeLenInByte = 3472
; NumSgprs: 26
; NumVgprs: 47
; ScratchSize: 0
; MemoryBound: 0
; FloatMode: 240
; IeeeMode: 1
; LDSByteSize: 8224 bytes/workgroup (compile time only)
; SGPRBlocks: 3
; VGPRBlocks: 5
; NumSGPRsForWavesPerEU: 26
; NumVGPRsForWavesPerEU: 47
; Occupancy: 16
; WaveLimiterHint : 1
; COMPUTE_PGM_RSRC2:SCRATCH_EN: 0
; COMPUTE_PGM_RSRC2:USER_SGPR: 15
; COMPUTE_PGM_RSRC2:TRAP_HANDLER: 0
; COMPUTE_PGM_RSRC2:TGID_X_EN: 1
; COMPUTE_PGM_RSRC2:TGID_Y_EN: 0
; COMPUTE_PGM_RSRC2:TGID_Z_EN: 0
; COMPUTE_PGM_RSRC2:TIDIG_COMP_CNT: 2
	.section	.text._Z16sort_keys_kernelI22helper_blocked_blockediLj256ELj8ELj10EEvPKT0_PS1_,"axG",@progbits,_Z16sort_keys_kernelI22helper_blocked_blockediLj256ELj8ELj10EEvPKT0_PS1_,comdat
	.protected	_Z16sort_keys_kernelI22helper_blocked_blockediLj256ELj8ELj10EEvPKT0_PS1_ ; -- Begin function _Z16sort_keys_kernelI22helper_blocked_blockediLj256ELj8ELj10EEvPKT0_PS1_
	.globl	_Z16sort_keys_kernelI22helper_blocked_blockediLj256ELj8ELj10EEvPKT0_PS1_
	.p2align	8
	.type	_Z16sort_keys_kernelI22helper_blocked_blockediLj256ELj8ELj10EEvPKT0_PS1_,@function
_Z16sort_keys_kernelI22helper_blocked_blockediLj256ELj8ELj10EEvPKT0_PS1_: ; @_Z16sort_keys_kernelI22helper_blocked_blockediLj256ELj8ELj10EEvPKT0_PS1_
; %bb.0:
	s_clause 0x1
	s_load_b128 s[16:19], s[0:1], 0x0
	s_load_b32 s2, s[0:1], 0x1c
	s_mov_b32 s21, 0
	s_lshl_b32 s20, s15, 11
	v_mbcnt_lo_u32_b32 v11, -1, 0
	s_lshl_b64 s[14:15], s[20:21], 2
	s_mov_b32 s20, s21
	v_and_b32_e32 v8, 0x3ff, v0
	s_delay_alu instid0(VALU_DEP_2) | instskip(NEXT) | instid1(VALU_DEP_2)
	v_cmp_eq_u32_e64 s8, 0, v11
	v_lshlrev_b32_e32 v1, 2, v8
	v_lshlrev_b32_e32 v13, 3, v8
	s_waitcnt lgkmcnt(0)
	s_add_u32 s0, s16, s14
	s_addc_u32 s1, s17, s15
	v_add_co_u32 v2, s3, s0, v1
	s_delay_alu instid0(VALU_DEP_1) | instskip(SKIP_1) | instid1(VALU_DEP_2)
	v_add_co_ci_u32_e64 v3, null, s1, 0, s3
	s_mov_b32 s16, s21
	v_add_co_u32 v9, vcc_lo, 0x1000, v2
	s_delay_alu instid0(VALU_DEP_2)
	v_add_co_ci_u32_e32 v10, vcc_lo, 0, v3, vcc_lo
	s_clause 0x7
	global_load_b32 v2, v1, s[0:1]
	global_load_b32 v3, v1, s[0:1] offset:1024
	global_load_b32 v4, v1, s[0:1] offset:2048
	;; [unrolled: 1-line block ×3, first 2 shown]
	global_load_b32 v6, v[9:10], off
	global_load_b32 v7, v[9:10], off offset:1024
	global_load_b32 v23, v[9:10], off offset:2048
	;; [unrolled: 1-line block ×3, first 2 shown]
	v_bfe_u32 v9, v0, 10, 10
	v_bfe_u32 v0, v0, 20, 10
	s_lshr_b32 s0, s2, 16
	s_mov_b32 s17, s21
	s_delay_alu instid0(VALU_DEP_1)
	v_mad_u32_u24 v0, v0, s0, v9
	s_and_b32 s0, s2, 0xffff
	s_delay_alu instid0(VALU_DEP_1) | instid1(SALU_CYCLE_1)
	v_mad_u64_u32 v[9:10], null, v0, s0, v[8:9]
	v_and_or_b32 v0, 0x700, v13, v11
	v_and_b32_e32 v10, 15, v11
	s_delay_alu instid0(VALU_DEP_2) | instskip(NEXT) | instid1(VALU_DEP_4)
	v_lshlrev_b32_e32 v15, 2, v0
	v_lshrrev_b32_e32 v17, 5, v9
	v_add_nc_u32_e32 v9, -1, v11
	v_and_b32_e32 v0, 16, v11
	v_cmp_eq_u32_e64 s0, 0, v10
	v_cmp_lt_u32_e64 s1, 1, v10
	v_cmp_lt_u32_e64 s2, 3, v10
	v_cmp_gt_i32_e32 vcc_lo, 0, v9
	v_cmp_eq_u32_e64 s4, 0, v0
	v_cmp_lt_u32_e64 s3, 7, v10
	v_cndmask_b32_e32 v0, v9, v11, vcc_lo
	v_lshrrev_b32_e32 v9, 3, v8
	s_delay_alu instid0(VALU_DEP_2) | instskip(NEXT) | instid1(VALU_DEP_2)
	v_lshlrev_b32_e32 v18, 2, v0
	v_and_b32_e32 v19, 28, v9
	v_dual_mov_b32 v9, s20 :: v_dual_and_b32 v12, 0xe0, v8
	v_lshlrev_b32_e32 v13, 5, v8
	v_and_b32_e32 v0, 7, v11
	v_cmp_gt_u32_e64 s6, 8, v8
	v_cmp_lt_u32_e64 s7, 31, v8
	v_or_b32_e32 v14, v11, v12
	v_or_b32_e32 v12, 31, v12
	v_cmp_eq_u32_e64 s10, 0, v0
	v_cmp_lt_u32_e64 s11, 1, v0
	v_cmp_lt_u32_e64 s12, 3, v0
	v_mul_u32_u24_e32 v0, 28, v8
	v_cmp_eq_u32_e64 s5, v12, v8
	v_dual_mov_b32 v11, s16 :: v_dual_mov_b32 v12, s17
	v_mad_i32_i24 v20, 0xffffffe4, v8, v13
	v_lshlrev_b32_e32 v14, 5, v14
	v_add_nc_u32_e32 v16, 32, v13
	v_cmp_eq_u32_e64 s9, 0, v8
	v_dual_mov_b32 v10, s21 :: v_dual_add_nc_u32 v21, -4, v19
	v_add_nc_u32_e32 v22, v20, v0
	s_branch .LBB30_2
.LBB30_1:                               ;   in Loop: Header=BB30_2 Depth=1
	v_lshlrev_b32_e32 v0, 2, v41
	v_lshlrev_b32_e32 v1, 2, v38
	;; [unrolled: 1-line block ×3, first 2 shown]
	s_barrier
	buffer_gl0_inv
	ds_store_b32 v0, v23
	ds_store_b32 v1, v30
	;; [unrolled: 1-line block ×3, first 2 shown]
	v_lshlrev_b32_e32 v0, 2, v35
	v_lshlrev_b32_e32 v1, 2, v34
	;; [unrolled: 1-line block ×5, first 2 shown]
	ds_store_b32 v0, v28
	ds_store_b32 v1, v27
	;; [unrolled: 1-line block ×5, first 2 shown]
	s_waitcnt lgkmcnt(0)
	s_barrier
	buffer_gl0_inv
	ds_load_2addr_b64 v[2:5], v22 offset1:1
	ds_load_2addr_b64 v[23:26], v22 offset0:2 offset1:3
	s_add_i32 s21, s21, 1
	s_delay_alu instid0(SALU_CYCLE_1)
	s_cmp_eq_u32 s21, 10
	s_waitcnt lgkmcnt(1)
	v_xor_b32_e32 v2, 0x80000000, v2
	v_xor_b32_e32 v3, 0x80000000, v3
	;; [unrolled: 1-line block ×4, first 2 shown]
	s_waitcnt lgkmcnt(0)
	v_xor_b32_e32 v6, 0x80000000, v23
	v_xor_b32_e32 v7, 0x80000000, v24
	;; [unrolled: 1-line block ×4, first 2 shown]
	s_cbranch_scc1 .LBB30_28
.LBB30_2:                               ; =>This Loop Header: Depth=1
                                        ;     Child Loop BB30_4 Depth 2
	s_waitcnt vmcnt(7)
	v_xor_b32_e32 v2, 0x80000000, v2
	s_waitcnt vmcnt(6)
	v_xor_b32_e32 v3, 0x80000000, v3
	;; [unrolled: 2-line block ×8, first 2 shown]
	ds_store_2addr_b64 v14, v[2:3], v[4:5] offset1:1
	ds_store_2addr_b64 v14, v[6:7], v[0:1] offset0:2 offset1:3
	; wave barrier
	ds_load_2addr_b32 v[0:1], v15 offset1:32
	ds_load_2addr_b32 v[2:3], v15 offset0:64 offset1:96
	ds_load_2addr_b32 v[4:5], v15 offset0:128 offset1:160
	ds_load_2addr_b32 v[6:7], v15 offset0:192 offset1:224
	s_mov_b32 s16, 0
	s_waitcnt lgkmcnt(0)
	s_barrier
	buffer_gl0_inv
	; wave barrier
	s_barrier
	s_branch .LBB30_4
.LBB30_3:                               ;   in Loop: Header=BB30_4 Depth=2
	v_lshlrev_b32_e32 v0, 2, v41
	v_lshlrev_b32_e32 v1, 2, v38
	v_lshlrev_b32_e32 v2, 2, v36
	s_barrier
	buffer_gl0_inv
	ds_store_b32 v0, v23
	ds_store_b32 v1, v30
	;; [unrolled: 1-line block ×3, first 2 shown]
	v_lshlrev_b32_e32 v0, 2, v35
	v_lshlrev_b32_e32 v1, 2, v34
	;; [unrolled: 1-line block ×5, first 2 shown]
	ds_store_b32 v0, v28
	ds_store_b32 v1, v27
	;; [unrolled: 1-line block ×5, first 2 shown]
	s_waitcnt lgkmcnt(0)
	s_barrier
	buffer_gl0_inv
	ds_load_2addr_b32 v[0:1], v15 offset1:32
	ds_load_2addr_b32 v[2:3], v15 offset0:64 offset1:96
	ds_load_2addr_b32 v[4:5], v15 offset0:128 offset1:160
	;; [unrolled: 1-line block ×3, first 2 shown]
	s_add_i32 s16, s16, 8
	s_waitcnt lgkmcnt(0)
	s_barrier
	s_cbranch_execz .LBB30_1
.LBB30_4:                               ;   Parent Loop BB30_2 Depth=1
                                        ; =>  This Inner Loop Header: Depth=2
	v_mov_b32_e32 v23, v0
	buffer_gl0_inv
	ds_store_2addr_b64 v13, v[9:10], v[11:12] offset0:4 offset1:5
	ds_store_2addr_b64 v16, v[9:10], v[11:12] offset0:2 offset1:3
	s_waitcnt lgkmcnt(0)
	s_barrier
	v_lshrrev_b32_e32 v24, s16, v23
	buffer_gl0_inv
	; wave barrier
	v_lshlrev_b32_e32 v26, 30, v24
	v_bfe_u32 v0, v23, s16, 1
	v_lshlrev_b32_e32 v27, 29, v24
	v_lshlrev_b32_e32 v28, 28, v24
	;; [unrolled: 1-line block ×4, first 2 shown]
	v_add_co_u32 v0, s13, v0, -1
	s_delay_alu instid0(VALU_DEP_1) | instskip(SKIP_3) | instid1(VALU_DEP_4)
	v_cndmask_b32_e64 v25, 0, 1, s13
	v_cmp_gt_i32_e64 s13, 0, v26
	v_lshlrev_b32_e32 v31, 25, v24
	v_lshlrev_b32_e32 v24, 24, v24
	v_cmp_ne_u32_e32 vcc_lo, 0, v25
	v_not_b32_e32 v25, v26
	v_not_b32_e32 v26, v27
	v_xor_b32_e32 v0, vcc_lo, v0
	s_delay_alu instid0(VALU_DEP_3)
	v_ashrrev_i32_e32 v25, 31, v25
	v_cmp_gt_i32_e32 vcc_lo, 0, v27
	v_not_b32_e32 v27, v28
	v_ashrrev_i32_e32 v26, 31, v26
	v_and_b32_e32 v0, exec_lo, v0
	v_xor_b32_e32 v25, s13, v25
	v_cmp_gt_i32_e64 s13, 0, v28
	v_not_b32_e32 v28, v29
	v_ashrrev_i32_e32 v27, 31, v27
	v_xor_b32_e32 v26, vcc_lo, v26
	v_and_b32_e32 v0, v0, v25
	v_cmp_gt_i32_e32 vcc_lo, 0, v29
	v_mov_b32_e32 v29, v2
	v_ashrrev_i32_e32 v28, 31, v28
	v_xor_b32_e32 v27, s13, v27
	v_and_b32_e32 v0, v0, v26
	v_not_b32_e32 v25, v30
	v_cmp_gt_i32_e64 s13, 0, v30
	v_xor_b32_e32 v28, vcc_lo, v28
	v_mov_b32_e32 v30, v1
	v_and_b32_e32 v0, v0, v27
	v_ashrrev_i32_e32 v25, 31, v25
	v_not_b32_e32 v27, v24
	v_bfe_u32 v1, v23, s16, 8
	s_delay_alu instid0(VALU_DEP_4)
	v_and_b32_e32 v0, v0, v28
	v_mov_b32_e32 v28, v3
	v_not_b32_e32 v26, v31
	v_cmp_gt_i32_e32 vcc_lo, 0, v31
	v_xor_b32_e32 v25, s13, v25
	v_cmp_gt_i32_e64 s13, 0, v24
	v_ashrrev_i32_e32 v27, 31, v27
	v_ashrrev_i32_e32 v26, 31, v26
	v_mov_b32_e32 v24, v7
	v_and_b32_e32 v0, v0, v25
	v_lshl_add_u32 v1, v1, 3, v17
	v_xor_b32_e32 v7, s13, v27
	v_xor_b32_e32 v26, vcc_lo, v26
	v_mov_b32_e32 v25, v6
	v_mov_b32_e32 v27, v4
	v_lshl_add_u32 v32, v1, 2, 32
	s_delay_alu instid0(VALU_DEP_4) | instskip(SKIP_1) | instid1(VALU_DEP_2)
	v_and_b32_e32 v0, v0, v26
	v_mov_b32_e32 v26, v5
	v_and_b32_e32 v0, v0, v7
	s_delay_alu instid0(VALU_DEP_1) | instskip(SKIP_1) | instid1(VALU_DEP_2)
	v_mbcnt_lo_u32_b32 v31, v0, 0
	v_cmp_ne_u32_e64 s13, 0, v0
	v_cmp_eq_u32_e32 vcc_lo, 0, v31
	s_delay_alu instid0(VALU_DEP_2) | instskip(NEXT) | instid1(SALU_CYCLE_1)
	s_and_b32 s17, s13, vcc_lo
	s_and_saveexec_b32 s13, s17
	s_cbranch_execz .LBB30_6
; %bb.5:                                ;   in Loop: Header=BB30_4 Depth=2
	v_bcnt_u32_b32 v0, v0, 0
	ds_store_b32 v32, v0
.LBB30_6:                               ;   in Loop: Header=BB30_4 Depth=2
	s_or_b32 exec_lo, exec_lo, s13
	v_bfe_u32 v0, v30, s16, 1
	v_lshrrev_b32_e32 v1, s16, v30
	; wave barrier
	s_delay_alu instid0(VALU_DEP_2) | instskip(NEXT) | instid1(VALU_DEP_1)
	v_add_co_u32 v0, s13, v0, -1
	v_cndmask_b32_e64 v2, 0, 1, s13
	s_delay_alu instid0(VALU_DEP_3)
	v_lshlrev_b32_e32 v3, 30, v1
	v_lshlrev_b32_e32 v4, 29, v1
	;; [unrolled: 1-line block ×4, first 2 shown]
	v_cmp_ne_u32_e32 vcc_lo, 0, v2
	v_not_b32_e32 v2, v3
	v_cmp_gt_i32_e64 s13, 0, v3
	v_not_b32_e32 v3, v4
	v_lshlrev_b32_e32 v7, 26, v1
	v_xor_b32_e32 v0, vcc_lo, v0
	v_ashrrev_i32_e32 v2, 31, v2
	v_cmp_gt_i32_e32 vcc_lo, 0, v4
	v_not_b32_e32 v4, v5
	v_ashrrev_i32_e32 v3, 31, v3
	v_and_b32_e32 v0, exec_lo, v0
	v_xor_b32_e32 v2, s13, v2
	v_cmp_gt_i32_e64 s13, 0, v5
	v_not_b32_e32 v5, v6
	v_ashrrev_i32_e32 v4, 31, v4
	v_xor_b32_e32 v3, vcc_lo, v3
	v_and_b32_e32 v0, v0, v2
	v_cmp_gt_i32_e32 vcc_lo, 0, v6
	v_not_b32_e32 v2, v7
	v_ashrrev_i32_e32 v5, 31, v5
	v_xor_b32_e32 v4, s13, v4
	v_and_b32_e32 v0, v0, v3
	v_lshlrev_b32_e32 v3, 25, v1
	v_cmp_gt_i32_e64 s13, 0, v7
	v_ashrrev_i32_e32 v2, 31, v2
	v_xor_b32_e32 v5, vcc_lo, v5
	v_and_b32_e32 v0, v0, v4
	v_not_b32_e32 v6, v3
	v_lshlrev_b32_e32 v1, 24, v1
	v_bfe_u32 v4, v30, s16, 8
	v_xor_b32_e32 v2, s13, v2
	v_and_b32_e32 v0, v0, v5
	v_cmp_gt_i32_e32 vcc_lo, 0, v3
	v_ashrrev_i32_e32 v3, 31, v6
	v_not_b32_e32 v5, v1
	v_lshlrev_b32_e32 v4, 3, v4
	v_and_b32_e32 v0, v0, v2
	s_delay_alu instid0(VALU_DEP_4) | instskip(SKIP_3) | instid1(VALU_DEP_4)
	v_xor_b32_e32 v2, vcc_lo, v3
	v_cmp_gt_i32_e32 vcc_lo, 0, v1
	v_ashrrev_i32_e32 v1, 31, v5
	v_add_lshl_u32 v3, v4, v17, 2
	v_and_b32_e32 v0, v0, v2
	s_delay_alu instid0(VALU_DEP_3) | instskip(SKIP_3) | instid1(VALU_DEP_1)
	v_xor_b32_e32 v1, vcc_lo, v1
	ds_load_b32 v33, v3 offset:32
	v_add_nc_u32_e32 v35, 32, v3
	; wave barrier
	v_and_b32_e32 v0, v0, v1
	v_mbcnt_lo_u32_b32 v34, v0, 0
	v_cmp_ne_u32_e64 s13, 0, v0
	s_delay_alu instid0(VALU_DEP_2) | instskip(NEXT) | instid1(VALU_DEP_2)
	v_cmp_eq_u32_e32 vcc_lo, 0, v34
	s_and_b32 s17, s13, vcc_lo
	s_delay_alu instid0(SALU_CYCLE_1)
	s_and_saveexec_b32 s13, s17
	s_cbranch_execz .LBB30_8
; %bb.7:                                ;   in Loop: Header=BB30_4 Depth=2
	s_waitcnt lgkmcnt(0)
	v_bcnt_u32_b32 v0, v0, v33
	ds_store_b32 v35, v0
.LBB30_8:                               ;   in Loop: Header=BB30_4 Depth=2
	s_or_b32 exec_lo, exec_lo, s13
	v_bfe_u32 v0, v29, s16, 1
	v_lshrrev_b32_e32 v1, s16, v29
	; wave barrier
	s_delay_alu instid0(VALU_DEP_2) | instskip(NEXT) | instid1(VALU_DEP_1)
	v_add_co_u32 v0, s13, v0, -1
	v_cndmask_b32_e64 v2, 0, 1, s13
	s_delay_alu instid0(VALU_DEP_3)
	v_lshlrev_b32_e32 v3, 30, v1
	v_lshlrev_b32_e32 v4, 29, v1
	;; [unrolled: 1-line block ×4, first 2 shown]
	v_cmp_ne_u32_e32 vcc_lo, 0, v2
	v_not_b32_e32 v2, v3
	v_cmp_gt_i32_e64 s13, 0, v3
	v_not_b32_e32 v3, v4
	v_lshlrev_b32_e32 v7, 26, v1
	v_xor_b32_e32 v0, vcc_lo, v0
	v_ashrrev_i32_e32 v2, 31, v2
	v_cmp_gt_i32_e32 vcc_lo, 0, v4
	v_not_b32_e32 v4, v5
	v_ashrrev_i32_e32 v3, 31, v3
	v_and_b32_e32 v0, exec_lo, v0
	v_xor_b32_e32 v2, s13, v2
	v_cmp_gt_i32_e64 s13, 0, v5
	v_not_b32_e32 v5, v6
	v_ashrrev_i32_e32 v4, 31, v4
	v_xor_b32_e32 v3, vcc_lo, v3
	v_and_b32_e32 v0, v0, v2
	v_cmp_gt_i32_e32 vcc_lo, 0, v6
	v_not_b32_e32 v2, v7
	v_ashrrev_i32_e32 v5, 31, v5
	v_xor_b32_e32 v4, s13, v4
	v_and_b32_e32 v0, v0, v3
	v_lshlrev_b32_e32 v3, 25, v1
	v_cmp_gt_i32_e64 s13, 0, v7
	v_ashrrev_i32_e32 v2, 31, v2
	v_xor_b32_e32 v5, vcc_lo, v5
	v_and_b32_e32 v0, v0, v4
	v_not_b32_e32 v6, v3
	v_lshlrev_b32_e32 v1, 24, v1
	v_bfe_u32 v4, v29, s16, 8
	v_xor_b32_e32 v2, s13, v2
	v_and_b32_e32 v0, v0, v5
	v_cmp_gt_i32_e32 vcc_lo, 0, v3
	v_ashrrev_i32_e32 v3, 31, v6
	v_not_b32_e32 v5, v1
	v_lshlrev_b32_e32 v4, 3, v4
	v_and_b32_e32 v0, v0, v2
	s_delay_alu instid0(VALU_DEP_4) | instskip(SKIP_3) | instid1(VALU_DEP_4)
	v_xor_b32_e32 v2, vcc_lo, v3
	v_cmp_gt_i32_e32 vcc_lo, 0, v1
	v_ashrrev_i32_e32 v1, 31, v5
	v_add_lshl_u32 v3, v4, v17, 2
	v_and_b32_e32 v0, v0, v2
	s_delay_alu instid0(VALU_DEP_3) | instskip(SKIP_3) | instid1(VALU_DEP_1)
	v_xor_b32_e32 v1, vcc_lo, v1
	ds_load_b32 v36, v3 offset:32
	v_add_nc_u32_e32 v38, 32, v3
	; wave barrier
	v_and_b32_e32 v0, v0, v1
	v_mbcnt_lo_u32_b32 v37, v0, 0
	v_cmp_ne_u32_e64 s13, 0, v0
	s_delay_alu instid0(VALU_DEP_2) | instskip(NEXT) | instid1(VALU_DEP_2)
	v_cmp_eq_u32_e32 vcc_lo, 0, v37
	s_and_b32 s17, s13, vcc_lo
	s_delay_alu instid0(SALU_CYCLE_1)
	s_and_saveexec_b32 s13, s17
	s_cbranch_execz .LBB30_10
; %bb.9:                                ;   in Loop: Header=BB30_4 Depth=2
	s_waitcnt lgkmcnt(0)
	v_bcnt_u32_b32 v0, v0, v36
	ds_store_b32 v38, v0
.LBB30_10:                              ;   in Loop: Header=BB30_4 Depth=2
	s_or_b32 exec_lo, exec_lo, s13
	v_bfe_u32 v0, v28, s16, 1
	v_lshrrev_b32_e32 v1, s16, v28
	; wave barrier
	s_delay_alu instid0(VALU_DEP_2) | instskip(NEXT) | instid1(VALU_DEP_1)
	v_add_co_u32 v0, s13, v0, -1
	v_cndmask_b32_e64 v2, 0, 1, s13
	s_delay_alu instid0(VALU_DEP_3)
	v_lshlrev_b32_e32 v3, 30, v1
	v_lshlrev_b32_e32 v4, 29, v1
	;; [unrolled: 1-line block ×4, first 2 shown]
	v_cmp_ne_u32_e32 vcc_lo, 0, v2
	v_not_b32_e32 v2, v3
	v_cmp_gt_i32_e64 s13, 0, v3
	v_not_b32_e32 v3, v4
	v_lshlrev_b32_e32 v7, 26, v1
	v_xor_b32_e32 v0, vcc_lo, v0
	v_ashrrev_i32_e32 v2, 31, v2
	v_cmp_gt_i32_e32 vcc_lo, 0, v4
	v_not_b32_e32 v4, v5
	v_ashrrev_i32_e32 v3, 31, v3
	v_and_b32_e32 v0, exec_lo, v0
	v_xor_b32_e32 v2, s13, v2
	v_cmp_gt_i32_e64 s13, 0, v5
	v_not_b32_e32 v5, v6
	v_ashrrev_i32_e32 v4, 31, v4
	v_xor_b32_e32 v3, vcc_lo, v3
	v_and_b32_e32 v0, v0, v2
	v_cmp_gt_i32_e32 vcc_lo, 0, v6
	v_not_b32_e32 v2, v7
	v_ashrrev_i32_e32 v5, 31, v5
	v_xor_b32_e32 v4, s13, v4
	v_and_b32_e32 v0, v0, v3
	v_lshlrev_b32_e32 v3, 25, v1
	v_cmp_gt_i32_e64 s13, 0, v7
	v_ashrrev_i32_e32 v2, 31, v2
	v_xor_b32_e32 v5, vcc_lo, v5
	v_and_b32_e32 v0, v0, v4
	v_not_b32_e32 v6, v3
	v_lshlrev_b32_e32 v1, 24, v1
	v_bfe_u32 v4, v28, s16, 8
	v_xor_b32_e32 v2, s13, v2
	v_and_b32_e32 v0, v0, v5
	v_cmp_gt_i32_e32 vcc_lo, 0, v3
	v_ashrrev_i32_e32 v3, 31, v6
	v_not_b32_e32 v5, v1
	v_lshlrev_b32_e32 v4, 3, v4
	v_and_b32_e32 v0, v0, v2
	s_delay_alu instid0(VALU_DEP_4) | instskip(SKIP_3) | instid1(VALU_DEP_4)
	v_xor_b32_e32 v2, vcc_lo, v3
	v_cmp_gt_i32_e32 vcc_lo, 0, v1
	v_ashrrev_i32_e32 v1, 31, v5
	v_add_lshl_u32 v3, v4, v17, 2
	v_and_b32_e32 v0, v0, v2
	s_delay_alu instid0(VALU_DEP_3) | instskip(SKIP_3) | instid1(VALU_DEP_1)
	v_xor_b32_e32 v1, vcc_lo, v1
	ds_load_b32 v39, v3 offset:32
	v_add_nc_u32_e32 v41, 32, v3
	; wave barrier
	v_and_b32_e32 v0, v0, v1
	v_mbcnt_lo_u32_b32 v40, v0, 0
	v_cmp_ne_u32_e64 s13, 0, v0
	s_delay_alu instid0(VALU_DEP_2) | instskip(NEXT) | instid1(VALU_DEP_2)
	v_cmp_eq_u32_e32 vcc_lo, 0, v40
	s_and_b32 s17, s13, vcc_lo
	s_delay_alu instid0(SALU_CYCLE_1)
	s_and_saveexec_b32 s13, s17
	s_cbranch_execz .LBB30_12
; %bb.11:                               ;   in Loop: Header=BB30_4 Depth=2
	s_waitcnt lgkmcnt(0)
	v_bcnt_u32_b32 v0, v0, v39
	ds_store_b32 v41, v0
.LBB30_12:                              ;   in Loop: Header=BB30_4 Depth=2
	s_or_b32 exec_lo, exec_lo, s13
	v_bfe_u32 v0, v27, s16, 1
	v_lshrrev_b32_e32 v1, s16, v27
	; wave barrier
	s_delay_alu instid0(VALU_DEP_2) | instskip(NEXT) | instid1(VALU_DEP_1)
	v_add_co_u32 v0, s13, v0, -1
	v_cndmask_b32_e64 v2, 0, 1, s13
	s_delay_alu instid0(VALU_DEP_3)
	v_lshlrev_b32_e32 v3, 30, v1
	v_lshlrev_b32_e32 v4, 29, v1
	;; [unrolled: 1-line block ×4, first 2 shown]
	v_cmp_ne_u32_e32 vcc_lo, 0, v2
	v_not_b32_e32 v2, v3
	v_cmp_gt_i32_e64 s13, 0, v3
	v_not_b32_e32 v3, v4
	v_lshlrev_b32_e32 v7, 26, v1
	v_xor_b32_e32 v0, vcc_lo, v0
	v_ashrrev_i32_e32 v2, 31, v2
	v_cmp_gt_i32_e32 vcc_lo, 0, v4
	v_not_b32_e32 v4, v5
	v_ashrrev_i32_e32 v3, 31, v3
	v_and_b32_e32 v0, exec_lo, v0
	v_xor_b32_e32 v2, s13, v2
	v_cmp_gt_i32_e64 s13, 0, v5
	v_not_b32_e32 v5, v6
	v_ashrrev_i32_e32 v4, 31, v4
	v_xor_b32_e32 v3, vcc_lo, v3
	v_and_b32_e32 v0, v0, v2
	v_cmp_gt_i32_e32 vcc_lo, 0, v6
	v_not_b32_e32 v2, v7
	v_ashrrev_i32_e32 v5, 31, v5
	v_xor_b32_e32 v4, s13, v4
	v_and_b32_e32 v0, v0, v3
	v_lshlrev_b32_e32 v3, 25, v1
	v_cmp_gt_i32_e64 s13, 0, v7
	v_ashrrev_i32_e32 v2, 31, v2
	v_xor_b32_e32 v5, vcc_lo, v5
	v_and_b32_e32 v0, v0, v4
	v_not_b32_e32 v6, v3
	v_lshlrev_b32_e32 v1, 24, v1
	v_bfe_u32 v4, v27, s16, 8
	v_xor_b32_e32 v2, s13, v2
	v_and_b32_e32 v0, v0, v5
	v_cmp_gt_i32_e32 vcc_lo, 0, v3
	v_ashrrev_i32_e32 v3, 31, v6
	v_not_b32_e32 v5, v1
	v_lshlrev_b32_e32 v4, 3, v4
	v_and_b32_e32 v0, v0, v2
	s_delay_alu instid0(VALU_DEP_4) | instskip(SKIP_3) | instid1(VALU_DEP_4)
	v_xor_b32_e32 v2, vcc_lo, v3
	v_cmp_gt_i32_e32 vcc_lo, 0, v1
	v_ashrrev_i32_e32 v1, 31, v5
	v_add_lshl_u32 v3, v4, v17, 2
	v_and_b32_e32 v0, v0, v2
	s_delay_alu instid0(VALU_DEP_3) | instskip(SKIP_3) | instid1(VALU_DEP_1)
	v_xor_b32_e32 v1, vcc_lo, v1
	ds_load_b32 v42, v3 offset:32
	v_add_nc_u32_e32 v44, 32, v3
	; wave barrier
	v_and_b32_e32 v0, v0, v1
	v_mbcnt_lo_u32_b32 v43, v0, 0
	v_cmp_ne_u32_e64 s13, 0, v0
	s_delay_alu instid0(VALU_DEP_2) | instskip(NEXT) | instid1(VALU_DEP_2)
	v_cmp_eq_u32_e32 vcc_lo, 0, v43
	s_and_b32 s17, s13, vcc_lo
	s_delay_alu instid0(SALU_CYCLE_1)
	s_and_saveexec_b32 s13, s17
	s_cbranch_execz .LBB30_14
; %bb.13:                               ;   in Loop: Header=BB30_4 Depth=2
	s_waitcnt lgkmcnt(0)
	v_bcnt_u32_b32 v0, v0, v42
	ds_store_b32 v44, v0
.LBB30_14:                              ;   in Loop: Header=BB30_4 Depth=2
	s_or_b32 exec_lo, exec_lo, s13
	v_bfe_u32 v0, v26, s16, 1
	v_lshrrev_b32_e32 v1, s16, v26
	; wave barrier
	s_delay_alu instid0(VALU_DEP_2) | instskip(NEXT) | instid1(VALU_DEP_1)
	v_add_co_u32 v0, s13, v0, -1
	v_cndmask_b32_e64 v2, 0, 1, s13
	s_delay_alu instid0(VALU_DEP_3)
	v_lshlrev_b32_e32 v3, 30, v1
	v_lshlrev_b32_e32 v4, 29, v1
	;; [unrolled: 1-line block ×4, first 2 shown]
	v_cmp_ne_u32_e32 vcc_lo, 0, v2
	v_not_b32_e32 v2, v3
	v_cmp_gt_i32_e64 s13, 0, v3
	v_not_b32_e32 v3, v4
	v_lshlrev_b32_e32 v7, 26, v1
	v_xor_b32_e32 v0, vcc_lo, v0
	v_ashrrev_i32_e32 v2, 31, v2
	v_cmp_gt_i32_e32 vcc_lo, 0, v4
	v_not_b32_e32 v4, v5
	v_ashrrev_i32_e32 v3, 31, v3
	v_and_b32_e32 v0, exec_lo, v0
	v_xor_b32_e32 v2, s13, v2
	v_cmp_gt_i32_e64 s13, 0, v5
	v_not_b32_e32 v5, v6
	v_ashrrev_i32_e32 v4, 31, v4
	v_xor_b32_e32 v3, vcc_lo, v3
	v_and_b32_e32 v0, v0, v2
	v_cmp_gt_i32_e32 vcc_lo, 0, v6
	v_not_b32_e32 v2, v7
	v_ashrrev_i32_e32 v5, 31, v5
	v_xor_b32_e32 v4, s13, v4
	v_and_b32_e32 v0, v0, v3
	v_lshlrev_b32_e32 v3, 25, v1
	v_cmp_gt_i32_e64 s13, 0, v7
	v_ashrrev_i32_e32 v2, 31, v2
	v_xor_b32_e32 v5, vcc_lo, v5
	v_and_b32_e32 v0, v0, v4
	v_not_b32_e32 v6, v3
	v_lshlrev_b32_e32 v1, 24, v1
	v_bfe_u32 v4, v26, s16, 8
	v_xor_b32_e32 v2, s13, v2
	v_and_b32_e32 v0, v0, v5
	v_cmp_gt_i32_e32 vcc_lo, 0, v3
	v_ashrrev_i32_e32 v3, 31, v6
	v_not_b32_e32 v5, v1
	v_lshlrev_b32_e32 v4, 3, v4
	v_and_b32_e32 v0, v0, v2
	s_delay_alu instid0(VALU_DEP_4) | instskip(SKIP_3) | instid1(VALU_DEP_4)
	v_xor_b32_e32 v2, vcc_lo, v3
	v_cmp_gt_i32_e32 vcc_lo, 0, v1
	v_ashrrev_i32_e32 v1, 31, v5
	v_add_lshl_u32 v3, v4, v17, 2
	v_and_b32_e32 v0, v0, v2
	s_delay_alu instid0(VALU_DEP_3) | instskip(SKIP_3) | instid1(VALU_DEP_1)
	v_xor_b32_e32 v1, vcc_lo, v1
	ds_load_b32 v45, v3 offset:32
	v_add_nc_u32_e32 v47, 32, v3
	; wave barrier
	v_and_b32_e32 v0, v0, v1
	v_mbcnt_lo_u32_b32 v46, v0, 0
	v_cmp_ne_u32_e64 s13, 0, v0
	s_delay_alu instid0(VALU_DEP_2) | instskip(NEXT) | instid1(VALU_DEP_2)
	v_cmp_eq_u32_e32 vcc_lo, 0, v46
	s_and_b32 s17, s13, vcc_lo
	s_delay_alu instid0(SALU_CYCLE_1)
	s_and_saveexec_b32 s13, s17
	s_cbranch_execz .LBB30_16
; %bb.15:                               ;   in Loop: Header=BB30_4 Depth=2
	s_waitcnt lgkmcnt(0)
	v_bcnt_u32_b32 v0, v0, v45
	ds_store_b32 v47, v0
.LBB30_16:                              ;   in Loop: Header=BB30_4 Depth=2
	s_or_b32 exec_lo, exec_lo, s13
	v_bfe_u32 v0, v25, s16, 1
	v_lshrrev_b32_e32 v1, s16, v25
	; wave barrier
	s_delay_alu instid0(VALU_DEP_2) | instskip(NEXT) | instid1(VALU_DEP_1)
	v_add_co_u32 v0, s13, v0, -1
	v_cndmask_b32_e64 v2, 0, 1, s13
	s_delay_alu instid0(VALU_DEP_3)
	v_lshlrev_b32_e32 v3, 30, v1
	v_lshlrev_b32_e32 v4, 29, v1
	;; [unrolled: 1-line block ×4, first 2 shown]
	v_cmp_ne_u32_e32 vcc_lo, 0, v2
	v_not_b32_e32 v2, v3
	v_cmp_gt_i32_e64 s13, 0, v3
	v_not_b32_e32 v3, v4
	v_lshlrev_b32_e32 v7, 26, v1
	v_xor_b32_e32 v0, vcc_lo, v0
	v_ashrrev_i32_e32 v2, 31, v2
	v_cmp_gt_i32_e32 vcc_lo, 0, v4
	v_not_b32_e32 v4, v5
	v_ashrrev_i32_e32 v3, 31, v3
	v_and_b32_e32 v0, exec_lo, v0
	v_xor_b32_e32 v2, s13, v2
	v_cmp_gt_i32_e64 s13, 0, v5
	v_not_b32_e32 v5, v6
	v_ashrrev_i32_e32 v4, 31, v4
	v_xor_b32_e32 v3, vcc_lo, v3
	v_and_b32_e32 v0, v0, v2
	v_cmp_gt_i32_e32 vcc_lo, 0, v6
	v_not_b32_e32 v2, v7
	v_ashrrev_i32_e32 v5, 31, v5
	v_xor_b32_e32 v4, s13, v4
	v_and_b32_e32 v0, v0, v3
	v_lshlrev_b32_e32 v3, 25, v1
	v_cmp_gt_i32_e64 s13, 0, v7
	v_ashrrev_i32_e32 v2, 31, v2
	v_xor_b32_e32 v5, vcc_lo, v5
	v_and_b32_e32 v0, v0, v4
	v_not_b32_e32 v6, v3
	v_lshlrev_b32_e32 v1, 24, v1
	v_bfe_u32 v4, v25, s16, 8
	v_xor_b32_e32 v2, s13, v2
	v_and_b32_e32 v0, v0, v5
	v_cmp_gt_i32_e32 vcc_lo, 0, v3
	v_ashrrev_i32_e32 v3, 31, v6
	v_not_b32_e32 v5, v1
	v_lshlrev_b32_e32 v4, 3, v4
	v_and_b32_e32 v0, v0, v2
	s_delay_alu instid0(VALU_DEP_4) | instskip(SKIP_3) | instid1(VALU_DEP_4)
	v_xor_b32_e32 v2, vcc_lo, v3
	v_cmp_gt_i32_e32 vcc_lo, 0, v1
	v_ashrrev_i32_e32 v1, 31, v5
	v_add_lshl_u32 v3, v4, v17, 2
	v_and_b32_e32 v0, v0, v2
	s_delay_alu instid0(VALU_DEP_3) | instskip(SKIP_3) | instid1(VALU_DEP_1)
	v_xor_b32_e32 v1, vcc_lo, v1
	ds_load_b32 v48, v3 offset:32
	v_add_nc_u32_e32 v50, 32, v3
	; wave barrier
	v_and_b32_e32 v0, v0, v1
	v_mbcnt_lo_u32_b32 v49, v0, 0
	v_cmp_ne_u32_e64 s13, 0, v0
	s_delay_alu instid0(VALU_DEP_2) | instskip(NEXT) | instid1(VALU_DEP_2)
	v_cmp_eq_u32_e32 vcc_lo, 0, v49
	s_and_b32 s17, s13, vcc_lo
	s_delay_alu instid0(SALU_CYCLE_1)
	s_and_saveexec_b32 s13, s17
	s_cbranch_execz .LBB30_18
; %bb.17:                               ;   in Loop: Header=BB30_4 Depth=2
	s_waitcnt lgkmcnt(0)
	v_bcnt_u32_b32 v0, v0, v48
	ds_store_b32 v50, v0
.LBB30_18:                              ;   in Loop: Header=BB30_4 Depth=2
	s_or_b32 exec_lo, exec_lo, s13
	v_bfe_u32 v0, v24, s16, 1
	v_lshrrev_b32_e32 v1, s16, v24
	; wave barrier
	s_delay_alu instid0(VALU_DEP_2) | instskip(NEXT) | instid1(VALU_DEP_1)
	v_add_co_u32 v0, s13, v0, -1
	v_cndmask_b32_e64 v2, 0, 1, s13
	s_delay_alu instid0(VALU_DEP_3)
	v_lshlrev_b32_e32 v3, 30, v1
	v_lshlrev_b32_e32 v4, 29, v1
	;; [unrolled: 1-line block ×4, first 2 shown]
	v_cmp_ne_u32_e32 vcc_lo, 0, v2
	v_not_b32_e32 v2, v3
	v_cmp_gt_i32_e64 s13, 0, v3
	v_not_b32_e32 v3, v4
	v_lshlrev_b32_e32 v7, 26, v1
	v_xor_b32_e32 v0, vcc_lo, v0
	v_ashrrev_i32_e32 v2, 31, v2
	v_cmp_gt_i32_e32 vcc_lo, 0, v4
	v_not_b32_e32 v4, v5
	v_ashrrev_i32_e32 v3, 31, v3
	v_and_b32_e32 v0, exec_lo, v0
	v_xor_b32_e32 v2, s13, v2
	v_cmp_gt_i32_e64 s13, 0, v5
	v_not_b32_e32 v5, v6
	v_ashrrev_i32_e32 v4, 31, v4
	v_xor_b32_e32 v3, vcc_lo, v3
	v_and_b32_e32 v0, v0, v2
	v_cmp_gt_i32_e32 vcc_lo, 0, v6
	v_not_b32_e32 v2, v7
	v_ashrrev_i32_e32 v5, 31, v5
	v_xor_b32_e32 v4, s13, v4
	v_and_b32_e32 v0, v0, v3
	v_lshlrev_b32_e32 v3, 25, v1
	v_cmp_gt_i32_e64 s13, 0, v7
	v_ashrrev_i32_e32 v2, 31, v2
	v_xor_b32_e32 v5, vcc_lo, v5
	v_and_b32_e32 v0, v0, v4
	v_not_b32_e32 v6, v3
	v_lshlrev_b32_e32 v1, 24, v1
	v_bfe_u32 v4, v24, s16, 8
	v_xor_b32_e32 v2, s13, v2
	v_and_b32_e32 v0, v0, v5
	v_cmp_gt_i32_e32 vcc_lo, 0, v3
	v_ashrrev_i32_e32 v3, 31, v6
	v_not_b32_e32 v5, v1
	v_lshlrev_b32_e32 v4, 3, v4
	v_and_b32_e32 v0, v0, v2
	s_delay_alu instid0(VALU_DEP_4) | instskip(SKIP_3) | instid1(VALU_DEP_4)
	v_xor_b32_e32 v2, vcc_lo, v3
	v_cmp_gt_i32_e32 vcc_lo, 0, v1
	v_ashrrev_i32_e32 v1, 31, v5
	v_add_lshl_u32 v3, v4, v17, 2
	v_and_b32_e32 v0, v0, v2
	s_delay_alu instid0(VALU_DEP_3) | instskip(SKIP_3) | instid1(VALU_DEP_1)
	v_xor_b32_e32 v1, vcc_lo, v1
	ds_load_b32 v51, v3 offset:32
	v_add_nc_u32_e32 v53, 32, v3
	; wave barrier
	v_and_b32_e32 v0, v0, v1
	v_mbcnt_lo_u32_b32 v52, v0, 0
	v_cmp_ne_u32_e64 s13, 0, v0
	s_delay_alu instid0(VALU_DEP_2) | instskip(NEXT) | instid1(VALU_DEP_2)
	v_cmp_eq_u32_e32 vcc_lo, 0, v52
	s_and_b32 s17, s13, vcc_lo
	s_delay_alu instid0(SALU_CYCLE_1)
	s_and_saveexec_b32 s13, s17
	s_cbranch_execz .LBB30_20
; %bb.19:                               ;   in Loop: Header=BB30_4 Depth=2
	s_waitcnt lgkmcnt(0)
	v_bcnt_u32_b32 v0, v0, v51
	ds_store_b32 v53, v0
.LBB30_20:                              ;   in Loop: Header=BB30_4 Depth=2
	s_or_b32 exec_lo, exec_lo, s13
	; wave barrier
	s_waitcnt lgkmcnt(0)
	s_barrier
	buffer_gl0_inv
	ds_load_2addr_b64 v[4:7], v13 offset0:4 offset1:5
	ds_load_2addr_b64 v[0:3], v16 offset0:2 offset1:3
	s_waitcnt lgkmcnt(1)
	v_add_nc_u32_e32 v54, v5, v4
	s_delay_alu instid0(VALU_DEP_1) | instskip(SKIP_1) | instid1(VALU_DEP_1)
	v_add3_u32 v54, v54, v6, v7
	s_waitcnt lgkmcnt(0)
	v_add3_u32 v54, v54, v0, v1
	s_delay_alu instid0(VALU_DEP_1) | instskip(NEXT) | instid1(VALU_DEP_1)
	v_add3_u32 v3, v54, v2, v3
	v_mov_b32_dpp v54, v3 row_shr:1 row_mask:0xf bank_mask:0xf
	s_delay_alu instid0(VALU_DEP_1) | instskip(NEXT) | instid1(VALU_DEP_1)
	v_cndmask_b32_e64 v54, v54, 0, s0
	v_add_nc_u32_e32 v3, v54, v3
	s_delay_alu instid0(VALU_DEP_1) | instskip(NEXT) | instid1(VALU_DEP_1)
	v_mov_b32_dpp v54, v3 row_shr:2 row_mask:0xf bank_mask:0xf
	v_cndmask_b32_e64 v54, 0, v54, s1
	s_delay_alu instid0(VALU_DEP_1) | instskip(NEXT) | instid1(VALU_DEP_1)
	v_add_nc_u32_e32 v3, v3, v54
	v_mov_b32_dpp v54, v3 row_shr:4 row_mask:0xf bank_mask:0xf
	s_delay_alu instid0(VALU_DEP_1) | instskip(NEXT) | instid1(VALU_DEP_1)
	v_cndmask_b32_e64 v54, 0, v54, s2
	v_add_nc_u32_e32 v3, v3, v54
	s_delay_alu instid0(VALU_DEP_1) | instskip(NEXT) | instid1(VALU_DEP_1)
	v_mov_b32_dpp v54, v3 row_shr:8 row_mask:0xf bank_mask:0xf
	v_cndmask_b32_e64 v54, 0, v54, s3
	s_delay_alu instid0(VALU_DEP_1) | instskip(SKIP_3) | instid1(VALU_DEP_1)
	v_add_nc_u32_e32 v3, v3, v54
	ds_swizzle_b32 v54, v3 offset:swizzle(BROADCAST,32,15)
	s_waitcnt lgkmcnt(0)
	v_cndmask_b32_e64 v54, v54, 0, s4
	v_add_nc_u32_e32 v3, v3, v54
	s_and_saveexec_b32 s13, s5
	s_cbranch_execz .LBB30_22
; %bb.21:                               ;   in Loop: Header=BB30_4 Depth=2
	ds_store_b32 v19, v3
.LBB30_22:                              ;   in Loop: Header=BB30_4 Depth=2
	s_or_b32 exec_lo, exec_lo, s13
	s_waitcnt lgkmcnt(0)
	s_barrier
	buffer_gl0_inv
	s_and_saveexec_b32 s13, s6
	s_cbranch_execz .LBB30_24
; %bb.23:                               ;   in Loop: Header=BB30_4 Depth=2
	ds_load_b32 v54, v20
	s_waitcnt lgkmcnt(0)
	v_mov_b32_dpp v55, v54 row_shr:1 row_mask:0xf bank_mask:0xf
	s_delay_alu instid0(VALU_DEP_1) | instskip(NEXT) | instid1(VALU_DEP_1)
	v_cndmask_b32_e64 v55, v55, 0, s10
	v_add_nc_u32_e32 v54, v55, v54
	s_delay_alu instid0(VALU_DEP_1) | instskip(NEXT) | instid1(VALU_DEP_1)
	v_mov_b32_dpp v55, v54 row_shr:2 row_mask:0xf bank_mask:0xf
	v_cndmask_b32_e64 v55, 0, v55, s11
	s_delay_alu instid0(VALU_DEP_1) | instskip(NEXT) | instid1(VALU_DEP_1)
	v_add_nc_u32_e32 v54, v54, v55
	v_mov_b32_dpp v55, v54 row_shr:4 row_mask:0xf bank_mask:0xf
	s_delay_alu instid0(VALU_DEP_1) | instskip(NEXT) | instid1(VALU_DEP_1)
	v_cndmask_b32_e64 v55, 0, v55, s12
	v_add_nc_u32_e32 v54, v54, v55
	ds_store_b32 v20, v54
.LBB30_24:                              ;   in Loop: Header=BB30_4 Depth=2
	s_or_b32 exec_lo, exec_lo, s13
	v_mov_b32_e32 v54, 0
	s_waitcnt lgkmcnt(0)
	s_barrier
	buffer_gl0_inv
	s_and_saveexec_b32 s13, s7
	s_cbranch_execz .LBB30_26
; %bb.25:                               ;   in Loop: Header=BB30_4 Depth=2
	ds_load_b32 v54, v21
.LBB30_26:                              ;   in Loop: Header=BB30_4 Depth=2
	s_or_b32 exec_lo, exec_lo, s13
	s_waitcnt lgkmcnt(0)
	v_add_nc_u32_e32 v3, v54, v3
	s_cmp_gt_u32 s16, 23
	ds_bpermute_b32 v3, v18, v3
	s_waitcnt lgkmcnt(0)
	v_cndmask_b32_e64 v3, v3, v54, s8
	s_delay_alu instid0(VALU_DEP_1) | instskip(NEXT) | instid1(VALU_DEP_1)
	v_cndmask_b32_e64 v3, v3, 0, s9
	v_add_nc_u32_e32 v4, v3, v4
	s_delay_alu instid0(VALU_DEP_1) | instskip(NEXT) | instid1(VALU_DEP_1)
	v_add_nc_u32_e32 v5, v4, v5
	v_add_nc_u32_e32 v6, v5, v6
	s_delay_alu instid0(VALU_DEP_1) | instskip(NEXT) | instid1(VALU_DEP_1)
	v_add_nc_u32_e32 v54, v6, v7
	;; [unrolled: 3-line block ×3, first 2 shown]
	v_add_nc_u32_e32 v1, v0, v2
	ds_store_2addr_b64 v13, v[3:4], v[5:6] offset0:4 offset1:5
	ds_store_2addr_b64 v16, v[54:55], v[0:1] offset0:2 offset1:3
	s_waitcnt lgkmcnt(0)
	s_barrier
	buffer_gl0_inv
	ds_load_b32 v0, v32
	ds_load_b32 v1, v35
	;; [unrolled: 1-line block ×8, first 2 shown]
	s_waitcnt lgkmcnt(7)
	v_add_nc_u32_e32 v41, v0, v31
	s_waitcnt lgkmcnt(6)
	v_add3_u32 v38, v34, v33, v1
	s_waitcnt lgkmcnt(5)
	v_add3_u32 v36, v37, v36, v2
	;; [unrolled: 2-line block ×7, first 2 shown]
	s_cbranch_scc0 .LBB30_3
; %bb.27:                               ;   in Loop: Header=BB30_2 Depth=1
                                        ; implicit-def: $vgpr7
                                        ; implicit-def: $vgpr5
                                        ; implicit-def: $vgpr3
                                        ; implicit-def: $vgpr1
                                        ; implicit-def: $sgpr16
	s_branch .LBB30_1
.LBB30_28:
	v_lshlrev_b32_e32 v0, 2, v8
	s_add_u32 s0, s18, s14
	s_addc_u32 s1, s19, s15
	s_delay_alu instid0(VALU_DEP_1) | instskip(NEXT) | instid1(VALU_DEP_1)
	v_add_co_u32 v8, s2, s0, v0
	v_add_co_ci_u32_e64 v9, null, s1, 0, s2
	s_delay_alu instid0(VALU_DEP_2) | instskip(NEXT) | instid1(VALU_DEP_2)
	v_add_co_u32 v8, vcc_lo, 0x1000, v8
	v_add_co_ci_u32_e32 v9, vcc_lo, 0, v9, vcc_lo
	s_clause 0x7
	global_store_b32 v0, v2, s[0:1]
	global_store_b32 v0, v3, s[0:1] offset:1024
	global_store_b32 v0, v4, s[0:1] offset:2048
	;; [unrolled: 1-line block ×3, first 2 shown]
	global_store_b32 v[8:9], v6, off
	global_store_b32 v[8:9], v7, off offset:1024
	global_store_b32 v[8:9], v23, off offset:2048
	global_store_b32 v[8:9], v1, off offset:3072
	s_nop 0
	s_sendmsg sendmsg(MSG_DEALLOC_VGPRS)
	s_endpgm
	.section	.rodata,"a",@progbits
	.p2align	6, 0x0
	.amdhsa_kernel _Z16sort_keys_kernelI22helper_blocked_blockediLj256ELj8ELj10EEvPKT0_PS1_
		.amdhsa_group_segment_fixed_size 8224
		.amdhsa_private_segment_fixed_size 0
		.amdhsa_kernarg_size 272
		.amdhsa_user_sgpr_count 15
		.amdhsa_user_sgpr_dispatch_ptr 0
		.amdhsa_user_sgpr_queue_ptr 0
		.amdhsa_user_sgpr_kernarg_segment_ptr 1
		.amdhsa_user_sgpr_dispatch_id 0
		.amdhsa_user_sgpr_private_segment_size 0
		.amdhsa_wavefront_size32 1
		.amdhsa_uses_dynamic_stack 0
		.amdhsa_enable_private_segment 0
		.amdhsa_system_sgpr_workgroup_id_x 1
		.amdhsa_system_sgpr_workgroup_id_y 0
		.amdhsa_system_sgpr_workgroup_id_z 0
		.amdhsa_system_sgpr_workgroup_info 0
		.amdhsa_system_vgpr_workitem_id 2
		.amdhsa_next_free_vgpr 56
		.amdhsa_next_free_sgpr 22
		.amdhsa_reserve_vcc 1
		.amdhsa_float_round_mode_32 0
		.amdhsa_float_round_mode_16_64 0
		.amdhsa_float_denorm_mode_32 3
		.amdhsa_float_denorm_mode_16_64 3
		.amdhsa_dx10_clamp 1
		.amdhsa_ieee_mode 1
		.amdhsa_fp16_overflow 0
		.amdhsa_workgroup_processor_mode 1
		.amdhsa_memory_ordered 1
		.amdhsa_forward_progress 0
		.amdhsa_shared_vgpr_count 0
		.amdhsa_exception_fp_ieee_invalid_op 0
		.amdhsa_exception_fp_denorm_src 0
		.amdhsa_exception_fp_ieee_div_zero 0
		.amdhsa_exception_fp_ieee_overflow 0
		.amdhsa_exception_fp_ieee_underflow 0
		.amdhsa_exception_fp_ieee_inexact 0
		.amdhsa_exception_int_div_zero 0
	.end_amdhsa_kernel
	.section	.text._Z16sort_keys_kernelI22helper_blocked_blockediLj256ELj8ELj10EEvPKT0_PS1_,"axG",@progbits,_Z16sort_keys_kernelI22helper_blocked_blockediLj256ELj8ELj10EEvPKT0_PS1_,comdat
.Lfunc_end30:
	.size	_Z16sort_keys_kernelI22helper_blocked_blockediLj256ELj8ELj10EEvPKT0_PS1_, .Lfunc_end30-_Z16sort_keys_kernelI22helper_blocked_blockediLj256ELj8ELj10EEvPKT0_PS1_
                                        ; -- End function
	.section	.AMDGPU.csdata,"",@progbits
; Kernel info:
; codeLenInByte = 4576
; NumSgprs: 24
; NumVgprs: 56
; ScratchSize: 0
; MemoryBound: 0
; FloatMode: 240
; IeeeMode: 1
; LDSByteSize: 8224 bytes/workgroup (compile time only)
; SGPRBlocks: 2
; VGPRBlocks: 6
; NumSGPRsForWavesPerEU: 24
; NumVGPRsForWavesPerEU: 56
; Occupancy: 16
; WaveLimiterHint : 1
; COMPUTE_PGM_RSRC2:SCRATCH_EN: 0
; COMPUTE_PGM_RSRC2:USER_SGPR: 15
; COMPUTE_PGM_RSRC2:TRAP_HANDLER: 0
; COMPUTE_PGM_RSRC2:TGID_X_EN: 1
; COMPUTE_PGM_RSRC2:TGID_Y_EN: 0
; COMPUTE_PGM_RSRC2:TGID_Z_EN: 0
; COMPUTE_PGM_RSRC2:TIDIG_COMP_CNT: 2
	.section	.text._Z17sort_pairs_kernelI22helper_blocked_blockediLj256ELj8ELj10EEvPKT0_PS1_,"axG",@progbits,_Z17sort_pairs_kernelI22helper_blocked_blockediLj256ELj8ELj10EEvPKT0_PS1_,comdat
	.protected	_Z17sort_pairs_kernelI22helper_blocked_blockediLj256ELj8ELj10EEvPKT0_PS1_ ; -- Begin function _Z17sort_pairs_kernelI22helper_blocked_blockediLj256ELj8ELj10EEvPKT0_PS1_
	.globl	_Z17sort_pairs_kernelI22helper_blocked_blockediLj256ELj8ELj10EEvPKT0_PS1_
	.p2align	8
	.type	_Z17sort_pairs_kernelI22helper_blocked_blockediLj256ELj8ELj10EEvPKT0_PS1_,@function
_Z17sort_pairs_kernelI22helper_blocked_blockediLj256ELj8ELj10EEvPKT0_PS1_: ; @_Z17sort_pairs_kernelI22helper_blocked_blockediLj256ELj8ELj10EEvPKT0_PS1_
; %bb.0:
	s_clause 0x1
	s_load_b128 s[16:19], s[0:1], 0x0
	s_load_b32 s12, s[0:1], 0x1c
	v_and_b32_e32 v8, 0x3ff, v0
	s_mov_b32 s21, 0
	s_lshl_b32 s20, s15, 11
	s_delay_alu instid0(SALU_CYCLE_1) | instskip(NEXT) | instid1(VALU_DEP_1)
	s_lshl_b64 s[14:15], s[20:21], 2
	v_lshlrev_b32_e32 v3, 2, v8
	s_mov_b32 s20, s21
	s_delay_alu instid0(SALU_CYCLE_1) | instskip(SKIP_4) | instid1(VALU_DEP_1)
	v_dual_mov_b32 v11, s20 :: v_dual_mov_b32 v12, s21
	s_waitcnt lgkmcnt(0)
	s_add_u32 s0, s16, s14
	s_addc_u32 s1, s17, s15
	v_add_co_u32 v1, s2, s0, v3
	v_add_co_ci_u32_e64 v2, null, s1, 0, s2
	s_lshr_b32 s13, s12, 16
	s_delay_alu instid0(VALU_DEP_2) | instskip(NEXT) | instid1(VALU_DEP_2)
	v_add_co_u32 v1, vcc_lo, 0x1000, v1
	v_add_co_ci_u32_e32 v2, vcc_lo, 0, v2, vcc_lo
	s_clause 0x7
	global_load_b32 v15, v3, s[0:1]
	global_load_b32 v16, v3, s[0:1] offset:1024
	global_load_b32 v17, v3, s[0:1] offset:2048
	;; [unrolled: 1-line block ×3, first 2 shown]
	global_load_b32 v19, v[1:2], off
	global_load_b32 v20, v[1:2], off offset:1024
	global_load_b32 v14, v[1:2], off offset:2048
	;; [unrolled: 1-line block ×3, first 2 shown]
	v_mbcnt_lo_u32_b32 v1, -1, 0
	v_bfe_u32 v2, v0, 10, 10
	v_bfe_u32 v0, v0, 20, 10
	s_mov_b32 s1, s21
	s_mov_b32 s0, s21
	v_dual_mov_b32 v10, s1 :: v_dual_add_nc_u32 v5, -1, v1
	v_dual_mov_b32 v9, s0 :: v_dual_and_b32 v4, 16, v1
	v_and_b32_e32 v3, 15, v1
	v_and_b32_e32 v6, 7, v1
	v_lshlrev_b32_e32 v7, 3, v8
	v_and_b32_e32 v23, 0xe0, v8
	v_cmp_gt_i32_e32 vcc_lo, 0, v5
	v_mad_u32_u24 v2, v0, s13, v2
	v_lshlrev_b32_e32 v21, 5, v8
	v_cmp_eq_u32_e64 s5, 0, v4
	v_lshrrev_b32_e32 v4, 3, v8
	s_and_b32 s12, s12, 0xffff
	v_cmp_eq_u32_e64 s0, 0, v1
	v_cmp_eq_u32_e64 s1, 0, v3
	v_cmp_lt_u32_e64 s2, 1, v3
	v_cmp_lt_u32_e64 s3, 3, v3
	;; [unrolled: 1-line block ×3, first 2 shown]
	v_dual_cndmask_b32 v3, v5, v1 :: v_dual_and_b32 v24, 28, v4
	v_cmp_eq_u32_e64 s9, 0, v6
	v_cmp_lt_u32_e64 s10, 1, v6
	v_cmp_lt_u32_e64 s11, 3, v6
	v_or_b32_e32 v5, v1, v23
	v_and_or_b32 v6, 0x700, v7, v1
	v_mad_u64_u32 v[0:1], null, v2, s12, v[8:9]
	v_mul_u32_u24_e32 v30, 28, v8
	v_or_b32_e32 v7, 31, v23
	v_mad_i32_i24 v25, 0xffffffe4, v8, v21
	v_cmp_gt_u32_e64 s6, 8, v8
	v_cmp_lt_u32_e64 s7, 31, v8
	v_cmp_eq_u32_e64 s8, 0, v8
	v_add_nc_u32_e32 v22, 32, v21
	v_lshlrev_b32_e32 v23, 2, v3
	v_lshlrev_b32_e32 v26, 5, v5
	;; [unrolled: 1-line block ×3, first 2 shown]
	v_cmp_eq_u32_e64 s12, v7, v8
	v_add_nc_u32_e32 v28, -4, v24
	v_lshrrev_b32_e32 v29, 5, v0
	v_add_nc_u32_e32 v30, v25, v30
	s_waitcnt vmcnt(7)
	v_add_nc_u32_e32 v4, 1, v15
	s_waitcnt vmcnt(6)
	;; [unrolled: 2-line block ×8, first 2 shown]
	v_add_nc_u32_e32 v3, 1, v13
	s_branch .LBB31_2
.LBB31_1:                               ;   in Loop: Header=BB31_2 Depth=1
	v_lshlrev_b32_e32 v0, 2, v59
	v_lshlrev_b32_e32 v3, 2, v52
	v_lshlrev_b32_e32 v1, 2, v58
	v_lshlrev_b32_e32 v4, 2, v50
	v_lshlrev_b32_e32 v2, 2, v55
	v_lshlrev_b32_e32 v5, 2, v49
	v_lshlrev_b32_e32 v6, 2, v48
	v_lshlrev_b32_e32 v7, 2, v47
	s_barrier
	buffer_gl0_inv
	ds_store_b32 v0, v33
	ds_store_b32 v1, v46
	;; [unrolled: 1-line block ×8, first 2 shown]
	s_waitcnt lgkmcnt(0)
	s_barrier
	buffer_gl0_inv
	ds_load_2addr_b64 v[15:18], v30 offset1:1
	ds_load_2addr_b64 v[31:34], v30 offset0:2 offset1:3
	s_waitcnt lgkmcnt(0)
	s_barrier
	buffer_gl0_inv
	ds_store_b32 v0, v44
	ds_store_b32 v1, v43
	;; [unrolled: 1-line block ×8, first 2 shown]
	s_waitcnt lgkmcnt(0)
	s_barrier
	buffer_gl0_inv
	ds_load_2addr_b64 v[4:7], v30 offset1:1
	ds_load_2addr_b64 v[0:3], v30 offset0:2 offset1:3
	s_add_i32 s21, s21, 1
	s_delay_alu instid0(SALU_CYCLE_1)
	s_cmp_eq_u32 s21, 10
	v_xor_b32_e32 v15, 0x80000000, v15
	v_xor_b32_e32 v16, 0x80000000, v16
	;; [unrolled: 1-line block ×8, first 2 shown]
	s_cbranch_scc1 .LBB31_28
.LBB31_2:                               ; =>This Loop Header: Depth=1
                                        ;     Child Loop BB31_4 Depth 2
	v_xor_b32_e32 v15, 0x80000000, v15
	v_xor_b32_e32 v16, 0x80000000, v16
	v_xor_b32_e32 v17, 0x80000000, v17
	v_xor_b32_e32 v18, 0x80000000, v18
	v_xor_b32_e32 v19, 0x80000000, v19
	v_xor_b32_e32 v20, 0x80000000, v20
	v_xor_b32_e32 v31, 0x80000000, v14
	v_xor_b32_e32 v32, 0x80000000, v13
	ds_store_2addr_b64 v26, v[15:16], v[17:18] offset1:1
	ds_store_2addr_b64 v26, v[19:20], v[31:32] offset0:2 offset1:3
	; wave barrier
	ds_load_2addr_b32 v[13:14], v27 offset1:32
	ds_load_2addr_b32 v[15:16], v27 offset0:64 offset1:96
	ds_load_2addr_b32 v[17:18], v27 offset0:128 offset1:160
	;; [unrolled: 1-line block ×3, first 2 shown]
	; wave barrier
	s_waitcnt lgkmcnt(7)
	ds_store_2addr_b64 v26, v[4:5], v[6:7] offset1:1
	s_waitcnt lgkmcnt(7)
	ds_store_2addr_b64 v26, v[0:1], v[2:3] offset0:2 offset1:3
	; wave barrier
	ds_load_2addr_b32 v[0:1], v27 offset1:32
	ds_load_2addr_b32 v[2:3], v27 offset0:64 offset1:96
	ds_load_2addr_b32 v[4:5], v27 offset0:128 offset1:160
	;; [unrolled: 1-line block ×3, first 2 shown]
	s_mov_b32 s16, 0
	s_waitcnt lgkmcnt(0)
	s_barrier
	s_branch .LBB31_4
.LBB31_3:                               ;   in Loop: Header=BB31_4 Depth=2
	v_lshlrev_b32_e32 v0, 2, v59
	v_lshlrev_b32_e32 v3, 2, v52
	;; [unrolled: 1-line block ×8, first 2 shown]
	s_barrier
	buffer_gl0_inv
	ds_store_b32 v0, v33
	ds_store_b32 v1, v46
	;; [unrolled: 1-line block ×8, first 2 shown]
	s_waitcnt lgkmcnt(0)
	s_barrier
	buffer_gl0_inv
	ds_load_2addr_b32 v[13:14], v27 offset1:32
	ds_load_2addr_b32 v[15:16], v27 offset0:64 offset1:96
	ds_load_2addr_b32 v[17:18], v27 offset0:128 offset1:160
	;; [unrolled: 1-line block ×3, first 2 shown]
	s_waitcnt lgkmcnt(0)
	s_barrier
	buffer_gl0_inv
	ds_store_b32 v0, v44
	ds_store_b32 v1, v43
	;; [unrolled: 1-line block ×8, first 2 shown]
	s_waitcnt lgkmcnt(0)
	s_barrier
	buffer_gl0_inv
	ds_load_2addr_b32 v[0:1], v27 offset1:32
	ds_load_2addr_b32 v[2:3], v27 offset0:64 offset1:96
	ds_load_2addr_b32 v[4:5], v27 offset0:128 offset1:160
	;; [unrolled: 1-line block ×3, first 2 shown]
	s_add_i32 s16, s16, 8
	s_waitcnt lgkmcnt(0)
	s_barrier
	s_cbranch_execz .LBB31_1
.LBB31_4:                               ;   Parent Loop BB31_2 Depth=1
                                        ; =>  This Inner Loop Header: Depth=2
	v_dual_mov_b32 v33, v13 :: v_dual_mov_b32 v32, v19
	v_dual_mov_b32 v31, v20 :: v_dual_mov_b32 v34, v18
	buffer_gl0_inv
	v_bfe_u32 v13, v33, s16, 1
	v_lshrrev_b32_e32 v18, s16, v33
	v_mov_b32_e32 v35, v17
	ds_store_2addr_b64 v21, v[11:12], v[9:10] offset0:4 offset1:5
	ds_store_2addr_b64 v22, v[11:12], v[9:10] offset0:2 offset1:3
	s_waitcnt lgkmcnt(0)
	v_add_co_u32 v13, s13, v13, -1
	v_lshlrev_b32_e32 v20, 29, v18
	v_cndmask_b32_e64 v17, 0, 1, s13
	v_dual_mov_b32 v46, v14 :: v_dual_lshlrev_b32 v19, 30, v18
	v_dual_mov_b32 v41, v16 :: v_dual_lshlrev_b32 v36, 28, v18
	s_delay_alu instid0(VALU_DEP_3) | instskip(NEXT) | instid1(VALU_DEP_3)
	v_cmp_ne_u32_e32 vcc_lo, 0, v17
	v_not_b32_e32 v17, v19
	v_cmp_gt_i32_e64 s13, 0, v19
	v_not_b32_e32 v19, v20
	v_lshlrev_b32_e32 v37, 27, v18
	v_xor_b32_e32 v13, vcc_lo, v13
	v_ashrrev_i32_e32 v17, 31, v17
	v_cmp_gt_i32_e32 vcc_lo, 0, v20
	v_not_b32_e32 v20, v36
	v_ashrrev_i32_e32 v19, 31, v19
	v_and_b32_e32 v13, exec_lo, v13
	v_xor_b32_e32 v17, s13, v17
	v_dual_mov_b32 v45, v15 :: v_dual_lshlrev_b32 v38, 26, v18
	v_cmp_gt_i32_e64 s13, 0, v36
	v_not_b32_e32 v36, v37
	v_ashrrev_i32_e32 v20, 31, v20
	v_xor_b32_e32 v19, vcc_lo, v19
	v_dual_mov_b32 v40, v3 :: v_dual_and_b32 v13, v13, v17
	v_cmp_gt_i32_e32 vcc_lo, 0, v37
	v_not_b32_e32 v17, v38
	v_ashrrev_i32_e32 v36, 31, v36
	v_xor_b32_e32 v20, s13, v20
	v_dual_mov_b32 v42, v2 :: v_dual_and_b32 v13, v13, v19
	v_dual_mov_b32 v44, v0 :: v_dual_lshlrev_b32 v19, 25, v18
	v_cmp_gt_i32_e64 s13, 0, v38
	v_ashrrev_i32_e32 v17, 31, v17
	v_xor_b32_e32 v36, vcc_lo, v36
	v_and_b32_e32 v13, v13, v20
	v_not_b32_e32 v20, v19
	v_dual_mov_b32 v37, v6 :: v_dual_lshlrev_b32 v18, 24, v18
	v_cmp_gt_i32_e32 vcc_lo, 0, v19
	v_xor_b32_e32 v17, s13, v17
	v_and_b32_e32 v13, v13, v36
	v_ashrrev_i32_e32 v19, 31, v20
	v_not_b32_e32 v16, v18
	v_dual_mov_b32 v36, v7 :: v_dual_mov_b32 v39, v4
	s_delay_alu instid0(VALU_DEP_4) | instskip(NEXT) | instid1(VALU_DEP_4)
	v_and_b32_e32 v13, v13, v17
	v_xor_b32_e32 v15, vcc_lo, v19
	v_cmp_gt_i32_e32 vcc_lo, 0, v18
	v_ashrrev_i32_e32 v16, 31, v16
	v_bfe_u32 v0, v33, s16, 8
	v_mov_b32_e32 v43, v1
	v_and_b32_e32 v6, v13, v15
	v_mov_b32_e32 v38, v5
	v_xor_b32_e32 v7, vcc_lo, v16
	v_lshl_add_u32 v0, v0, 3, v29
	s_barrier
	buffer_gl0_inv
	v_and_b32_e32 v2, v6, v7
	v_lshl_add_u32 v14, v0, 2, 32
	; wave barrier
	s_delay_alu instid0(VALU_DEP_2) | instskip(SKIP_1) | instid1(VALU_DEP_2)
	v_mbcnt_lo_u32_b32 v13, v2, 0
	v_cmp_ne_u32_e64 s13, 0, v2
	v_cmp_eq_u32_e32 vcc_lo, 0, v13
	s_delay_alu instid0(VALU_DEP_2) | instskip(NEXT) | instid1(SALU_CYCLE_1)
	s_and_b32 s17, s13, vcc_lo
	s_and_saveexec_b32 s13, s17
	s_cbranch_execz .LBB31_6
; %bb.5:                                ;   in Loop: Header=BB31_4 Depth=2
	v_bcnt_u32_b32 v0, v2, 0
	ds_store_b32 v14, v0
.LBB31_6:                               ;   in Loop: Header=BB31_4 Depth=2
	s_or_b32 exec_lo, exec_lo, s13
	v_bfe_u32 v0, v46, s16, 1
	v_lshrrev_b32_e32 v1, s16, v46
	; wave barrier
	s_delay_alu instid0(VALU_DEP_2) | instskip(NEXT) | instid1(VALU_DEP_1)
	v_add_co_u32 v0, s13, v0, -1
	v_cndmask_b32_e64 v2, 0, 1, s13
	s_delay_alu instid0(VALU_DEP_3)
	v_lshlrev_b32_e32 v3, 30, v1
	v_lshlrev_b32_e32 v4, 29, v1
	;; [unrolled: 1-line block ×4, first 2 shown]
	v_cmp_ne_u32_e32 vcc_lo, 0, v2
	v_not_b32_e32 v2, v3
	v_cmp_gt_i32_e64 s13, 0, v3
	v_not_b32_e32 v3, v4
	v_lshlrev_b32_e32 v7, 26, v1
	v_xor_b32_e32 v0, vcc_lo, v0
	v_ashrrev_i32_e32 v2, 31, v2
	v_cmp_gt_i32_e32 vcc_lo, 0, v4
	v_not_b32_e32 v4, v5
	v_ashrrev_i32_e32 v3, 31, v3
	v_and_b32_e32 v0, exec_lo, v0
	v_xor_b32_e32 v2, s13, v2
	v_cmp_gt_i32_e64 s13, 0, v5
	v_not_b32_e32 v5, v6
	v_ashrrev_i32_e32 v4, 31, v4
	v_xor_b32_e32 v3, vcc_lo, v3
	v_and_b32_e32 v0, v0, v2
	v_cmp_gt_i32_e32 vcc_lo, 0, v6
	v_not_b32_e32 v2, v7
	v_ashrrev_i32_e32 v5, 31, v5
	v_xor_b32_e32 v4, s13, v4
	v_and_b32_e32 v0, v0, v3
	v_lshlrev_b32_e32 v3, 25, v1
	v_cmp_gt_i32_e64 s13, 0, v7
	v_ashrrev_i32_e32 v2, 31, v2
	v_xor_b32_e32 v5, vcc_lo, v5
	v_and_b32_e32 v0, v0, v4
	v_not_b32_e32 v6, v3
	v_lshlrev_b32_e32 v1, 24, v1
	v_bfe_u32 v4, v46, s16, 8
	v_xor_b32_e32 v2, s13, v2
	v_and_b32_e32 v0, v0, v5
	v_cmp_gt_i32_e32 vcc_lo, 0, v3
	v_ashrrev_i32_e32 v3, 31, v6
	v_not_b32_e32 v5, v1
	v_lshlrev_b32_e32 v4, 3, v4
	v_and_b32_e32 v0, v0, v2
	s_delay_alu instid0(VALU_DEP_4) | instskip(SKIP_3) | instid1(VALU_DEP_4)
	v_xor_b32_e32 v2, vcc_lo, v3
	v_cmp_gt_i32_e32 vcc_lo, 0, v1
	v_ashrrev_i32_e32 v1, 31, v5
	v_add_lshl_u32 v3, v4, v29, 2
	v_and_b32_e32 v0, v0, v2
	s_delay_alu instid0(VALU_DEP_3) | instskip(SKIP_3) | instid1(VALU_DEP_1)
	v_xor_b32_e32 v1, vcc_lo, v1
	ds_load_b32 v15, v3 offset:32
	v_add_nc_u32_e32 v17, 32, v3
	; wave barrier
	v_and_b32_e32 v0, v0, v1
	v_mbcnt_lo_u32_b32 v16, v0, 0
	v_cmp_ne_u32_e64 s13, 0, v0
	s_delay_alu instid0(VALU_DEP_2) | instskip(NEXT) | instid1(VALU_DEP_2)
	v_cmp_eq_u32_e32 vcc_lo, 0, v16
	s_and_b32 s17, s13, vcc_lo
	s_delay_alu instid0(SALU_CYCLE_1)
	s_and_saveexec_b32 s13, s17
	s_cbranch_execz .LBB31_8
; %bb.7:                                ;   in Loop: Header=BB31_4 Depth=2
	s_waitcnt lgkmcnt(0)
	v_bcnt_u32_b32 v0, v0, v15
	ds_store_b32 v17, v0
.LBB31_8:                               ;   in Loop: Header=BB31_4 Depth=2
	s_or_b32 exec_lo, exec_lo, s13
	v_bfe_u32 v0, v45, s16, 1
	v_lshrrev_b32_e32 v1, s16, v45
	; wave barrier
	s_delay_alu instid0(VALU_DEP_2) | instskip(NEXT) | instid1(VALU_DEP_1)
	v_add_co_u32 v0, s13, v0, -1
	v_cndmask_b32_e64 v2, 0, 1, s13
	s_delay_alu instid0(VALU_DEP_3)
	v_lshlrev_b32_e32 v3, 30, v1
	v_lshlrev_b32_e32 v4, 29, v1
	;; [unrolled: 1-line block ×4, first 2 shown]
	v_cmp_ne_u32_e32 vcc_lo, 0, v2
	v_not_b32_e32 v2, v3
	v_cmp_gt_i32_e64 s13, 0, v3
	v_not_b32_e32 v3, v4
	v_lshlrev_b32_e32 v7, 26, v1
	v_xor_b32_e32 v0, vcc_lo, v0
	v_ashrrev_i32_e32 v2, 31, v2
	v_cmp_gt_i32_e32 vcc_lo, 0, v4
	v_not_b32_e32 v4, v5
	v_ashrrev_i32_e32 v3, 31, v3
	v_and_b32_e32 v0, exec_lo, v0
	v_xor_b32_e32 v2, s13, v2
	v_cmp_gt_i32_e64 s13, 0, v5
	v_not_b32_e32 v5, v6
	v_ashrrev_i32_e32 v4, 31, v4
	v_xor_b32_e32 v3, vcc_lo, v3
	v_and_b32_e32 v0, v0, v2
	v_cmp_gt_i32_e32 vcc_lo, 0, v6
	v_not_b32_e32 v2, v7
	v_ashrrev_i32_e32 v5, 31, v5
	v_xor_b32_e32 v4, s13, v4
	v_and_b32_e32 v0, v0, v3
	v_lshlrev_b32_e32 v3, 25, v1
	v_cmp_gt_i32_e64 s13, 0, v7
	v_ashrrev_i32_e32 v2, 31, v2
	v_xor_b32_e32 v5, vcc_lo, v5
	v_and_b32_e32 v0, v0, v4
	v_not_b32_e32 v6, v3
	v_lshlrev_b32_e32 v1, 24, v1
	v_bfe_u32 v4, v45, s16, 8
	v_xor_b32_e32 v2, s13, v2
	v_and_b32_e32 v0, v0, v5
	v_cmp_gt_i32_e32 vcc_lo, 0, v3
	v_ashrrev_i32_e32 v3, 31, v6
	v_not_b32_e32 v5, v1
	v_lshlrev_b32_e32 v4, 3, v4
	v_and_b32_e32 v0, v0, v2
	s_delay_alu instid0(VALU_DEP_4) | instskip(SKIP_3) | instid1(VALU_DEP_4)
	v_xor_b32_e32 v2, vcc_lo, v3
	v_cmp_gt_i32_e32 vcc_lo, 0, v1
	v_ashrrev_i32_e32 v1, 31, v5
	v_add_lshl_u32 v3, v4, v29, 2
	v_and_b32_e32 v0, v0, v2
	s_delay_alu instid0(VALU_DEP_3) | instskip(SKIP_3) | instid1(VALU_DEP_1)
	v_xor_b32_e32 v1, vcc_lo, v1
	ds_load_b32 v18, v3 offset:32
	v_add_nc_u32_e32 v20, 32, v3
	; wave barrier
	v_and_b32_e32 v0, v0, v1
	v_mbcnt_lo_u32_b32 v19, v0, 0
	v_cmp_ne_u32_e64 s13, 0, v0
	s_delay_alu instid0(VALU_DEP_2) | instskip(NEXT) | instid1(VALU_DEP_2)
	v_cmp_eq_u32_e32 vcc_lo, 0, v19
	s_and_b32 s17, s13, vcc_lo
	s_delay_alu instid0(SALU_CYCLE_1)
	s_and_saveexec_b32 s13, s17
	s_cbranch_execz .LBB31_10
; %bb.9:                                ;   in Loop: Header=BB31_4 Depth=2
	s_waitcnt lgkmcnt(0)
	v_bcnt_u32_b32 v0, v0, v18
	ds_store_b32 v20, v0
.LBB31_10:                              ;   in Loop: Header=BB31_4 Depth=2
	s_or_b32 exec_lo, exec_lo, s13
	v_bfe_u32 v0, v41, s16, 1
	v_lshrrev_b32_e32 v1, s16, v41
	; wave barrier
	s_delay_alu instid0(VALU_DEP_2) | instskip(NEXT) | instid1(VALU_DEP_1)
	v_add_co_u32 v0, s13, v0, -1
	v_cndmask_b32_e64 v2, 0, 1, s13
	s_delay_alu instid0(VALU_DEP_3)
	v_lshlrev_b32_e32 v3, 30, v1
	v_lshlrev_b32_e32 v4, 29, v1
	v_lshlrev_b32_e32 v5, 28, v1
	v_lshlrev_b32_e32 v6, 27, v1
	v_cmp_ne_u32_e32 vcc_lo, 0, v2
	v_not_b32_e32 v2, v3
	v_cmp_gt_i32_e64 s13, 0, v3
	v_not_b32_e32 v3, v4
	v_lshlrev_b32_e32 v7, 26, v1
	v_xor_b32_e32 v0, vcc_lo, v0
	v_ashrrev_i32_e32 v2, 31, v2
	v_cmp_gt_i32_e32 vcc_lo, 0, v4
	v_not_b32_e32 v4, v5
	v_ashrrev_i32_e32 v3, 31, v3
	v_and_b32_e32 v0, exec_lo, v0
	v_xor_b32_e32 v2, s13, v2
	v_cmp_gt_i32_e64 s13, 0, v5
	v_not_b32_e32 v5, v6
	v_ashrrev_i32_e32 v4, 31, v4
	v_xor_b32_e32 v3, vcc_lo, v3
	v_and_b32_e32 v0, v0, v2
	v_cmp_gt_i32_e32 vcc_lo, 0, v6
	v_not_b32_e32 v2, v7
	v_ashrrev_i32_e32 v5, 31, v5
	v_xor_b32_e32 v4, s13, v4
	v_and_b32_e32 v0, v0, v3
	v_lshlrev_b32_e32 v3, 25, v1
	v_cmp_gt_i32_e64 s13, 0, v7
	v_ashrrev_i32_e32 v2, 31, v2
	v_xor_b32_e32 v5, vcc_lo, v5
	v_and_b32_e32 v0, v0, v4
	v_not_b32_e32 v6, v3
	v_lshlrev_b32_e32 v1, 24, v1
	v_bfe_u32 v4, v41, s16, 8
	v_xor_b32_e32 v2, s13, v2
	v_and_b32_e32 v0, v0, v5
	v_cmp_gt_i32_e32 vcc_lo, 0, v3
	v_ashrrev_i32_e32 v3, 31, v6
	v_not_b32_e32 v5, v1
	v_lshlrev_b32_e32 v4, 3, v4
	v_and_b32_e32 v0, v0, v2
	s_delay_alu instid0(VALU_DEP_4) | instskip(SKIP_3) | instid1(VALU_DEP_4)
	v_xor_b32_e32 v2, vcc_lo, v3
	v_cmp_gt_i32_e32 vcc_lo, 0, v1
	v_ashrrev_i32_e32 v1, 31, v5
	v_add_lshl_u32 v3, v4, v29, 2
	v_and_b32_e32 v0, v0, v2
	s_delay_alu instid0(VALU_DEP_3) | instskip(SKIP_3) | instid1(VALU_DEP_1)
	v_xor_b32_e32 v1, vcc_lo, v1
	ds_load_b32 v47, v3 offset:32
	v_add_nc_u32_e32 v49, 32, v3
	; wave barrier
	v_and_b32_e32 v0, v0, v1
	v_mbcnt_lo_u32_b32 v48, v0, 0
	v_cmp_ne_u32_e64 s13, 0, v0
	s_delay_alu instid0(VALU_DEP_2) | instskip(NEXT) | instid1(VALU_DEP_2)
	v_cmp_eq_u32_e32 vcc_lo, 0, v48
	s_and_b32 s17, s13, vcc_lo
	s_delay_alu instid0(SALU_CYCLE_1)
	s_and_saveexec_b32 s13, s17
	s_cbranch_execz .LBB31_12
; %bb.11:                               ;   in Loop: Header=BB31_4 Depth=2
	s_waitcnt lgkmcnt(0)
	v_bcnt_u32_b32 v0, v0, v47
	ds_store_b32 v49, v0
.LBB31_12:                              ;   in Loop: Header=BB31_4 Depth=2
	s_or_b32 exec_lo, exec_lo, s13
	v_bfe_u32 v0, v35, s16, 1
	v_lshrrev_b32_e32 v1, s16, v35
	; wave barrier
	s_delay_alu instid0(VALU_DEP_2) | instskip(NEXT) | instid1(VALU_DEP_1)
	v_add_co_u32 v0, s13, v0, -1
	v_cndmask_b32_e64 v2, 0, 1, s13
	s_delay_alu instid0(VALU_DEP_3)
	v_lshlrev_b32_e32 v3, 30, v1
	v_lshlrev_b32_e32 v4, 29, v1
	;; [unrolled: 1-line block ×4, first 2 shown]
	v_cmp_ne_u32_e32 vcc_lo, 0, v2
	v_not_b32_e32 v2, v3
	v_cmp_gt_i32_e64 s13, 0, v3
	v_not_b32_e32 v3, v4
	v_lshlrev_b32_e32 v7, 26, v1
	v_xor_b32_e32 v0, vcc_lo, v0
	v_ashrrev_i32_e32 v2, 31, v2
	v_cmp_gt_i32_e32 vcc_lo, 0, v4
	v_not_b32_e32 v4, v5
	v_ashrrev_i32_e32 v3, 31, v3
	v_and_b32_e32 v0, exec_lo, v0
	v_xor_b32_e32 v2, s13, v2
	v_cmp_gt_i32_e64 s13, 0, v5
	v_not_b32_e32 v5, v6
	v_ashrrev_i32_e32 v4, 31, v4
	v_xor_b32_e32 v3, vcc_lo, v3
	v_and_b32_e32 v0, v0, v2
	v_cmp_gt_i32_e32 vcc_lo, 0, v6
	v_not_b32_e32 v2, v7
	v_ashrrev_i32_e32 v5, 31, v5
	v_xor_b32_e32 v4, s13, v4
	v_and_b32_e32 v0, v0, v3
	v_lshlrev_b32_e32 v3, 25, v1
	v_cmp_gt_i32_e64 s13, 0, v7
	v_ashrrev_i32_e32 v2, 31, v2
	v_xor_b32_e32 v5, vcc_lo, v5
	v_and_b32_e32 v0, v0, v4
	v_not_b32_e32 v6, v3
	v_lshlrev_b32_e32 v1, 24, v1
	v_bfe_u32 v4, v35, s16, 8
	v_xor_b32_e32 v2, s13, v2
	v_and_b32_e32 v0, v0, v5
	v_cmp_gt_i32_e32 vcc_lo, 0, v3
	v_ashrrev_i32_e32 v3, 31, v6
	v_not_b32_e32 v5, v1
	v_lshlrev_b32_e32 v4, 3, v4
	v_and_b32_e32 v0, v0, v2
	s_delay_alu instid0(VALU_DEP_4) | instskip(SKIP_3) | instid1(VALU_DEP_4)
	v_xor_b32_e32 v2, vcc_lo, v3
	v_cmp_gt_i32_e32 vcc_lo, 0, v1
	v_ashrrev_i32_e32 v1, 31, v5
	v_add_lshl_u32 v3, v4, v29, 2
	v_and_b32_e32 v0, v0, v2
	s_delay_alu instid0(VALU_DEP_3) | instskip(SKIP_3) | instid1(VALU_DEP_1)
	v_xor_b32_e32 v1, vcc_lo, v1
	ds_load_b32 v50, v3 offset:32
	v_add_nc_u32_e32 v52, 32, v3
	; wave barrier
	v_and_b32_e32 v0, v0, v1
	v_mbcnt_lo_u32_b32 v51, v0, 0
	v_cmp_ne_u32_e64 s13, 0, v0
	s_delay_alu instid0(VALU_DEP_2) | instskip(NEXT) | instid1(VALU_DEP_2)
	v_cmp_eq_u32_e32 vcc_lo, 0, v51
	s_and_b32 s17, s13, vcc_lo
	s_delay_alu instid0(SALU_CYCLE_1)
	s_and_saveexec_b32 s13, s17
	s_cbranch_execz .LBB31_14
; %bb.13:                               ;   in Loop: Header=BB31_4 Depth=2
	s_waitcnt lgkmcnt(0)
	v_bcnt_u32_b32 v0, v0, v50
	ds_store_b32 v52, v0
.LBB31_14:                              ;   in Loop: Header=BB31_4 Depth=2
	s_or_b32 exec_lo, exec_lo, s13
	v_bfe_u32 v0, v34, s16, 1
	v_lshrrev_b32_e32 v1, s16, v34
	; wave barrier
	s_delay_alu instid0(VALU_DEP_2) | instskip(NEXT) | instid1(VALU_DEP_1)
	v_add_co_u32 v0, s13, v0, -1
	v_cndmask_b32_e64 v2, 0, 1, s13
	s_delay_alu instid0(VALU_DEP_3)
	v_lshlrev_b32_e32 v3, 30, v1
	v_lshlrev_b32_e32 v4, 29, v1
	;; [unrolled: 1-line block ×4, first 2 shown]
	v_cmp_ne_u32_e32 vcc_lo, 0, v2
	v_not_b32_e32 v2, v3
	v_cmp_gt_i32_e64 s13, 0, v3
	v_not_b32_e32 v3, v4
	v_lshlrev_b32_e32 v7, 26, v1
	v_xor_b32_e32 v0, vcc_lo, v0
	v_ashrrev_i32_e32 v2, 31, v2
	v_cmp_gt_i32_e32 vcc_lo, 0, v4
	v_not_b32_e32 v4, v5
	v_ashrrev_i32_e32 v3, 31, v3
	v_and_b32_e32 v0, exec_lo, v0
	v_xor_b32_e32 v2, s13, v2
	v_cmp_gt_i32_e64 s13, 0, v5
	v_not_b32_e32 v5, v6
	v_ashrrev_i32_e32 v4, 31, v4
	v_xor_b32_e32 v3, vcc_lo, v3
	v_and_b32_e32 v0, v0, v2
	v_cmp_gt_i32_e32 vcc_lo, 0, v6
	v_not_b32_e32 v2, v7
	v_ashrrev_i32_e32 v5, 31, v5
	v_xor_b32_e32 v4, s13, v4
	v_and_b32_e32 v0, v0, v3
	v_lshlrev_b32_e32 v3, 25, v1
	v_cmp_gt_i32_e64 s13, 0, v7
	v_ashrrev_i32_e32 v2, 31, v2
	v_xor_b32_e32 v5, vcc_lo, v5
	v_and_b32_e32 v0, v0, v4
	v_not_b32_e32 v6, v3
	v_lshlrev_b32_e32 v1, 24, v1
	v_bfe_u32 v4, v34, s16, 8
	v_xor_b32_e32 v2, s13, v2
	v_and_b32_e32 v0, v0, v5
	v_cmp_gt_i32_e32 vcc_lo, 0, v3
	v_ashrrev_i32_e32 v3, 31, v6
	v_not_b32_e32 v5, v1
	v_lshlrev_b32_e32 v4, 3, v4
	v_and_b32_e32 v0, v0, v2
	s_delay_alu instid0(VALU_DEP_4) | instskip(SKIP_3) | instid1(VALU_DEP_4)
	v_xor_b32_e32 v2, vcc_lo, v3
	v_cmp_gt_i32_e32 vcc_lo, 0, v1
	v_ashrrev_i32_e32 v1, 31, v5
	v_add_lshl_u32 v3, v4, v29, 2
	v_and_b32_e32 v0, v0, v2
	s_delay_alu instid0(VALU_DEP_3) | instskip(SKIP_3) | instid1(VALU_DEP_1)
	v_xor_b32_e32 v1, vcc_lo, v1
	ds_load_b32 v53, v3 offset:32
	v_add_nc_u32_e32 v55, 32, v3
	; wave barrier
	v_and_b32_e32 v0, v0, v1
	v_mbcnt_lo_u32_b32 v54, v0, 0
	v_cmp_ne_u32_e64 s13, 0, v0
	s_delay_alu instid0(VALU_DEP_2) | instskip(NEXT) | instid1(VALU_DEP_2)
	v_cmp_eq_u32_e32 vcc_lo, 0, v54
	s_and_b32 s17, s13, vcc_lo
	s_delay_alu instid0(SALU_CYCLE_1)
	s_and_saveexec_b32 s13, s17
	s_cbranch_execz .LBB31_16
; %bb.15:                               ;   in Loop: Header=BB31_4 Depth=2
	s_waitcnt lgkmcnt(0)
	v_bcnt_u32_b32 v0, v0, v53
	ds_store_b32 v55, v0
.LBB31_16:                              ;   in Loop: Header=BB31_4 Depth=2
	s_or_b32 exec_lo, exec_lo, s13
	v_bfe_u32 v0, v32, s16, 1
	v_lshrrev_b32_e32 v1, s16, v32
	; wave barrier
	s_delay_alu instid0(VALU_DEP_2) | instskip(NEXT) | instid1(VALU_DEP_1)
	v_add_co_u32 v0, s13, v0, -1
	v_cndmask_b32_e64 v2, 0, 1, s13
	s_delay_alu instid0(VALU_DEP_3)
	v_lshlrev_b32_e32 v3, 30, v1
	v_lshlrev_b32_e32 v4, 29, v1
	;; [unrolled: 1-line block ×4, first 2 shown]
	v_cmp_ne_u32_e32 vcc_lo, 0, v2
	v_not_b32_e32 v2, v3
	v_cmp_gt_i32_e64 s13, 0, v3
	v_not_b32_e32 v3, v4
	v_lshlrev_b32_e32 v7, 26, v1
	v_xor_b32_e32 v0, vcc_lo, v0
	v_ashrrev_i32_e32 v2, 31, v2
	v_cmp_gt_i32_e32 vcc_lo, 0, v4
	v_not_b32_e32 v4, v5
	v_ashrrev_i32_e32 v3, 31, v3
	v_and_b32_e32 v0, exec_lo, v0
	v_xor_b32_e32 v2, s13, v2
	v_cmp_gt_i32_e64 s13, 0, v5
	v_not_b32_e32 v5, v6
	v_ashrrev_i32_e32 v4, 31, v4
	v_xor_b32_e32 v3, vcc_lo, v3
	v_and_b32_e32 v0, v0, v2
	v_cmp_gt_i32_e32 vcc_lo, 0, v6
	v_not_b32_e32 v2, v7
	v_ashrrev_i32_e32 v5, 31, v5
	v_xor_b32_e32 v4, s13, v4
	v_and_b32_e32 v0, v0, v3
	v_lshlrev_b32_e32 v3, 25, v1
	v_cmp_gt_i32_e64 s13, 0, v7
	v_ashrrev_i32_e32 v2, 31, v2
	v_xor_b32_e32 v5, vcc_lo, v5
	v_and_b32_e32 v0, v0, v4
	v_not_b32_e32 v6, v3
	v_lshlrev_b32_e32 v1, 24, v1
	v_bfe_u32 v4, v32, s16, 8
	v_xor_b32_e32 v2, s13, v2
	v_and_b32_e32 v0, v0, v5
	v_cmp_gt_i32_e32 vcc_lo, 0, v3
	v_ashrrev_i32_e32 v3, 31, v6
	v_not_b32_e32 v5, v1
	v_lshlrev_b32_e32 v4, 3, v4
	v_and_b32_e32 v0, v0, v2
	s_delay_alu instid0(VALU_DEP_4) | instskip(SKIP_3) | instid1(VALU_DEP_4)
	v_xor_b32_e32 v2, vcc_lo, v3
	v_cmp_gt_i32_e32 vcc_lo, 0, v1
	v_ashrrev_i32_e32 v1, 31, v5
	v_add_lshl_u32 v3, v4, v29, 2
	v_and_b32_e32 v0, v0, v2
	s_delay_alu instid0(VALU_DEP_3) | instskip(SKIP_3) | instid1(VALU_DEP_1)
	v_xor_b32_e32 v1, vcc_lo, v1
	ds_load_b32 v56, v3 offset:32
	v_add_nc_u32_e32 v58, 32, v3
	; wave barrier
	v_and_b32_e32 v0, v0, v1
	v_mbcnt_lo_u32_b32 v57, v0, 0
	v_cmp_ne_u32_e64 s13, 0, v0
	s_delay_alu instid0(VALU_DEP_2) | instskip(NEXT) | instid1(VALU_DEP_2)
	v_cmp_eq_u32_e32 vcc_lo, 0, v57
	s_and_b32 s17, s13, vcc_lo
	s_delay_alu instid0(SALU_CYCLE_1)
	s_and_saveexec_b32 s13, s17
	s_cbranch_execz .LBB31_18
; %bb.17:                               ;   in Loop: Header=BB31_4 Depth=2
	s_waitcnt lgkmcnt(0)
	v_bcnt_u32_b32 v0, v0, v56
	ds_store_b32 v58, v0
.LBB31_18:                              ;   in Loop: Header=BB31_4 Depth=2
	s_or_b32 exec_lo, exec_lo, s13
	v_bfe_u32 v0, v31, s16, 1
	v_lshrrev_b32_e32 v1, s16, v31
	; wave barrier
	s_delay_alu instid0(VALU_DEP_2) | instskip(NEXT) | instid1(VALU_DEP_1)
	v_add_co_u32 v0, s13, v0, -1
	v_cndmask_b32_e64 v2, 0, 1, s13
	s_delay_alu instid0(VALU_DEP_3)
	v_lshlrev_b32_e32 v3, 30, v1
	v_lshlrev_b32_e32 v4, 29, v1
	;; [unrolled: 1-line block ×4, first 2 shown]
	v_cmp_ne_u32_e32 vcc_lo, 0, v2
	v_not_b32_e32 v2, v3
	v_cmp_gt_i32_e64 s13, 0, v3
	v_not_b32_e32 v3, v4
	v_lshlrev_b32_e32 v7, 26, v1
	v_xor_b32_e32 v0, vcc_lo, v0
	v_ashrrev_i32_e32 v2, 31, v2
	v_cmp_gt_i32_e32 vcc_lo, 0, v4
	v_not_b32_e32 v4, v5
	v_ashrrev_i32_e32 v3, 31, v3
	v_and_b32_e32 v0, exec_lo, v0
	v_xor_b32_e32 v2, s13, v2
	v_cmp_gt_i32_e64 s13, 0, v5
	v_not_b32_e32 v5, v6
	v_ashrrev_i32_e32 v4, 31, v4
	v_xor_b32_e32 v3, vcc_lo, v3
	v_and_b32_e32 v0, v0, v2
	v_cmp_gt_i32_e32 vcc_lo, 0, v6
	v_not_b32_e32 v2, v7
	v_ashrrev_i32_e32 v5, 31, v5
	v_xor_b32_e32 v4, s13, v4
	v_and_b32_e32 v0, v0, v3
	v_lshlrev_b32_e32 v3, 25, v1
	v_cmp_gt_i32_e64 s13, 0, v7
	v_ashrrev_i32_e32 v2, 31, v2
	v_xor_b32_e32 v5, vcc_lo, v5
	v_and_b32_e32 v0, v0, v4
	v_not_b32_e32 v6, v3
	v_lshlrev_b32_e32 v1, 24, v1
	v_bfe_u32 v4, v31, s16, 8
	v_xor_b32_e32 v2, s13, v2
	v_and_b32_e32 v0, v0, v5
	v_cmp_gt_i32_e32 vcc_lo, 0, v3
	v_ashrrev_i32_e32 v3, 31, v6
	v_not_b32_e32 v5, v1
	v_lshlrev_b32_e32 v4, 3, v4
	v_and_b32_e32 v0, v0, v2
	s_delay_alu instid0(VALU_DEP_4) | instskip(SKIP_3) | instid1(VALU_DEP_4)
	v_xor_b32_e32 v2, vcc_lo, v3
	v_cmp_gt_i32_e32 vcc_lo, 0, v1
	v_ashrrev_i32_e32 v1, 31, v5
	v_add_lshl_u32 v3, v4, v29, 2
	v_and_b32_e32 v0, v0, v2
	s_delay_alu instid0(VALU_DEP_3) | instskip(SKIP_3) | instid1(VALU_DEP_1)
	v_xor_b32_e32 v1, vcc_lo, v1
	ds_load_b32 v60, v3 offset:32
	v_add_nc_u32_e32 v59, 32, v3
	; wave barrier
	v_and_b32_e32 v0, v0, v1
	v_mbcnt_lo_u32_b32 v61, v0, 0
	v_cmp_ne_u32_e64 s13, 0, v0
	s_delay_alu instid0(VALU_DEP_2) | instskip(NEXT) | instid1(VALU_DEP_2)
	v_cmp_eq_u32_e32 vcc_lo, 0, v61
	s_and_b32 s17, s13, vcc_lo
	s_delay_alu instid0(SALU_CYCLE_1)
	s_and_saveexec_b32 s13, s17
	s_cbranch_execz .LBB31_20
; %bb.19:                               ;   in Loop: Header=BB31_4 Depth=2
	s_waitcnt lgkmcnt(0)
	v_bcnt_u32_b32 v0, v0, v60
	ds_store_b32 v59, v0
.LBB31_20:                              ;   in Loop: Header=BB31_4 Depth=2
	s_or_b32 exec_lo, exec_lo, s13
	; wave barrier
	s_waitcnt lgkmcnt(0)
	s_barrier
	buffer_gl0_inv
	ds_load_2addr_b64 v[4:7], v21 offset0:4 offset1:5
	ds_load_2addr_b64 v[0:3], v22 offset0:2 offset1:3
	s_waitcnt lgkmcnt(1)
	v_add_nc_u32_e32 v62, v5, v4
	s_delay_alu instid0(VALU_DEP_1) | instskip(SKIP_1) | instid1(VALU_DEP_1)
	v_add3_u32 v62, v62, v6, v7
	s_waitcnt lgkmcnt(0)
	v_add3_u32 v62, v62, v0, v1
	s_delay_alu instid0(VALU_DEP_1) | instskip(NEXT) | instid1(VALU_DEP_1)
	v_add3_u32 v3, v62, v2, v3
	v_mov_b32_dpp v62, v3 row_shr:1 row_mask:0xf bank_mask:0xf
	s_delay_alu instid0(VALU_DEP_1) | instskip(NEXT) | instid1(VALU_DEP_1)
	v_cndmask_b32_e64 v62, v62, 0, s1
	v_add_nc_u32_e32 v3, v62, v3
	s_delay_alu instid0(VALU_DEP_1) | instskip(NEXT) | instid1(VALU_DEP_1)
	v_mov_b32_dpp v62, v3 row_shr:2 row_mask:0xf bank_mask:0xf
	v_cndmask_b32_e64 v62, 0, v62, s2
	s_delay_alu instid0(VALU_DEP_1) | instskip(NEXT) | instid1(VALU_DEP_1)
	v_add_nc_u32_e32 v3, v3, v62
	v_mov_b32_dpp v62, v3 row_shr:4 row_mask:0xf bank_mask:0xf
	s_delay_alu instid0(VALU_DEP_1) | instskip(NEXT) | instid1(VALU_DEP_1)
	v_cndmask_b32_e64 v62, 0, v62, s3
	v_add_nc_u32_e32 v3, v3, v62
	s_delay_alu instid0(VALU_DEP_1) | instskip(NEXT) | instid1(VALU_DEP_1)
	v_mov_b32_dpp v62, v3 row_shr:8 row_mask:0xf bank_mask:0xf
	v_cndmask_b32_e64 v62, 0, v62, s4
	s_delay_alu instid0(VALU_DEP_1) | instskip(SKIP_3) | instid1(VALU_DEP_1)
	v_add_nc_u32_e32 v3, v3, v62
	ds_swizzle_b32 v62, v3 offset:swizzle(BROADCAST,32,15)
	s_waitcnt lgkmcnt(0)
	v_cndmask_b32_e64 v62, v62, 0, s5
	v_add_nc_u32_e32 v3, v3, v62
	s_and_saveexec_b32 s13, s12
	s_cbranch_execz .LBB31_22
; %bb.21:                               ;   in Loop: Header=BB31_4 Depth=2
	ds_store_b32 v24, v3
.LBB31_22:                              ;   in Loop: Header=BB31_4 Depth=2
	s_or_b32 exec_lo, exec_lo, s13
	s_waitcnt lgkmcnt(0)
	s_barrier
	buffer_gl0_inv
	s_and_saveexec_b32 s13, s6
	s_cbranch_execz .LBB31_24
; %bb.23:                               ;   in Loop: Header=BB31_4 Depth=2
	ds_load_b32 v62, v25
	s_waitcnt lgkmcnt(0)
	v_mov_b32_dpp v63, v62 row_shr:1 row_mask:0xf bank_mask:0xf
	s_delay_alu instid0(VALU_DEP_1) | instskip(NEXT) | instid1(VALU_DEP_1)
	v_cndmask_b32_e64 v63, v63, 0, s9
	v_add_nc_u32_e32 v62, v63, v62
	s_delay_alu instid0(VALU_DEP_1) | instskip(NEXT) | instid1(VALU_DEP_1)
	v_mov_b32_dpp v63, v62 row_shr:2 row_mask:0xf bank_mask:0xf
	v_cndmask_b32_e64 v63, 0, v63, s10
	s_delay_alu instid0(VALU_DEP_1) | instskip(NEXT) | instid1(VALU_DEP_1)
	v_add_nc_u32_e32 v62, v62, v63
	v_mov_b32_dpp v63, v62 row_shr:4 row_mask:0xf bank_mask:0xf
	s_delay_alu instid0(VALU_DEP_1) | instskip(NEXT) | instid1(VALU_DEP_1)
	v_cndmask_b32_e64 v63, 0, v63, s11
	v_add_nc_u32_e32 v62, v62, v63
	ds_store_b32 v25, v62
.LBB31_24:                              ;   in Loop: Header=BB31_4 Depth=2
	s_or_b32 exec_lo, exec_lo, s13
	v_mov_b32_e32 v62, 0
	s_waitcnt lgkmcnt(0)
	s_barrier
	buffer_gl0_inv
	s_and_saveexec_b32 s13, s7
	s_cbranch_execz .LBB31_26
; %bb.25:                               ;   in Loop: Header=BB31_4 Depth=2
	ds_load_b32 v62, v28
.LBB31_26:                              ;   in Loop: Header=BB31_4 Depth=2
	s_or_b32 exec_lo, exec_lo, s13
	s_waitcnt lgkmcnt(0)
	v_add_nc_u32_e32 v3, v62, v3
	s_cmp_gt_u32 s16, 23
	ds_bpermute_b32 v3, v23, v3
	s_waitcnt lgkmcnt(0)
	v_cndmask_b32_e64 v3, v3, v62, s0
	s_delay_alu instid0(VALU_DEP_1) | instskip(NEXT) | instid1(VALU_DEP_1)
	v_cndmask_b32_e64 v3, v3, 0, s8
	v_add_nc_u32_e32 v4, v3, v4
	s_delay_alu instid0(VALU_DEP_1) | instskip(NEXT) | instid1(VALU_DEP_1)
	v_add_nc_u32_e32 v5, v4, v5
	v_add_nc_u32_e32 v6, v5, v6
	s_delay_alu instid0(VALU_DEP_1) | instskip(NEXT) | instid1(VALU_DEP_1)
	v_add_nc_u32_e32 v62, v6, v7
	v_add_nc_u32_e32 v63, v62, v0
	s_delay_alu instid0(VALU_DEP_1) | instskip(NEXT) | instid1(VALU_DEP_1)
	v_add_nc_u32_e32 v0, v63, v1
	v_add_nc_u32_e32 v1, v0, v2
	ds_store_2addr_b64 v21, v[3:4], v[5:6] offset0:4 offset1:5
	ds_store_2addr_b64 v22, v[62:63], v[0:1] offset0:2 offset1:3
	s_waitcnt lgkmcnt(0)
	s_barrier
	buffer_gl0_inv
	ds_load_b32 v0, v14
	ds_load_b32 v1, v17
	ds_load_b32 v2, v20
	ds_load_b32 v3, v49
	ds_load_b32 v4, v52
	ds_load_b32 v5, v55
	ds_load_b32 v6, v58
	ds_load_b32 v7, v59
	s_waitcnt lgkmcnt(7)
	v_add_nc_u32_e32 v59, v0, v13
	s_waitcnt lgkmcnt(6)
	v_add3_u32 v58, v16, v15, v1
	s_waitcnt lgkmcnt(5)
	v_add3_u32 v55, v19, v18, v2
	;; [unrolled: 2-line block ×7, first 2 shown]
	s_cbranch_scc0 .LBB31_3
; %bb.27:                               ;   in Loop: Header=BB31_2 Depth=1
                                        ; implicit-def: $vgpr20
                                        ; implicit-def: $vgpr18
                                        ; implicit-def: $vgpr16
                                        ; implicit-def: $vgpr14
                                        ; implicit-def: $vgpr7
                                        ; implicit-def: $vgpr5
                                        ; implicit-def: $vgpr3
                                        ; implicit-def: $vgpr1
                                        ; implicit-def: $sgpr16
	s_branch .LBB31_1
.LBB31_28:
	v_lshlrev_b32_e32 v8, 2, v8
	s_add_u32 s0, s18, s14
	s_waitcnt lgkmcnt(0)
	v_add_nc_u32_e32 v9, v19, v0
	s_addc_u32 s1, s19, s15
	v_add_nc_u32_e32 v10, v20, v1
	v_add_co_u32 v0, s2, s0, v8
	s_delay_alu instid0(VALU_DEP_1)
	v_add_co_ci_u32_e64 v1, null, s1, 0, s2
	v_add_nc_u32_e32 v4, v15, v4
	v_add_nc_u32_e32 v5, v16, v5
	;; [unrolled: 1-line block ×3, first 2 shown]
	v_add_co_u32 v0, vcc_lo, 0x1000, v0
	v_add_nc_u32_e32 v7, v18, v7
	v_add_co_ci_u32_e32 v1, vcc_lo, 0, v1, vcc_lo
	v_add_nc_u32_e32 v2, v14, v2
	v_add_nc_u32_e32 v3, v13, v3
	s_clause 0x7
	global_store_b32 v8, v4, s[0:1]
	global_store_b32 v8, v5, s[0:1] offset:1024
	global_store_b32 v8, v6, s[0:1] offset:2048
	;; [unrolled: 1-line block ×3, first 2 shown]
	global_store_b32 v[0:1], v9, off
	global_store_b32 v[0:1], v10, off offset:1024
	global_store_b32 v[0:1], v2, off offset:2048
	;; [unrolled: 1-line block ×3, first 2 shown]
	s_nop 0
	s_sendmsg sendmsg(MSG_DEALLOC_VGPRS)
	s_endpgm
	.section	.rodata,"a",@progbits
	.p2align	6, 0x0
	.amdhsa_kernel _Z17sort_pairs_kernelI22helper_blocked_blockediLj256ELj8ELj10EEvPKT0_PS1_
		.amdhsa_group_segment_fixed_size 8224
		.amdhsa_private_segment_fixed_size 0
		.amdhsa_kernarg_size 272
		.amdhsa_user_sgpr_count 15
		.amdhsa_user_sgpr_dispatch_ptr 0
		.amdhsa_user_sgpr_queue_ptr 0
		.amdhsa_user_sgpr_kernarg_segment_ptr 1
		.amdhsa_user_sgpr_dispatch_id 0
		.amdhsa_user_sgpr_private_segment_size 0
		.amdhsa_wavefront_size32 1
		.amdhsa_uses_dynamic_stack 0
		.amdhsa_enable_private_segment 0
		.amdhsa_system_sgpr_workgroup_id_x 1
		.amdhsa_system_sgpr_workgroup_id_y 0
		.amdhsa_system_sgpr_workgroup_id_z 0
		.amdhsa_system_sgpr_workgroup_info 0
		.amdhsa_system_vgpr_workitem_id 2
		.amdhsa_next_free_vgpr 64
		.amdhsa_next_free_sgpr 22
		.amdhsa_reserve_vcc 1
		.amdhsa_float_round_mode_32 0
		.amdhsa_float_round_mode_16_64 0
		.amdhsa_float_denorm_mode_32 3
		.amdhsa_float_denorm_mode_16_64 3
		.amdhsa_dx10_clamp 1
		.amdhsa_ieee_mode 1
		.amdhsa_fp16_overflow 0
		.amdhsa_workgroup_processor_mode 1
		.amdhsa_memory_ordered 1
		.amdhsa_forward_progress 0
		.amdhsa_shared_vgpr_count 0
		.amdhsa_exception_fp_ieee_invalid_op 0
		.amdhsa_exception_fp_denorm_src 0
		.amdhsa_exception_fp_ieee_div_zero 0
		.amdhsa_exception_fp_ieee_overflow 0
		.amdhsa_exception_fp_ieee_underflow 0
		.amdhsa_exception_fp_ieee_inexact 0
		.amdhsa_exception_int_div_zero 0
	.end_amdhsa_kernel
	.section	.text._Z17sort_pairs_kernelI22helper_blocked_blockediLj256ELj8ELj10EEvPKT0_PS1_,"axG",@progbits,_Z17sort_pairs_kernelI22helper_blocked_blockediLj256ELj8ELj10EEvPKT0_PS1_,comdat
.Lfunc_end31:
	.size	_Z17sort_pairs_kernelI22helper_blocked_blockediLj256ELj8ELj10EEvPKT0_PS1_, .Lfunc_end31-_Z17sort_pairs_kernelI22helper_blocked_blockediLj256ELj8ELj10EEvPKT0_PS1_
                                        ; -- End function
	.section	.AMDGPU.csdata,"",@progbits
; Kernel info:
; codeLenInByte = 4920
; NumSgprs: 24
; NumVgprs: 64
; ScratchSize: 0
; MemoryBound: 0
; FloatMode: 240
; IeeeMode: 1
; LDSByteSize: 8224 bytes/workgroup (compile time only)
; SGPRBlocks: 2
; VGPRBlocks: 7
; NumSGPRsForWavesPerEU: 24
; NumVGPRsForWavesPerEU: 64
; Occupancy: 16
; WaveLimiterHint : 1
; COMPUTE_PGM_RSRC2:SCRATCH_EN: 0
; COMPUTE_PGM_RSRC2:USER_SGPR: 15
; COMPUTE_PGM_RSRC2:TRAP_HANDLER: 0
; COMPUTE_PGM_RSRC2:TGID_X_EN: 1
; COMPUTE_PGM_RSRC2:TGID_Y_EN: 0
; COMPUTE_PGM_RSRC2:TGID_Z_EN: 0
; COMPUTE_PGM_RSRC2:TIDIG_COMP_CNT: 2
	.section	.text._Z16sort_keys_kernelI22helper_blocked_blockediLj320ELj1ELj10EEvPKT0_PS1_,"axG",@progbits,_Z16sort_keys_kernelI22helper_blocked_blockediLj320ELj1ELj10EEvPKT0_PS1_,comdat
	.protected	_Z16sort_keys_kernelI22helper_blocked_blockediLj320ELj1ELj10EEvPKT0_PS1_ ; -- Begin function _Z16sort_keys_kernelI22helper_blocked_blockediLj320ELj1ELj10EEvPKT0_PS1_
	.globl	_Z16sort_keys_kernelI22helper_blocked_blockediLj320ELj1ELj10EEvPKT0_PS1_
	.p2align	8
	.type	_Z16sort_keys_kernelI22helper_blocked_blockediLj320ELj1ELj10EEvPKT0_PS1_,@function
_Z16sort_keys_kernelI22helper_blocked_blockediLj320ELj1ELj10EEvPKT0_PS1_: ; @_Z16sort_keys_kernelI22helper_blocked_blockediLj320ELj1ELj10EEvPKT0_PS1_
; %bb.0:
	s_clause 0x1
	s_load_b128 s[16:19], s[0:1], 0x0
	s_load_b32 s8, s[0:1], 0x1c
	s_mov_b32 s21, 0
	s_mul_i32 s20, s15, 0x140
	s_mov_b32 s14, s21
	s_mov_b32 s15, s21
	v_dual_mov_b32 v9, s14 :: v_dual_and_b32 v8, 0x3ff, v0
	s_lshl_b64 s[12:13], s[20:21], 2
	v_mov_b32_e32 v10, s15
	v_mbcnt_lo_u32_b32 v3, -1, 0
	s_delay_alu instid0(VALU_DEP_3) | instskip(SKIP_2) | instid1(VALU_DEP_3)
	v_lshlrev_b32_e32 v1, 2, v8
	s_mov_b32 s20, s21
	v_lshlrev_b32_e32 v13, 5, v8
	v_dual_mov_b32 v11, s20 :: v_dual_and_b32 v4, 15, v3
	v_add_nc_u32_e32 v6, -1, v3
	v_dual_mov_b32 v12, s21 :: v_dual_and_b32 v5, 16, v3
	v_cmp_eq_u32_e32 vcc_lo, 0, v3
	s_waitcnt lgkmcnt(0)
	s_add_u32 s0, s16, s12
	s_addc_u32 s1, s17, s13
	v_cmp_lt_u32_e64 s2, 3, v4
	global_load_b32 v2, v1, s[0:1]
	v_bfe_u32 v1, v0, 10, 10
	v_bfe_u32 v0, v0, 20, 10
	v_cmp_eq_u32_e64 s0, 0, v4
	v_cmp_lt_u32_e64 s1, 1, v4
	v_cmp_lt_u32_e64 s3, 7, v4
	v_and_b32_e32 v4, 0x1e0, v8
	v_cmp_gt_i32_e64 s7, 0, v6
	s_lshr_b32 s9, s8, 16
	v_cmp_eq_u32_e64 s4, 0, v5
	v_mad_u32_u24 v15, v0, s9, v1
	v_min_u32_e32 v16, 0x120, v4
	v_cndmask_b32_e64 v5, v6, v3, s7
	v_lshrrev_b32_e32 v6, 3, v8
	s_and_b32 s8, s8, 0xffff
	v_mul_i32_i24_e32 v7, 0xffffffe4, v8
	v_mad_u64_u32 v[0:1], null, v15, s8, v[8:9]
	s_delay_alu instid0(VALU_DEP_3)
	v_and_b32_e32 v14, 60, v6
	v_or_b32_e32 v1, v3, v4
	v_or_b32_e32 v3, 31, v16
	v_cmp_gt_u32_e64 s5, 10, v8
	v_cmp_lt_u32_e64 s6, 31, v8
	v_cmp_eq_u32_e64 s7, 0, v8
	v_add_nc_u32_e32 v15, 40, v13
	v_lshlrev_b32_e32 v16, 2, v5
	v_add_nc_u32_e32 v17, -4, v14
	v_lshlrev_b32_e32 v18, 2, v1
	v_cmp_eq_u32_e64 s8, v3, v8
	v_lshrrev_b32_e32 v19, 5, v0
	v_add_nc_u32_e32 v20, v13, v7
	s_mov_b32 s16, 10
	s_waitcnt vmcnt(0)
	v_xor_b32_e32 v21, 0x80000000, v2
	s_branch .LBB32_2
.LBB32_1:                               ;   in Loop: Header=BB32_2 Depth=1
	s_or_b32 exec_lo, exec_lo, s9
	s_waitcnt lgkmcnt(0)
	v_add_nc_u32_e32 v3, v24, v3
	s_add_i32 s16, s16, -1
	s_delay_alu instid0(SALU_CYCLE_1) | instskip(SKIP_3) | instid1(VALU_DEP_1)
	s_cmp_eq_u32 s16, 0
	ds_bpermute_b32 v3, v16, v3
	s_waitcnt lgkmcnt(0)
	v_cndmask_b32_e32 v3, v3, v24, vcc_lo
	v_cndmask_b32_e64 v3, v3, 0, s7
	s_delay_alu instid0(VALU_DEP_1) | instskip(NEXT) | instid1(VALU_DEP_1)
	v_add_nc_u32_e32 v4, v3, v4
	v_add_nc_u32_e32 v5, v4, v5
	s_delay_alu instid0(VALU_DEP_1) | instskip(NEXT) | instid1(VALU_DEP_1)
	v_add_nc_u32_e32 v6, v5, v6
	v_add_nc_u32_e32 v24, v6, v7
	;; [unrolled: 3-line block ×3, first 2 shown]
	s_delay_alu instid0(VALU_DEP_1)
	v_add_nc_u32_e32 v1, v0, v2
	ds_store_2addr_b64 v13, v[3:4], v[5:6] offset0:5 offset1:6
	ds_store_2addr_b64 v15, v[24:25], v[0:1] offset0:2 offset1:3
	s_waitcnt lgkmcnt(0)
	s_barrier
	buffer_gl0_inv
	ds_load_b32 v0, v23
	v_lshlrev_b32_e32 v1, 2, v22
	s_waitcnt lgkmcnt(0)
	s_barrier
	buffer_gl0_inv
	v_lshl_add_u32 v0, v0, 2, v1
	ds_store_b32 v0, v21
	s_waitcnt lgkmcnt(0)
	s_barrier
	buffer_gl0_inv
	ds_load_b32 v21, v20
	s_cbranch_scc1 .LBB32_34
.LBB32_2:                               ; =>This Inner Loop Header: Depth=1
	s_waitcnt lgkmcnt(0)
	s_delay_alu instid0(VALU_DEP_1)
	v_and_b32_e32 v0, 1, v21
	v_lshlrev_b32_e32 v1, 30, v21
	v_lshlrev_b32_e32 v2, 29, v21
	;; [unrolled: 1-line block ×4, first 2 shown]
	v_add_co_u32 v0, s9, v0, -1
	s_delay_alu instid0(VALU_DEP_1)
	v_cndmask_b32_e64 v3, 0, 1, s9
	v_not_b32_e32 v7, v1
	v_cmp_gt_i32_e64 s10, 0, v1
	v_not_b32_e32 v1, v2
	v_lshlrev_b32_e32 v6, 26, v21
	v_cmp_ne_u32_e64 s9, 0, v3
	v_ashrrev_i32_e32 v7, 31, v7
	v_lshlrev_b32_e32 v3, 25, v21
	v_ashrrev_i32_e32 v1, 31, v1
	v_cmp_gt_i32_e64 s11, 0, v5
	v_xor_b32_e32 v0, s9, v0
	v_cmp_gt_i32_e64 s9, 0, v2
	v_not_b32_e32 v2, v4
	v_xor_b32_e32 v7, s10, v7
	v_cmp_gt_i32_e64 s10, 0, v4
	v_and_b32_e32 v0, exec_lo, v0
	v_xor_b32_e32 v1, s9, v1
	v_ashrrev_i32_e32 v2, 31, v2
	v_not_b32_e32 v4, v5
	v_not_b32_e32 v5, v6
	v_and_b32_e32 v0, v0, v7
	v_cmp_gt_i32_e64 s9, 0, v6
	v_xor_b32_e32 v2, s10, v2
	v_not_b32_e32 v6, v3
	ds_store_2addr_b64 v13, v[11:12], v[9:10] offset0:5 offset1:6
	ds_store_2addr_b64 v15, v[11:12], v[9:10] offset0:2 offset1:3
	v_and_b32_e32 v0, v0, v1
	v_ashrrev_i32_e32 v1, 31, v4
	v_ashrrev_i32_e32 v4, 31, v5
	v_lshlrev_b32_e32 v5, 24, v21
	s_waitcnt lgkmcnt(0)
	v_and_b32_e32 v0, v0, v2
	v_xor_b32_e32 v1, s11, v1
	v_xor_b32_e32 v2, s9, v4
	v_cmp_gt_i32_e64 s9, 0, v3
	v_not_b32_e32 v3, v5
	v_ashrrev_i32_e32 v4, 31, v6
	v_and_b32_e32 v0, v0, v1
	v_cmp_gt_i32_e64 s10, 0, v5
	s_barrier
	v_ashrrev_i32_e32 v1, 31, v3
	v_xor_b32_e32 v3, s9, v4
	v_and_b32_e32 v0, v0, v2
	buffer_gl0_inv
	v_xor_b32_e32 v1, s10, v1
	; wave barrier
	v_and_b32_e32 v0, v0, v3
	s_delay_alu instid0(VALU_DEP_1) | instskip(SKIP_1) | instid1(VALU_DEP_2)
	v_and_b32_e32 v0, v0, v1
	v_and_b32_e32 v1, 0xff, v21
	v_mbcnt_lo_u32_b32 v22, v0, 0
	s_delay_alu instid0(VALU_DEP_2) | instskip(SKIP_1) | instid1(VALU_DEP_3)
	v_mad_u32_u24 v1, v1, 10, v19
	v_cmp_ne_u32_e64 s10, 0, v0
	v_cmp_eq_u32_e64 s9, 0, v22
	s_delay_alu instid0(VALU_DEP_3) | instskip(NEXT) | instid1(VALU_DEP_2)
	v_lshl_add_u32 v23, v1, 2, 40
	s_and_b32 s10, s10, s9
	s_delay_alu instid0(SALU_CYCLE_1)
	s_and_saveexec_b32 s9, s10
	s_cbranch_execz .LBB32_4
; %bb.3:                                ;   in Loop: Header=BB32_2 Depth=1
	v_bcnt_u32_b32 v0, v0, 0
	ds_store_b32 v23, v0
.LBB32_4:                               ;   in Loop: Header=BB32_2 Depth=1
	s_or_b32 exec_lo, exec_lo, s9
	; wave barrier
	s_waitcnt lgkmcnt(0)
	s_barrier
	buffer_gl0_inv
	ds_load_2addr_b64 v[4:7], v13 offset0:5 offset1:6
	ds_load_2addr_b64 v[0:3], v15 offset0:2 offset1:3
	s_waitcnt lgkmcnt(1)
	v_add_nc_u32_e32 v24, v5, v4
	s_delay_alu instid0(VALU_DEP_1) | instskip(SKIP_1) | instid1(VALU_DEP_1)
	v_add3_u32 v24, v24, v6, v7
	s_waitcnt lgkmcnt(0)
	v_add3_u32 v24, v24, v0, v1
	s_delay_alu instid0(VALU_DEP_1) | instskip(NEXT) | instid1(VALU_DEP_1)
	v_add3_u32 v3, v24, v2, v3
	v_mov_b32_dpp v24, v3 row_shr:1 row_mask:0xf bank_mask:0xf
	s_delay_alu instid0(VALU_DEP_1) | instskip(NEXT) | instid1(VALU_DEP_1)
	v_cndmask_b32_e64 v24, v24, 0, s0
	v_add_nc_u32_e32 v3, v24, v3
	s_delay_alu instid0(VALU_DEP_1) | instskip(NEXT) | instid1(VALU_DEP_1)
	v_mov_b32_dpp v24, v3 row_shr:2 row_mask:0xf bank_mask:0xf
	v_cndmask_b32_e64 v24, 0, v24, s1
	s_delay_alu instid0(VALU_DEP_1) | instskip(NEXT) | instid1(VALU_DEP_1)
	v_add_nc_u32_e32 v3, v3, v24
	v_mov_b32_dpp v24, v3 row_shr:4 row_mask:0xf bank_mask:0xf
	s_delay_alu instid0(VALU_DEP_1) | instskip(NEXT) | instid1(VALU_DEP_1)
	v_cndmask_b32_e64 v24, 0, v24, s2
	v_add_nc_u32_e32 v3, v3, v24
	s_delay_alu instid0(VALU_DEP_1) | instskip(NEXT) | instid1(VALU_DEP_1)
	v_mov_b32_dpp v24, v3 row_shr:8 row_mask:0xf bank_mask:0xf
	v_cndmask_b32_e64 v24, 0, v24, s3
	s_delay_alu instid0(VALU_DEP_1) | instskip(SKIP_3) | instid1(VALU_DEP_1)
	v_add_nc_u32_e32 v3, v3, v24
	ds_swizzle_b32 v24, v3 offset:swizzle(BROADCAST,32,15)
	s_waitcnt lgkmcnt(0)
	v_cndmask_b32_e64 v24, v24, 0, s4
	v_add_nc_u32_e32 v3, v3, v24
	s_and_saveexec_b32 s9, s8
	s_cbranch_execz .LBB32_6
; %bb.5:                                ;   in Loop: Header=BB32_2 Depth=1
	ds_store_b32 v14, v3
.LBB32_6:                               ;   in Loop: Header=BB32_2 Depth=1
	s_or_b32 exec_lo, exec_lo, s9
	s_waitcnt lgkmcnt(0)
	s_barrier
	buffer_gl0_inv
	s_and_saveexec_b32 s9, s5
	s_cbranch_execz .LBB32_8
; %bb.7:                                ;   in Loop: Header=BB32_2 Depth=1
	ds_load_b32 v24, v20
	s_waitcnt lgkmcnt(0)
	v_mov_b32_dpp v25, v24 row_shr:1 row_mask:0xf bank_mask:0xf
	s_delay_alu instid0(VALU_DEP_1) | instskip(NEXT) | instid1(VALU_DEP_1)
	v_cndmask_b32_e64 v25, v25, 0, s0
	v_add_nc_u32_e32 v24, v25, v24
	s_delay_alu instid0(VALU_DEP_1) | instskip(NEXT) | instid1(VALU_DEP_1)
	v_mov_b32_dpp v25, v24 row_shr:2 row_mask:0xf bank_mask:0xf
	v_cndmask_b32_e64 v25, 0, v25, s1
	s_delay_alu instid0(VALU_DEP_1) | instskip(NEXT) | instid1(VALU_DEP_1)
	v_add_nc_u32_e32 v24, v24, v25
	v_mov_b32_dpp v25, v24 row_shr:4 row_mask:0xf bank_mask:0xf
	s_delay_alu instid0(VALU_DEP_1) | instskip(NEXT) | instid1(VALU_DEP_1)
	v_cndmask_b32_e64 v25, 0, v25, s2
	v_add_nc_u32_e32 v24, v24, v25
	s_delay_alu instid0(VALU_DEP_1) | instskip(NEXT) | instid1(VALU_DEP_1)
	v_mov_b32_dpp v25, v24 row_shr:8 row_mask:0xf bank_mask:0xf
	v_cndmask_b32_e64 v25, 0, v25, s3
	s_delay_alu instid0(VALU_DEP_1)
	v_add_nc_u32_e32 v24, v24, v25
	ds_store_b32 v20, v24
.LBB32_8:                               ;   in Loop: Header=BB32_2 Depth=1
	s_or_b32 exec_lo, exec_lo, s9
	v_mov_b32_e32 v24, 0
	s_waitcnt lgkmcnt(0)
	s_barrier
	buffer_gl0_inv
	s_and_saveexec_b32 s9, s6
	s_cbranch_execz .LBB32_10
; %bb.9:                                ;   in Loop: Header=BB32_2 Depth=1
	ds_load_b32 v24, v17
.LBB32_10:                              ;   in Loop: Header=BB32_2 Depth=1
	s_or_b32 exec_lo, exec_lo, s9
	s_waitcnt lgkmcnt(0)
	v_add_nc_u32_e32 v3, v24, v3
	ds_bpermute_b32 v3, v16, v3
	s_waitcnt lgkmcnt(0)
	v_cndmask_b32_e32 v3, v3, v24, vcc_lo
	s_delay_alu instid0(VALU_DEP_1) | instskip(NEXT) | instid1(VALU_DEP_1)
	v_cndmask_b32_e64 v3, v3, 0, s7
	v_add_nc_u32_e32 v4, v3, v4
	s_delay_alu instid0(VALU_DEP_1) | instskip(NEXT) | instid1(VALU_DEP_1)
	v_add_nc_u32_e32 v5, v4, v5
	v_add_nc_u32_e32 v6, v5, v6
	s_delay_alu instid0(VALU_DEP_1) | instskip(NEXT) | instid1(VALU_DEP_1)
	v_add_nc_u32_e32 v24, v6, v7
	;; [unrolled: 3-line block ×3, first 2 shown]
	v_add_nc_u32_e32 v1, v0, v2
	ds_store_2addr_b64 v13, v[3:4], v[5:6] offset0:5 offset1:6
	ds_store_2addr_b64 v15, v[24:25], v[0:1] offset0:2 offset1:3
	s_waitcnt lgkmcnt(0)
	s_barrier
	buffer_gl0_inv
	ds_load_b32 v0, v23
	v_lshlrev_b32_e32 v1, 2, v22
	s_waitcnt lgkmcnt(0)
	s_barrier
	buffer_gl0_inv
	v_lshl_add_u32 v0, v0, 2, v1
	ds_store_b32 v0, v21
	s_waitcnt lgkmcnt(0)
	s_barrier
	buffer_gl0_inv
	ds_load_b32 v21, v18
	s_waitcnt lgkmcnt(0)
	s_barrier
	buffer_gl0_inv
	ds_store_2addr_b64 v13, v[11:12], v[9:10] offset0:5 offset1:6
	ds_store_2addr_b64 v15, v[11:12], v[9:10] offset0:2 offset1:3
	s_waitcnt lgkmcnt(0)
	s_barrier
	buffer_gl0_inv
	; wave barrier
	v_bfe_u32 v0, v21, 8, 1
	v_lshrrev_b32_e32 v1, 8, v21
	s_delay_alu instid0(VALU_DEP_2) | instskip(NEXT) | instid1(VALU_DEP_1)
	v_add_co_u32 v0, s9, v0, -1
	v_cndmask_b32_e64 v2, 0, 1, s9
	s_delay_alu instid0(VALU_DEP_3)
	v_lshlrev_b32_e32 v3, 30, v1
	v_lshlrev_b32_e32 v4, 29, v1
	;; [unrolled: 1-line block ×4, first 2 shown]
	v_cmp_ne_u32_e64 s9, 0, v2
	v_not_b32_e32 v2, v3
	v_cmp_gt_i32_e64 s10, 0, v3
	v_not_b32_e32 v3, v4
	v_lshlrev_b32_e32 v7, 26, v1
	v_xor_b32_e32 v0, s9, v0
	v_ashrrev_i32_e32 v2, 31, v2
	v_cmp_gt_i32_e64 s9, 0, v4
	v_not_b32_e32 v4, v5
	v_ashrrev_i32_e32 v3, 31, v3
	v_and_b32_e32 v0, exec_lo, v0
	v_xor_b32_e32 v2, s10, v2
	v_cmp_gt_i32_e64 s10, 0, v5
	v_not_b32_e32 v5, v6
	v_ashrrev_i32_e32 v4, 31, v4
	v_xor_b32_e32 v3, s9, v3
	v_and_b32_e32 v0, v0, v2
	v_lshlrev_b32_e32 v22, 25, v1
	v_cmp_gt_i32_e64 s9, 0, v6
	v_not_b32_e32 v2, v7
	v_ashrrev_i32_e32 v5, 31, v5
	v_xor_b32_e32 v4, s10, v4
	v_and_b32_e32 v0, v0, v3
	v_lshlrev_b32_e32 v1, 24, v1
	v_cmp_gt_i32_e64 s10, 0, v7
	v_not_b32_e32 v3, v22
	v_ashrrev_i32_e32 v2, 31, v2
	v_xor_b32_e32 v5, s9, v5
	v_and_b32_e32 v0, v0, v4
	v_cmp_gt_i32_e64 s9, 0, v22
	v_not_b32_e32 v4, v1
	v_ashrrev_i32_e32 v3, 31, v3
	v_xor_b32_e32 v2, s10, v2
	v_and_b32_e32 v0, v0, v5
	v_cmp_gt_i32_e64 s10, 0, v1
	v_ashrrev_i32_e32 v1, 31, v4
	v_xor_b32_e32 v3, s9, v3
	s_delay_alu instid0(VALU_DEP_4) | instskip(NEXT) | instid1(VALU_DEP_3)
	v_and_b32_e32 v0, v0, v2
	v_xor_b32_e32 v1, s10, v1
	s_delay_alu instid0(VALU_DEP_2) | instskip(NEXT) | instid1(VALU_DEP_1)
	v_and_b32_e32 v0, v0, v3
	v_and_b32_e32 v0, v0, v1
	v_bfe_u32 v1, v21, 8, 8
	s_delay_alu instid0(VALU_DEP_2) | instskip(NEXT) | instid1(VALU_DEP_2)
	v_mbcnt_lo_u32_b32 v22, v0, 0
	v_mad_u32_u24 v1, v1, 10, v19
	v_cmp_ne_u32_e64 s10, 0, v0
	s_delay_alu instid0(VALU_DEP_3) | instskip(NEXT) | instid1(VALU_DEP_3)
	v_cmp_eq_u32_e64 s9, 0, v22
	v_lshl_add_u32 v23, v1, 2, 40
	s_delay_alu instid0(VALU_DEP_2) | instskip(NEXT) | instid1(SALU_CYCLE_1)
	s_and_b32 s10, s10, s9
	s_and_saveexec_b32 s9, s10
	s_cbranch_execz .LBB32_12
; %bb.11:                               ;   in Loop: Header=BB32_2 Depth=1
	v_bcnt_u32_b32 v0, v0, 0
	ds_store_b32 v23, v0
.LBB32_12:                              ;   in Loop: Header=BB32_2 Depth=1
	s_or_b32 exec_lo, exec_lo, s9
	; wave barrier
	s_waitcnt lgkmcnt(0)
	s_barrier
	buffer_gl0_inv
	ds_load_2addr_b64 v[4:7], v13 offset0:5 offset1:6
	ds_load_2addr_b64 v[0:3], v15 offset0:2 offset1:3
	s_waitcnt lgkmcnt(1)
	v_add_nc_u32_e32 v24, v5, v4
	s_delay_alu instid0(VALU_DEP_1) | instskip(SKIP_1) | instid1(VALU_DEP_1)
	v_add3_u32 v24, v24, v6, v7
	s_waitcnt lgkmcnt(0)
	v_add3_u32 v24, v24, v0, v1
	s_delay_alu instid0(VALU_DEP_1) | instskip(NEXT) | instid1(VALU_DEP_1)
	v_add3_u32 v3, v24, v2, v3
	v_mov_b32_dpp v24, v3 row_shr:1 row_mask:0xf bank_mask:0xf
	s_delay_alu instid0(VALU_DEP_1) | instskip(NEXT) | instid1(VALU_DEP_1)
	v_cndmask_b32_e64 v24, v24, 0, s0
	v_add_nc_u32_e32 v3, v24, v3
	s_delay_alu instid0(VALU_DEP_1) | instskip(NEXT) | instid1(VALU_DEP_1)
	v_mov_b32_dpp v24, v3 row_shr:2 row_mask:0xf bank_mask:0xf
	v_cndmask_b32_e64 v24, 0, v24, s1
	s_delay_alu instid0(VALU_DEP_1) | instskip(NEXT) | instid1(VALU_DEP_1)
	v_add_nc_u32_e32 v3, v3, v24
	v_mov_b32_dpp v24, v3 row_shr:4 row_mask:0xf bank_mask:0xf
	s_delay_alu instid0(VALU_DEP_1) | instskip(NEXT) | instid1(VALU_DEP_1)
	v_cndmask_b32_e64 v24, 0, v24, s2
	v_add_nc_u32_e32 v3, v3, v24
	s_delay_alu instid0(VALU_DEP_1) | instskip(NEXT) | instid1(VALU_DEP_1)
	v_mov_b32_dpp v24, v3 row_shr:8 row_mask:0xf bank_mask:0xf
	v_cndmask_b32_e64 v24, 0, v24, s3
	s_delay_alu instid0(VALU_DEP_1) | instskip(SKIP_3) | instid1(VALU_DEP_1)
	v_add_nc_u32_e32 v3, v3, v24
	ds_swizzle_b32 v24, v3 offset:swizzle(BROADCAST,32,15)
	s_waitcnt lgkmcnt(0)
	v_cndmask_b32_e64 v24, v24, 0, s4
	v_add_nc_u32_e32 v3, v3, v24
	s_and_saveexec_b32 s9, s8
	s_cbranch_execz .LBB32_14
; %bb.13:                               ;   in Loop: Header=BB32_2 Depth=1
	ds_store_b32 v14, v3
.LBB32_14:                              ;   in Loop: Header=BB32_2 Depth=1
	s_or_b32 exec_lo, exec_lo, s9
	s_waitcnt lgkmcnt(0)
	s_barrier
	buffer_gl0_inv
	s_and_saveexec_b32 s9, s5
	s_cbranch_execz .LBB32_16
; %bb.15:                               ;   in Loop: Header=BB32_2 Depth=1
	ds_load_b32 v24, v20
	s_waitcnt lgkmcnt(0)
	v_mov_b32_dpp v25, v24 row_shr:1 row_mask:0xf bank_mask:0xf
	s_delay_alu instid0(VALU_DEP_1) | instskip(NEXT) | instid1(VALU_DEP_1)
	v_cndmask_b32_e64 v25, v25, 0, s0
	v_add_nc_u32_e32 v24, v25, v24
	s_delay_alu instid0(VALU_DEP_1) | instskip(NEXT) | instid1(VALU_DEP_1)
	v_mov_b32_dpp v25, v24 row_shr:2 row_mask:0xf bank_mask:0xf
	v_cndmask_b32_e64 v25, 0, v25, s1
	s_delay_alu instid0(VALU_DEP_1) | instskip(NEXT) | instid1(VALU_DEP_1)
	v_add_nc_u32_e32 v24, v24, v25
	v_mov_b32_dpp v25, v24 row_shr:4 row_mask:0xf bank_mask:0xf
	s_delay_alu instid0(VALU_DEP_1) | instskip(NEXT) | instid1(VALU_DEP_1)
	v_cndmask_b32_e64 v25, 0, v25, s2
	v_add_nc_u32_e32 v24, v24, v25
	s_delay_alu instid0(VALU_DEP_1) | instskip(NEXT) | instid1(VALU_DEP_1)
	v_mov_b32_dpp v25, v24 row_shr:8 row_mask:0xf bank_mask:0xf
	v_cndmask_b32_e64 v25, 0, v25, s3
	s_delay_alu instid0(VALU_DEP_1)
	v_add_nc_u32_e32 v24, v24, v25
	ds_store_b32 v20, v24
.LBB32_16:                              ;   in Loop: Header=BB32_2 Depth=1
	s_or_b32 exec_lo, exec_lo, s9
	v_mov_b32_e32 v24, 0
	s_waitcnt lgkmcnt(0)
	s_barrier
	buffer_gl0_inv
	s_and_saveexec_b32 s9, s6
	s_cbranch_execz .LBB32_18
; %bb.17:                               ;   in Loop: Header=BB32_2 Depth=1
	ds_load_b32 v24, v17
.LBB32_18:                              ;   in Loop: Header=BB32_2 Depth=1
	s_or_b32 exec_lo, exec_lo, s9
	s_waitcnt lgkmcnt(0)
	v_add_nc_u32_e32 v3, v24, v3
	ds_bpermute_b32 v3, v16, v3
	s_waitcnt lgkmcnt(0)
	v_cndmask_b32_e32 v3, v3, v24, vcc_lo
	s_delay_alu instid0(VALU_DEP_1) | instskip(NEXT) | instid1(VALU_DEP_1)
	v_cndmask_b32_e64 v3, v3, 0, s7
	v_add_nc_u32_e32 v4, v3, v4
	s_delay_alu instid0(VALU_DEP_1) | instskip(NEXT) | instid1(VALU_DEP_1)
	v_add_nc_u32_e32 v5, v4, v5
	v_add_nc_u32_e32 v6, v5, v6
	s_delay_alu instid0(VALU_DEP_1) | instskip(NEXT) | instid1(VALU_DEP_1)
	v_add_nc_u32_e32 v24, v6, v7
	;; [unrolled: 3-line block ×3, first 2 shown]
	v_add_nc_u32_e32 v1, v0, v2
	ds_store_2addr_b64 v13, v[3:4], v[5:6] offset0:5 offset1:6
	ds_store_2addr_b64 v15, v[24:25], v[0:1] offset0:2 offset1:3
	s_waitcnt lgkmcnt(0)
	s_barrier
	buffer_gl0_inv
	ds_load_b32 v0, v23
	v_lshlrev_b32_e32 v1, 2, v22
	s_waitcnt lgkmcnt(0)
	s_barrier
	buffer_gl0_inv
	v_lshl_add_u32 v0, v0, 2, v1
	ds_store_b32 v0, v21
	s_waitcnt lgkmcnt(0)
	s_barrier
	buffer_gl0_inv
	ds_load_b32 v21, v18
	s_waitcnt lgkmcnt(0)
	s_barrier
	buffer_gl0_inv
	v_bfe_u32 v0, v21, 16, 1
	v_lshrrev_b32_e32 v1, 16, v21
	s_delay_alu instid0(VALU_DEP_2) | instskip(NEXT) | instid1(VALU_DEP_1)
	v_add_co_u32 v0, s9, v0, -1
	v_cndmask_b32_e64 v2, 0, 1, s9
	s_delay_alu instid0(VALU_DEP_3)
	v_lshlrev_b32_e32 v3, 30, v1
	v_lshlrev_b32_e32 v4, 29, v1
	;; [unrolled: 1-line block ×4, first 2 shown]
	v_cmp_ne_u32_e64 s9, 0, v2
	v_not_b32_e32 v2, v3
	v_cmp_gt_i32_e64 s10, 0, v3
	v_not_b32_e32 v3, v4
	v_lshlrev_b32_e32 v7, 26, v1
	v_xor_b32_e32 v0, s9, v0
	v_ashrrev_i32_e32 v2, 31, v2
	v_cmp_gt_i32_e64 s9, 0, v4
	v_not_b32_e32 v4, v5
	v_ashrrev_i32_e32 v3, 31, v3
	v_and_b32_e32 v0, exec_lo, v0
	v_xor_b32_e32 v2, s10, v2
	v_cmp_gt_i32_e64 s10, 0, v5
	v_not_b32_e32 v5, v6
	v_ashrrev_i32_e32 v4, 31, v4
	v_xor_b32_e32 v3, s9, v3
	v_and_b32_e32 v0, v0, v2
	v_lshlrev_b32_e32 v22, 25, v1
	v_cmp_gt_i32_e64 s9, 0, v6
	v_not_b32_e32 v2, v7
	v_ashrrev_i32_e32 v5, 31, v5
	v_xor_b32_e32 v4, s10, v4
	v_and_b32_e32 v0, v0, v3
	v_lshlrev_b32_e32 v1, 24, v1
	v_cmp_gt_i32_e64 s10, 0, v7
	v_not_b32_e32 v3, v22
	v_ashrrev_i32_e32 v2, 31, v2
	v_xor_b32_e32 v5, s9, v5
	v_and_b32_e32 v0, v0, v4
	v_cmp_gt_i32_e64 s9, 0, v22
	v_not_b32_e32 v4, v1
	v_ashrrev_i32_e32 v3, 31, v3
	v_xor_b32_e32 v2, s10, v2
	v_and_b32_e32 v0, v0, v5
	v_cmp_gt_i32_e64 s10, 0, v1
	v_ashrrev_i32_e32 v1, 31, v4
	v_xor_b32_e32 v3, s9, v3
	s_delay_alu instid0(VALU_DEP_4) | instskip(NEXT) | instid1(VALU_DEP_3)
	v_and_b32_e32 v0, v0, v2
	v_xor_b32_e32 v5, s10, v1
	v_dual_mov_b32 v1, s20 :: v_dual_mov_b32 v2, s21
	s_delay_alu instid0(VALU_DEP_3)
	v_dual_mov_b32 v3, s14 :: v_dual_and_b32 v0, v0, v3
	v_mov_b32_e32 v4, s15
	ds_store_2addr_b64 v13, v[1:2], v[3:4] offset0:5 offset1:6
	ds_store_2addr_b64 v15, v[1:2], v[3:4] offset0:2 offset1:3
	v_and_b32_e32 v0, v0, v5
	v_bfe_u32 v5, v21, 16, 8
	s_waitcnt lgkmcnt(0)
	s_barrier
	buffer_gl0_inv
	v_mbcnt_lo_u32_b32 v22, v0, 0
	v_mad_u32_u24 v1, v5, 10, v19
	v_cmp_ne_u32_e64 s10, 0, v0
	; wave barrier
	s_delay_alu instid0(VALU_DEP_3) | instskip(NEXT) | instid1(VALU_DEP_3)
	v_cmp_eq_u32_e64 s9, 0, v22
	v_lshl_add_u32 v23, v1, 2, 40
	s_delay_alu instid0(VALU_DEP_2) | instskip(NEXT) | instid1(SALU_CYCLE_1)
	s_and_b32 s10, s10, s9
	s_and_saveexec_b32 s9, s10
	s_cbranch_execz .LBB32_20
; %bb.19:                               ;   in Loop: Header=BB32_2 Depth=1
	v_bcnt_u32_b32 v0, v0, 0
	ds_store_b32 v23, v0
.LBB32_20:                              ;   in Loop: Header=BB32_2 Depth=1
	s_or_b32 exec_lo, exec_lo, s9
	; wave barrier
	s_waitcnt lgkmcnt(0)
	s_barrier
	buffer_gl0_inv
	ds_load_2addr_b64 v[4:7], v13 offset0:5 offset1:6
	ds_load_2addr_b64 v[0:3], v15 offset0:2 offset1:3
	s_waitcnt lgkmcnt(1)
	v_add_nc_u32_e32 v24, v5, v4
	s_delay_alu instid0(VALU_DEP_1) | instskip(SKIP_1) | instid1(VALU_DEP_1)
	v_add3_u32 v24, v24, v6, v7
	s_waitcnt lgkmcnt(0)
	v_add3_u32 v24, v24, v0, v1
	s_delay_alu instid0(VALU_DEP_1) | instskip(NEXT) | instid1(VALU_DEP_1)
	v_add3_u32 v3, v24, v2, v3
	v_mov_b32_dpp v24, v3 row_shr:1 row_mask:0xf bank_mask:0xf
	s_delay_alu instid0(VALU_DEP_1) | instskip(NEXT) | instid1(VALU_DEP_1)
	v_cndmask_b32_e64 v24, v24, 0, s0
	v_add_nc_u32_e32 v3, v24, v3
	s_delay_alu instid0(VALU_DEP_1) | instskip(NEXT) | instid1(VALU_DEP_1)
	v_mov_b32_dpp v24, v3 row_shr:2 row_mask:0xf bank_mask:0xf
	v_cndmask_b32_e64 v24, 0, v24, s1
	s_delay_alu instid0(VALU_DEP_1) | instskip(NEXT) | instid1(VALU_DEP_1)
	v_add_nc_u32_e32 v3, v3, v24
	v_mov_b32_dpp v24, v3 row_shr:4 row_mask:0xf bank_mask:0xf
	s_delay_alu instid0(VALU_DEP_1) | instskip(NEXT) | instid1(VALU_DEP_1)
	v_cndmask_b32_e64 v24, 0, v24, s2
	v_add_nc_u32_e32 v3, v3, v24
	s_delay_alu instid0(VALU_DEP_1) | instskip(NEXT) | instid1(VALU_DEP_1)
	v_mov_b32_dpp v24, v3 row_shr:8 row_mask:0xf bank_mask:0xf
	v_cndmask_b32_e64 v24, 0, v24, s3
	s_delay_alu instid0(VALU_DEP_1) | instskip(SKIP_3) | instid1(VALU_DEP_1)
	v_add_nc_u32_e32 v3, v3, v24
	ds_swizzle_b32 v24, v3 offset:swizzle(BROADCAST,32,15)
	s_waitcnt lgkmcnt(0)
	v_cndmask_b32_e64 v24, v24, 0, s4
	v_add_nc_u32_e32 v3, v3, v24
	s_and_saveexec_b32 s9, s8
	s_cbranch_execz .LBB32_22
; %bb.21:                               ;   in Loop: Header=BB32_2 Depth=1
	ds_store_b32 v14, v3
.LBB32_22:                              ;   in Loop: Header=BB32_2 Depth=1
	s_or_b32 exec_lo, exec_lo, s9
	s_waitcnt lgkmcnt(0)
	s_barrier
	buffer_gl0_inv
	s_and_saveexec_b32 s9, s5
	s_cbranch_execz .LBB32_24
; %bb.23:                               ;   in Loop: Header=BB32_2 Depth=1
	ds_load_b32 v24, v20
	s_waitcnt lgkmcnt(0)
	v_mov_b32_dpp v25, v24 row_shr:1 row_mask:0xf bank_mask:0xf
	s_delay_alu instid0(VALU_DEP_1) | instskip(NEXT) | instid1(VALU_DEP_1)
	v_cndmask_b32_e64 v25, v25, 0, s0
	v_add_nc_u32_e32 v24, v25, v24
	s_delay_alu instid0(VALU_DEP_1) | instskip(NEXT) | instid1(VALU_DEP_1)
	v_mov_b32_dpp v25, v24 row_shr:2 row_mask:0xf bank_mask:0xf
	v_cndmask_b32_e64 v25, 0, v25, s1
	s_delay_alu instid0(VALU_DEP_1) | instskip(NEXT) | instid1(VALU_DEP_1)
	v_add_nc_u32_e32 v24, v24, v25
	v_mov_b32_dpp v25, v24 row_shr:4 row_mask:0xf bank_mask:0xf
	s_delay_alu instid0(VALU_DEP_1) | instskip(NEXT) | instid1(VALU_DEP_1)
	v_cndmask_b32_e64 v25, 0, v25, s2
	v_add_nc_u32_e32 v24, v24, v25
	s_delay_alu instid0(VALU_DEP_1) | instskip(NEXT) | instid1(VALU_DEP_1)
	v_mov_b32_dpp v25, v24 row_shr:8 row_mask:0xf bank_mask:0xf
	v_cndmask_b32_e64 v25, 0, v25, s3
	s_delay_alu instid0(VALU_DEP_1)
	v_add_nc_u32_e32 v24, v24, v25
	ds_store_b32 v20, v24
.LBB32_24:                              ;   in Loop: Header=BB32_2 Depth=1
	s_or_b32 exec_lo, exec_lo, s9
	v_mov_b32_e32 v24, 0
	s_waitcnt lgkmcnt(0)
	s_barrier
	buffer_gl0_inv
	s_and_saveexec_b32 s9, s6
	s_cbranch_execz .LBB32_26
; %bb.25:                               ;   in Loop: Header=BB32_2 Depth=1
	ds_load_b32 v24, v17
.LBB32_26:                              ;   in Loop: Header=BB32_2 Depth=1
	s_or_b32 exec_lo, exec_lo, s9
	s_waitcnt lgkmcnt(0)
	v_add_nc_u32_e32 v3, v24, v3
	ds_bpermute_b32 v3, v16, v3
	s_waitcnt lgkmcnt(0)
	v_cndmask_b32_e32 v3, v3, v24, vcc_lo
	s_delay_alu instid0(VALU_DEP_1) | instskip(NEXT) | instid1(VALU_DEP_1)
	v_cndmask_b32_e64 v3, v3, 0, s7
	v_add_nc_u32_e32 v4, v3, v4
	s_delay_alu instid0(VALU_DEP_1) | instskip(NEXT) | instid1(VALU_DEP_1)
	v_add_nc_u32_e32 v5, v4, v5
	v_add_nc_u32_e32 v6, v5, v6
	s_delay_alu instid0(VALU_DEP_1) | instskip(NEXT) | instid1(VALU_DEP_1)
	v_add_nc_u32_e32 v24, v6, v7
	;; [unrolled: 3-line block ×3, first 2 shown]
	v_add_nc_u32_e32 v1, v0, v2
	ds_store_2addr_b64 v13, v[3:4], v[5:6] offset0:5 offset1:6
	ds_store_2addr_b64 v15, v[24:25], v[0:1] offset0:2 offset1:3
	s_waitcnt lgkmcnt(0)
	s_barrier
	buffer_gl0_inv
	ds_load_b32 v0, v23
	v_lshlrev_b32_e32 v1, 2, v22
	s_waitcnt lgkmcnt(0)
	s_barrier
	buffer_gl0_inv
	v_lshl_add_u32 v0, v0, 2, v1
	ds_store_b32 v0, v21
	s_waitcnt lgkmcnt(0)
	s_barrier
	buffer_gl0_inv
	ds_load_b32 v21, v18
	s_waitcnt lgkmcnt(0)
	s_barrier
	buffer_gl0_inv
	v_bfe_u32 v0, v21, 24, 1
	v_lshrrev_b32_e32 v5, 24, v21
	s_delay_alu instid0(VALU_DEP_2) | instskip(NEXT) | instid1(VALU_DEP_1)
	v_add_co_u32 v0, s9, v0, -1
	v_cndmask_b32_e64 v1, 0, 1, s9
	s_delay_alu instid0(VALU_DEP_3)
	v_lshlrev_b32_e32 v2, 30, v5
	v_lshlrev_b32_e32 v3, 29, v5
	;; [unrolled: 1-line block ×4, first 2 shown]
	v_cmp_ne_u32_e64 s9, 0, v1
	v_not_b32_e32 v1, v2
	v_cmp_gt_i32_e64 s10, 0, v2
	v_not_b32_e32 v2, v3
	v_lshlrev_b32_e32 v7, 26, v5
	v_xor_b32_e32 v0, s9, v0
	v_ashrrev_i32_e32 v1, 31, v1
	v_cmp_gt_i32_e64 s9, 0, v3
	v_not_b32_e32 v3, v4
	v_ashrrev_i32_e32 v2, 31, v2
	v_and_b32_e32 v0, exec_lo, v0
	v_xor_b32_e32 v1, s10, v1
	v_cmp_gt_i32_e64 s10, 0, v4
	v_not_b32_e32 v4, v6
	v_ashrrev_i32_e32 v3, 31, v3
	v_xor_b32_e32 v2, s9, v2
	v_and_b32_e32 v0, v0, v1
	v_lshlrev_b32_e32 v22, 25, v5
	v_cmp_gt_i32_e64 s9, 0, v6
	v_not_b32_e32 v1, v7
	v_ashrrev_i32_e32 v4, 31, v4
	v_xor_b32_e32 v3, s10, v3
	v_and_b32_e32 v0, v0, v2
	v_cmp_gt_i32_e64 s10, 0, v7
	v_not_b32_e32 v2, v22
	v_ashrrev_i32_e32 v1, 31, v1
	v_xor_b32_e32 v4, s9, v4
	v_and_b32_e32 v0, v0, v3
	v_not_b32_e32 v3, v21
	v_cmp_gt_i32_e64 s9, 0, v22
	v_ashrrev_i32_e32 v2, 31, v2
	v_xor_b32_e32 v1, s10, v1
	v_and_b32_e32 v0, v0, v4
	v_cmp_gt_i32_e64 s10, 0, v21
	v_ashrrev_i32_e32 v3, 31, v3
	v_xor_b32_e32 v2, s9, v2
	s_delay_alu instid0(VALU_DEP_4) | instskip(NEXT) | instid1(VALU_DEP_3)
	v_and_b32_e32 v0, v0, v1
	v_xor_b32_e32 v3, s10, v3
	s_delay_alu instid0(VALU_DEP_2) | instskip(SKIP_1) | instid1(VALU_DEP_2)
	v_dual_mov_b32 v1, s20 :: v_dual_and_b32 v0, v0, v2
	v_mov_b32_e32 v2, s21
	v_dual_mov_b32 v3, s14 :: v_dual_and_b32 v0, v0, v3
	v_mov_b32_e32 v4, s15
	ds_store_2addr_b64 v13, v[1:2], v[3:4] offset0:5 offset1:6
	ds_store_2addr_b64 v15, v[1:2], v[3:4] offset0:2 offset1:3
	v_mbcnt_lo_u32_b32 v22, v0, 0
	v_mad_u32_u24 v1, v5, 10, v19
	v_cmp_ne_u32_e64 s10, 0, v0
	s_waitcnt lgkmcnt(0)
	s_barrier
	v_cmp_eq_u32_e64 s9, 0, v22
	v_lshl_add_u32 v23, v1, 2, 40
	buffer_gl0_inv
	; wave barrier
	s_and_b32 s10, s10, s9
	s_delay_alu instid0(SALU_CYCLE_1)
	s_and_saveexec_b32 s9, s10
	s_cbranch_execz .LBB32_28
; %bb.27:                               ;   in Loop: Header=BB32_2 Depth=1
	v_bcnt_u32_b32 v0, v0, 0
	ds_store_b32 v23, v0
.LBB32_28:                              ;   in Loop: Header=BB32_2 Depth=1
	s_or_b32 exec_lo, exec_lo, s9
	; wave barrier
	s_waitcnt lgkmcnt(0)
	s_barrier
	buffer_gl0_inv
	ds_load_2addr_b64 v[4:7], v13 offset0:5 offset1:6
	ds_load_2addr_b64 v[0:3], v15 offset0:2 offset1:3
	s_waitcnt lgkmcnt(1)
	v_add_nc_u32_e32 v24, v5, v4
	s_delay_alu instid0(VALU_DEP_1) | instskip(SKIP_1) | instid1(VALU_DEP_1)
	v_add3_u32 v24, v24, v6, v7
	s_waitcnt lgkmcnt(0)
	v_add3_u32 v24, v24, v0, v1
	s_delay_alu instid0(VALU_DEP_1) | instskip(NEXT) | instid1(VALU_DEP_1)
	v_add3_u32 v3, v24, v2, v3
	v_mov_b32_dpp v24, v3 row_shr:1 row_mask:0xf bank_mask:0xf
	s_delay_alu instid0(VALU_DEP_1) | instskip(NEXT) | instid1(VALU_DEP_1)
	v_cndmask_b32_e64 v24, v24, 0, s0
	v_add_nc_u32_e32 v3, v24, v3
	s_delay_alu instid0(VALU_DEP_1) | instskip(NEXT) | instid1(VALU_DEP_1)
	v_mov_b32_dpp v24, v3 row_shr:2 row_mask:0xf bank_mask:0xf
	v_cndmask_b32_e64 v24, 0, v24, s1
	s_delay_alu instid0(VALU_DEP_1) | instskip(NEXT) | instid1(VALU_DEP_1)
	v_add_nc_u32_e32 v3, v3, v24
	v_mov_b32_dpp v24, v3 row_shr:4 row_mask:0xf bank_mask:0xf
	s_delay_alu instid0(VALU_DEP_1) | instskip(NEXT) | instid1(VALU_DEP_1)
	v_cndmask_b32_e64 v24, 0, v24, s2
	v_add_nc_u32_e32 v3, v3, v24
	s_delay_alu instid0(VALU_DEP_1) | instskip(NEXT) | instid1(VALU_DEP_1)
	v_mov_b32_dpp v24, v3 row_shr:8 row_mask:0xf bank_mask:0xf
	v_cndmask_b32_e64 v24, 0, v24, s3
	s_delay_alu instid0(VALU_DEP_1) | instskip(SKIP_3) | instid1(VALU_DEP_1)
	v_add_nc_u32_e32 v3, v3, v24
	ds_swizzle_b32 v24, v3 offset:swizzle(BROADCAST,32,15)
	s_waitcnt lgkmcnt(0)
	v_cndmask_b32_e64 v24, v24, 0, s4
	v_add_nc_u32_e32 v3, v3, v24
	s_and_saveexec_b32 s9, s8
	s_cbranch_execz .LBB32_30
; %bb.29:                               ;   in Loop: Header=BB32_2 Depth=1
	ds_store_b32 v14, v3
.LBB32_30:                              ;   in Loop: Header=BB32_2 Depth=1
	s_or_b32 exec_lo, exec_lo, s9
	s_waitcnt lgkmcnt(0)
	s_barrier
	buffer_gl0_inv
	s_and_saveexec_b32 s9, s5
	s_cbranch_execz .LBB32_32
; %bb.31:                               ;   in Loop: Header=BB32_2 Depth=1
	ds_load_b32 v24, v20
	s_waitcnt lgkmcnt(0)
	v_mov_b32_dpp v25, v24 row_shr:1 row_mask:0xf bank_mask:0xf
	s_delay_alu instid0(VALU_DEP_1) | instskip(NEXT) | instid1(VALU_DEP_1)
	v_cndmask_b32_e64 v25, v25, 0, s0
	v_add_nc_u32_e32 v24, v25, v24
	s_delay_alu instid0(VALU_DEP_1) | instskip(NEXT) | instid1(VALU_DEP_1)
	v_mov_b32_dpp v25, v24 row_shr:2 row_mask:0xf bank_mask:0xf
	v_cndmask_b32_e64 v25, 0, v25, s1
	s_delay_alu instid0(VALU_DEP_1) | instskip(NEXT) | instid1(VALU_DEP_1)
	v_add_nc_u32_e32 v24, v24, v25
	v_mov_b32_dpp v25, v24 row_shr:4 row_mask:0xf bank_mask:0xf
	s_delay_alu instid0(VALU_DEP_1) | instskip(NEXT) | instid1(VALU_DEP_1)
	v_cndmask_b32_e64 v25, 0, v25, s2
	v_add_nc_u32_e32 v24, v24, v25
	s_delay_alu instid0(VALU_DEP_1) | instskip(NEXT) | instid1(VALU_DEP_1)
	v_mov_b32_dpp v25, v24 row_shr:8 row_mask:0xf bank_mask:0xf
	v_cndmask_b32_e64 v25, 0, v25, s3
	s_delay_alu instid0(VALU_DEP_1)
	v_add_nc_u32_e32 v24, v24, v25
	ds_store_b32 v20, v24
.LBB32_32:                              ;   in Loop: Header=BB32_2 Depth=1
	s_or_b32 exec_lo, exec_lo, s9
	v_mov_b32_e32 v24, 0
	s_waitcnt lgkmcnt(0)
	s_barrier
	buffer_gl0_inv
	s_and_saveexec_b32 s9, s6
	s_cbranch_execz .LBB32_1
; %bb.33:                               ;   in Loop: Header=BB32_2 Depth=1
	ds_load_b32 v24, v17
	s_branch .LBB32_1
.LBB32_34:
	s_waitcnt lgkmcnt(0)
	v_xor_b32_e32 v0, 0x80000000, v21
	v_lshlrev_b32_e32 v1, 2, v8
	s_add_u32 s0, s18, s12
	s_addc_u32 s1, s19, s13
	global_store_b32 v1, v0, s[0:1]
	s_nop 0
	s_sendmsg sendmsg(MSG_DEALLOC_VGPRS)
	s_endpgm
	.section	.rodata,"a",@progbits
	.p2align	6, 0x0
	.amdhsa_kernel _Z16sort_keys_kernelI22helper_blocked_blockediLj320ELj1ELj10EEvPKT0_PS1_
		.amdhsa_group_segment_fixed_size 10288
		.amdhsa_private_segment_fixed_size 0
		.amdhsa_kernarg_size 272
		.amdhsa_user_sgpr_count 15
		.amdhsa_user_sgpr_dispatch_ptr 0
		.amdhsa_user_sgpr_queue_ptr 0
		.amdhsa_user_sgpr_kernarg_segment_ptr 1
		.amdhsa_user_sgpr_dispatch_id 0
		.amdhsa_user_sgpr_private_segment_size 0
		.amdhsa_wavefront_size32 1
		.amdhsa_uses_dynamic_stack 0
		.amdhsa_enable_private_segment 0
		.amdhsa_system_sgpr_workgroup_id_x 1
		.amdhsa_system_sgpr_workgroup_id_y 0
		.amdhsa_system_sgpr_workgroup_id_z 0
		.amdhsa_system_sgpr_workgroup_info 0
		.amdhsa_system_vgpr_workitem_id 2
		.amdhsa_next_free_vgpr 26
		.amdhsa_next_free_sgpr 22
		.amdhsa_reserve_vcc 1
		.amdhsa_float_round_mode_32 0
		.amdhsa_float_round_mode_16_64 0
		.amdhsa_float_denorm_mode_32 3
		.amdhsa_float_denorm_mode_16_64 3
		.amdhsa_dx10_clamp 1
		.amdhsa_ieee_mode 1
		.amdhsa_fp16_overflow 0
		.amdhsa_workgroup_processor_mode 1
		.amdhsa_memory_ordered 1
		.amdhsa_forward_progress 0
		.amdhsa_shared_vgpr_count 0
		.amdhsa_exception_fp_ieee_invalid_op 0
		.amdhsa_exception_fp_denorm_src 0
		.amdhsa_exception_fp_ieee_div_zero 0
		.amdhsa_exception_fp_ieee_overflow 0
		.amdhsa_exception_fp_ieee_underflow 0
		.amdhsa_exception_fp_ieee_inexact 0
		.amdhsa_exception_int_div_zero 0
	.end_amdhsa_kernel
	.section	.text._Z16sort_keys_kernelI22helper_blocked_blockediLj320ELj1ELj10EEvPKT0_PS1_,"axG",@progbits,_Z16sort_keys_kernelI22helper_blocked_blockediLj320ELj1ELj10EEvPKT0_PS1_,comdat
.Lfunc_end32:
	.size	_Z16sort_keys_kernelI22helper_blocked_blockediLj320ELj1ELj10EEvPKT0_PS1_, .Lfunc_end32-_Z16sort_keys_kernelI22helper_blocked_blockediLj320ELj1ELj10EEvPKT0_PS1_
                                        ; -- End function
	.section	.AMDGPU.csdata,"",@progbits
; Kernel info:
; codeLenInByte = 4348
; NumSgprs: 24
; NumVgprs: 26
; ScratchSize: 0
; MemoryBound: 0
; FloatMode: 240
; IeeeMode: 1
; LDSByteSize: 10288 bytes/workgroup (compile time only)
; SGPRBlocks: 2
; VGPRBlocks: 3
; NumSGPRsForWavesPerEU: 24
; NumVGPRsForWavesPerEU: 26
; Occupancy: 15
; WaveLimiterHint : 0
; COMPUTE_PGM_RSRC2:SCRATCH_EN: 0
; COMPUTE_PGM_RSRC2:USER_SGPR: 15
; COMPUTE_PGM_RSRC2:TRAP_HANDLER: 0
; COMPUTE_PGM_RSRC2:TGID_X_EN: 1
; COMPUTE_PGM_RSRC2:TGID_Y_EN: 0
; COMPUTE_PGM_RSRC2:TGID_Z_EN: 0
; COMPUTE_PGM_RSRC2:TIDIG_COMP_CNT: 2
	.section	.text._Z17sort_pairs_kernelI22helper_blocked_blockediLj320ELj1ELj10EEvPKT0_PS1_,"axG",@progbits,_Z17sort_pairs_kernelI22helper_blocked_blockediLj320ELj1ELj10EEvPKT0_PS1_,comdat
	.protected	_Z17sort_pairs_kernelI22helper_blocked_blockediLj320ELj1ELj10EEvPKT0_PS1_ ; -- Begin function _Z17sort_pairs_kernelI22helper_blocked_blockediLj320ELj1ELj10EEvPKT0_PS1_
	.globl	_Z17sort_pairs_kernelI22helper_blocked_blockediLj320ELj1ELj10EEvPKT0_PS1_
	.p2align	8
	.type	_Z17sort_pairs_kernelI22helper_blocked_blockediLj320ELj1ELj10EEvPKT0_PS1_,@function
_Z17sort_pairs_kernelI22helper_blocked_blockediLj320ELj1ELj10EEvPKT0_PS1_: ; @_Z17sort_pairs_kernelI22helper_blocked_blockediLj320ELj1ELj10EEvPKT0_PS1_
; %bb.0:
	s_clause 0x1
	s_load_b128 s[16:19], s[0:1], 0x0
	s_load_b32 s8, s[0:1], 0x1c
	s_mov_b32 s21, 0
	s_mul_i32 s20, s15, 0x140
	s_mov_b32 s14, s21
	s_mov_b32 s15, s21
	v_dual_mov_b32 v9, s14 :: v_dual_and_b32 v8, 0x3ff, v0
	s_lshl_b64 s[12:13], s[20:21], 2
	v_mov_b32_e32 v10, s15
	v_mbcnt_lo_u32_b32 v3, -1, 0
	s_delay_alu instid0(VALU_DEP_3) | instskip(SKIP_2) | instid1(VALU_DEP_3)
	v_lshlrev_b32_e32 v1, 2, v8
	s_mov_b32 s20, s21
	v_lshlrev_b32_e32 v13, 5, v8
	v_dual_mov_b32 v11, s20 :: v_dual_and_b32 v4, 15, v3
	v_add_nc_u32_e32 v6, -1, v3
	v_dual_mov_b32 v12, s21 :: v_dual_and_b32 v5, 16, v3
	v_cmp_eq_u32_e32 vcc_lo, 0, v3
	s_waitcnt lgkmcnt(0)
	s_add_u32 s0, s16, s12
	s_addc_u32 s1, s17, s13
	v_cmp_lt_u32_e64 s2, 3, v4
	global_load_b32 v2, v1, s[0:1]
	v_bfe_u32 v1, v0, 10, 10
	v_bfe_u32 v0, v0, 20, 10
	v_cmp_eq_u32_e64 s0, 0, v4
	v_cmp_lt_u32_e64 s1, 1, v4
	v_cmp_lt_u32_e64 s3, 7, v4
	v_and_b32_e32 v4, 0x1e0, v8
	v_cmp_gt_i32_e64 s7, 0, v6
	s_lshr_b32 s9, s8, 16
	v_cmp_eq_u32_e64 s4, 0, v5
	v_mad_u32_u24 v15, v0, s9, v1
	v_min_u32_e32 v16, 0x120, v4
	v_cndmask_b32_e64 v5, v6, v3, s7
	v_lshrrev_b32_e32 v6, 3, v8
	s_and_b32 s8, s8, 0xffff
	v_mul_i32_i24_e32 v7, 0xffffffe4, v8
	v_mad_u64_u32 v[0:1], null, v15, s8, v[8:9]
	s_delay_alu instid0(VALU_DEP_3)
	v_and_b32_e32 v14, 60, v6
	v_or_b32_e32 v1, v3, v4
	v_or_b32_e32 v3, 31, v16
	v_cmp_gt_u32_e64 s5, 10, v8
	v_cmp_lt_u32_e64 s6, 31, v8
	v_cmp_eq_u32_e64 s7, 0, v8
	v_add_nc_u32_e32 v15, 40, v13
	v_lshlrev_b32_e32 v16, 2, v5
	v_add_nc_u32_e32 v17, -4, v14
	v_lshlrev_b32_e32 v18, 2, v1
	v_cmp_eq_u32_e64 s8, v3, v8
	v_lshrrev_b32_e32 v19, 5, v0
	v_add_nc_u32_e32 v20, v13, v7
	s_mov_b32 s16, 10
	s_waitcnt vmcnt(0)
	v_add_nc_u32_e32 v21, 1, v2
	v_xor_b32_e32 v22, 0x80000000, v2
	s_branch .LBB33_2
.LBB33_1:                               ;   in Loop: Header=BB33_2 Depth=1
	s_or_b32 exec_lo, exec_lo, s9
	s_waitcnt lgkmcnt(0)
	v_add_nc_u32_e32 v3, v25, v3
	s_add_i32 s16, s16, -1
	s_delay_alu instid0(SALU_CYCLE_1) | instskip(SKIP_3) | instid1(VALU_DEP_1)
	s_cmp_lg_u32 s16, 0
	ds_bpermute_b32 v3, v16, v3
	s_waitcnt lgkmcnt(0)
	v_cndmask_b32_e32 v3, v3, v25, vcc_lo
	v_cndmask_b32_e64 v3, v3, 0, s7
	s_delay_alu instid0(VALU_DEP_1) | instskip(NEXT) | instid1(VALU_DEP_1)
	v_add_nc_u32_e32 v4, v3, v4
	v_add_nc_u32_e32 v5, v4, v5
	s_delay_alu instid0(VALU_DEP_1) | instskip(NEXT) | instid1(VALU_DEP_1)
	v_add_nc_u32_e32 v6, v5, v6
	v_add_nc_u32_e32 v25, v6, v7
	;; [unrolled: 3-line block ×3, first 2 shown]
	s_delay_alu instid0(VALU_DEP_1)
	v_add_nc_u32_e32 v1, v0, v2
	ds_store_2addr_b64 v13, v[3:4], v[5:6] offset0:5 offset1:6
	ds_store_2addr_b64 v15, v[25:26], v[0:1] offset0:2 offset1:3
	s_waitcnt lgkmcnt(0)
	s_barrier
	buffer_gl0_inv
	ds_load_b32 v0, v24
	v_lshlrev_b32_e32 v1, 2, v22
	s_waitcnt lgkmcnt(0)
	s_barrier
	buffer_gl0_inv
	v_lshl_add_u32 v0, v0, 2, v1
	ds_store_b32 v0, v21
	s_waitcnt lgkmcnt(0)
	s_barrier
	buffer_gl0_inv
	ds_load_b32 v22, v20
	s_waitcnt lgkmcnt(0)
	s_barrier
	buffer_gl0_inv
	ds_store_b32 v0, v23
	s_waitcnt lgkmcnt(0)
	s_barrier
	buffer_gl0_inv
	ds_load_b32 v21, v20
	s_cbranch_scc0 .LBB33_34
.LBB33_2:                               ; =>This Inner Loop Header: Depth=1
	s_delay_alu instid0(VALU_DEP_1)
	v_and_b32_e32 v0, 1, v22
	v_lshlrev_b32_e32 v1, 30, v22
	v_lshlrev_b32_e32 v2, 29, v22
	;; [unrolled: 1-line block ×4, first 2 shown]
	v_add_co_u32 v0, s9, v0, -1
	s_delay_alu instid0(VALU_DEP_1)
	v_cndmask_b32_e64 v3, 0, 1, s9
	v_not_b32_e32 v7, v1
	v_cmp_gt_i32_e64 s10, 0, v1
	v_not_b32_e32 v1, v2
	v_lshlrev_b32_e32 v6, 26, v22
	v_cmp_ne_u32_e64 s9, 0, v3
	v_ashrrev_i32_e32 v7, 31, v7
	v_lshlrev_b32_e32 v3, 25, v22
	v_ashrrev_i32_e32 v1, 31, v1
	v_cmp_gt_i32_e64 s11, 0, v5
	v_xor_b32_e32 v0, s9, v0
	v_cmp_gt_i32_e64 s9, 0, v2
	v_not_b32_e32 v2, v4
	v_xor_b32_e32 v7, s10, v7
	v_cmp_gt_i32_e64 s10, 0, v4
	v_and_b32_e32 v0, exec_lo, v0
	v_xor_b32_e32 v1, s9, v1
	v_ashrrev_i32_e32 v2, 31, v2
	v_not_b32_e32 v4, v5
	v_not_b32_e32 v5, v6
	v_and_b32_e32 v0, v0, v7
	v_cmp_gt_i32_e64 s9, 0, v6
	v_xor_b32_e32 v2, s10, v2
	v_not_b32_e32 v6, v3
	ds_store_2addr_b64 v13, v[11:12], v[9:10] offset0:5 offset1:6
	ds_store_2addr_b64 v15, v[11:12], v[9:10] offset0:2 offset1:3
	v_and_b32_e32 v0, v0, v1
	v_ashrrev_i32_e32 v1, 31, v4
	v_ashrrev_i32_e32 v4, 31, v5
	v_lshlrev_b32_e32 v5, 24, v22
	s_waitcnt lgkmcnt(0)
	v_and_b32_e32 v0, v0, v2
	v_xor_b32_e32 v1, s11, v1
	v_xor_b32_e32 v2, s9, v4
	v_cmp_gt_i32_e64 s9, 0, v3
	v_not_b32_e32 v3, v5
	v_ashrrev_i32_e32 v4, 31, v6
	v_and_b32_e32 v0, v0, v1
	v_cmp_gt_i32_e64 s10, 0, v5
	s_barrier
	v_ashrrev_i32_e32 v1, 31, v3
	v_xor_b32_e32 v3, s9, v4
	v_and_b32_e32 v0, v0, v2
	buffer_gl0_inv
	v_xor_b32_e32 v1, s10, v1
	; wave barrier
	v_and_b32_e32 v0, v0, v3
	s_delay_alu instid0(VALU_DEP_1) | instskip(SKIP_1) | instid1(VALU_DEP_2)
	v_and_b32_e32 v0, v0, v1
	v_and_b32_e32 v1, 0xff, v22
	v_mbcnt_lo_u32_b32 v23, v0, 0
	s_delay_alu instid0(VALU_DEP_2) | instskip(SKIP_1) | instid1(VALU_DEP_3)
	v_mad_u32_u24 v1, v1, 10, v19
	v_cmp_ne_u32_e64 s10, 0, v0
	v_cmp_eq_u32_e64 s9, 0, v23
	s_delay_alu instid0(VALU_DEP_3) | instskip(NEXT) | instid1(VALU_DEP_2)
	v_lshl_add_u32 v24, v1, 2, 40
	s_and_b32 s10, s10, s9
	s_delay_alu instid0(SALU_CYCLE_1)
	s_and_saveexec_b32 s9, s10
	s_cbranch_execz .LBB33_4
; %bb.3:                                ;   in Loop: Header=BB33_2 Depth=1
	v_bcnt_u32_b32 v0, v0, 0
	ds_store_b32 v24, v0
.LBB33_4:                               ;   in Loop: Header=BB33_2 Depth=1
	s_or_b32 exec_lo, exec_lo, s9
	; wave barrier
	s_waitcnt lgkmcnt(0)
	s_barrier
	buffer_gl0_inv
	ds_load_2addr_b64 v[4:7], v13 offset0:5 offset1:6
	ds_load_2addr_b64 v[0:3], v15 offset0:2 offset1:3
	s_waitcnt lgkmcnt(1)
	v_add_nc_u32_e32 v25, v5, v4
	s_delay_alu instid0(VALU_DEP_1) | instskip(SKIP_1) | instid1(VALU_DEP_1)
	v_add3_u32 v25, v25, v6, v7
	s_waitcnt lgkmcnt(0)
	v_add3_u32 v25, v25, v0, v1
	s_delay_alu instid0(VALU_DEP_1) | instskip(NEXT) | instid1(VALU_DEP_1)
	v_add3_u32 v3, v25, v2, v3
	v_mov_b32_dpp v25, v3 row_shr:1 row_mask:0xf bank_mask:0xf
	s_delay_alu instid0(VALU_DEP_1) | instskip(NEXT) | instid1(VALU_DEP_1)
	v_cndmask_b32_e64 v25, v25, 0, s0
	v_add_nc_u32_e32 v3, v25, v3
	s_delay_alu instid0(VALU_DEP_1) | instskip(NEXT) | instid1(VALU_DEP_1)
	v_mov_b32_dpp v25, v3 row_shr:2 row_mask:0xf bank_mask:0xf
	v_cndmask_b32_e64 v25, 0, v25, s1
	s_delay_alu instid0(VALU_DEP_1) | instskip(NEXT) | instid1(VALU_DEP_1)
	v_add_nc_u32_e32 v3, v3, v25
	v_mov_b32_dpp v25, v3 row_shr:4 row_mask:0xf bank_mask:0xf
	s_delay_alu instid0(VALU_DEP_1) | instskip(NEXT) | instid1(VALU_DEP_1)
	v_cndmask_b32_e64 v25, 0, v25, s2
	v_add_nc_u32_e32 v3, v3, v25
	s_delay_alu instid0(VALU_DEP_1) | instskip(NEXT) | instid1(VALU_DEP_1)
	v_mov_b32_dpp v25, v3 row_shr:8 row_mask:0xf bank_mask:0xf
	v_cndmask_b32_e64 v25, 0, v25, s3
	s_delay_alu instid0(VALU_DEP_1) | instskip(SKIP_3) | instid1(VALU_DEP_1)
	v_add_nc_u32_e32 v3, v3, v25
	ds_swizzle_b32 v25, v3 offset:swizzle(BROADCAST,32,15)
	s_waitcnt lgkmcnt(0)
	v_cndmask_b32_e64 v25, v25, 0, s4
	v_add_nc_u32_e32 v3, v3, v25
	s_and_saveexec_b32 s9, s8
	s_cbranch_execz .LBB33_6
; %bb.5:                                ;   in Loop: Header=BB33_2 Depth=1
	ds_store_b32 v14, v3
.LBB33_6:                               ;   in Loop: Header=BB33_2 Depth=1
	s_or_b32 exec_lo, exec_lo, s9
	s_waitcnt lgkmcnt(0)
	s_barrier
	buffer_gl0_inv
	s_and_saveexec_b32 s9, s5
	s_cbranch_execz .LBB33_8
; %bb.7:                                ;   in Loop: Header=BB33_2 Depth=1
	ds_load_b32 v25, v20
	s_waitcnt lgkmcnt(0)
	v_mov_b32_dpp v26, v25 row_shr:1 row_mask:0xf bank_mask:0xf
	s_delay_alu instid0(VALU_DEP_1) | instskip(NEXT) | instid1(VALU_DEP_1)
	v_cndmask_b32_e64 v26, v26, 0, s0
	v_add_nc_u32_e32 v25, v26, v25
	s_delay_alu instid0(VALU_DEP_1) | instskip(NEXT) | instid1(VALU_DEP_1)
	v_mov_b32_dpp v26, v25 row_shr:2 row_mask:0xf bank_mask:0xf
	v_cndmask_b32_e64 v26, 0, v26, s1
	s_delay_alu instid0(VALU_DEP_1) | instskip(NEXT) | instid1(VALU_DEP_1)
	v_add_nc_u32_e32 v25, v25, v26
	v_mov_b32_dpp v26, v25 row_shr:4 row_mask:0xf bank_mask:0xf
	s_delay_alu instid0(VALU_DEP_1) | instskip(NEXT) | instid1(VALU_DEP_1)
	v_cndmask_b32_e64 v26, 0, v26, s2
	v_add_nc_u32_e32 v25, v25, v26
	s_delay_alu instid0(VALU_DEP_1) | instskip(NEXT) | instid1(VALU_DEP_1)
	v_mov_b32_dpp v26, v25 row_shr:8 row_mask:0xf bank_mask:0xf
	v_cndmask_b32_e64 v26, 0, v26, s3
	s_delay_alu instid0(VALU_DEP_1)
	v_add_nc_u32_e32 v25, v25, v26
	ds_store_b32 v20, v25
.LBB33_8:                               ;   in Loop: Header=BB33_2 Depth=1
	s_or_b32 exec_lo, exec_lo, s9
	v_mov_b32_e32 v25, 0
	s_waitcnt lgkmcnt(0)
	s_barrier
	buffer_gl0_inv
	s_and_saveexec_b32 s9, s6
	s_cbranch_execz .LBB33_10
; %bb.9:                                ;   in Loop: Header=BB33_2 Depth=1
	ds_load_b32 v25, v17
.LBB33_10:                              ;   in Loop: Header=BB33_2 Depth=1
	s_or_b32 exec_lo, exec_lo, s9
	s_waitcnt lgkmcnt(0)
	v_add_nc_u32_e32 v3, v25, v3
	ds_bpermute_b32 v3, v16, v3
	s_waitcnt lgkmcnt(0)
	v_cndmask_b32_e32 v3, v3, v25, vcc_lo
	s_delay_alu instid0(VALU_DEP_1) | instskip(NEXT) | instid1(VALU_DEP_1)
	v_cndmask_b32_e64 v3, v3, 0, s7
	v_add_nc_u32_e32 v4, v3, v4
	s_delay_alu instid0(VALU_DEP_1) | instskip(NEXT) | instid1(VALU_DEP_1)
	v_add_nc_u32_e32 v5, v4, v5
	v_add_nc_u32_e32 v6, v5, v6
	s_delay_alu instid0(VALU_DEP_1) | instskip(NEXT) | instid1(VALU_DEP_1)
	v_add_nc_u32_e32 v25, v6, v7
	;; [unrolled: 3-line block ×3, first 2 shown]
	v_add_nc_u32_e32 v1, v0, v2
	ds_store_2addr_b64 v13, v[3:4], v[5:6] offset0:5 offset1:6
	ds_store_2addr_b64 v15, v[25:26], v[0:1] offset0:2 offset1:3
	s_waitcnt lgkmcnt(0)
	s_barrier
	buffer_gl0_inv
	ds_load_b32 v0, v24
	v_lshlrev_b32_e32 v1, 2, v23
	s_waitcnt lgkmcnt(0)
	s_barrier
	buffer_gl0_inv
	v_lshl_add_u32 v0, v0, 2, v1
	ds_store_b32 v0, v22
	s_waitcnt lgkmcnt(0)
	s_barrier
	buffer_gl0_inv
	ds_load_b32 v23, v18
	s_waitcnt lgkmcnt(0)
	s_barrier
	buffer_gl0_inv
	ds_store_b32 v0, v21
	s_waitcnt lgkmcnt(0)
	s_barrier
	buffer_gl0_inv
	v_bfe_u32 v1, v23, 8, 1
	v_lshrrev_b32_e32 v2, 8, v23
	s_delay_alu instid0(VALU_DEP_2) | instskip(NEXT) | instid1(VALU_DEP_1)
	v_add_co_u32 v1, s9, v1, -1
	v_cndmask_b32_e64 v3, 0, 1, s9
	s_delay_alu instid0(VALU_DEP_3)
	v_lshlrev_b32_e32 v4, 30, v2
	v_lshlrev_b32_e32 v5, 29, v2
	;; [unrolled: 1-line block ×4, first 2 shown]
	v_cmp_ne_u32_e64 s9, 0, v3
	v_not_b32_e32 v3, v4
	v_cmp_gt_i32_e64 s10, 0, v4
	v_not_b32_e32 v4, v5
	v_lshlrev_b32_e32 v22, 26, v2
	v_xor_b32_e32 v1, s9, v1
	v_ashrrev_i32_e32 v3, 31, v3
	v_cmp_gt_i32_e64 s9, 0, v5
	v_not_b32_e32 v5, v6
	v_ashrrev_i32_e32 v4, 31, v4
	v_and_b32_e32 v1, exec_lo, v1
	v_xor_b32_e32 v3, s10, v3
	v_cmp_gt_i32_e64 s10, 0, v6
	v_not_b32_e32 v6, v7
	v_ashrrev_i32_e32 v5, 31, v5
	v_xor_b32_e32 v4, s9, v4
	v_and_b32_e32 v1, v1, v3
	v_lshlrev_b32_e32 v24, 25, v2
	v_cmp_gt_i32_e64 s9, 0, v7
	v_not_b32_e32 v3, v22
	v_ashrrev_i32_e32 v6, 31, v6
	v_xor_b32_e32 v5, s10, v5
	v_and_b32_e32 v1, v1, v4
	v_lshlrev_b32_e32 v2, 24, v2
	v_cmp_gt_i32_e64 s10, 0, v22
	v_not_b32_e32 v4, v24
	v_ashrrev_i32_e32 v3, 31, v3
	v_xor_b32_e32 v6, s9, v6
	v_and_b32_e32 v1, v1, v5
	v_cmp_gt_i32_e64 s9, 0, v24
	v_not_b32_e32 v5, v2
	v_ashrrev_i32_e32 v4, 31, v4
	v_xor_b32_e32 v3, s10, v3
	v_and_b32_e32 v1, v1, v6
	v_cmp_gt_i32_e64 s10, 0, v2
	v_ashrrev_i32_e32 v2, 31, v5
	v_xor_b32_e32 v4, s9, v4
	ds_load_b32 v22, v18
	v_and_b32_e32 v1, v1, v3
	s_waitcnt lgkmcnt(0)
	v_xor_b32_e32 v0, s10, v2
	s_barrier
	buffer_gl0_inv
	v_and_b32_e32 v1, v1, v4
	ds_store_2addr_b64 v13, v[11:12], v[9:10] offset0:5 offset1:6
	ds_store_2addr_b64 v15, v[11:12], v[9:10] offset0:2 offset1:3
	s_waitcnt lgkmcnt(0)
	s_barrier
	buffer_gl0_inv
	v_and_b32_e32 v0, v1, v0
	v_bfe_u32 v1, v23, 8, 8
	; wave barrier
	s_delay_alu instid0(VALU_DEP_2) | instskip(NEXT) | instid1(VALU_DEP_2)
	v_mbcnt_lo_u32_b32 v21, v0, 0
	v_mad_u32_u24 v1, v1, 10, v19
	v_cmp_ne_u32_e64 s10, 0, v0
	s_delay_alu instid0(VALU_DEP_3) | instskip(NEXT) | instid1(VALU_DEP_3)
	v_cmp_eq_u32_e64 s9, 0, v21
	v_lshl_add_u32 v24, v1, 2, 40
	s_delay_alu instid0(VALU_DEP_2) | instskip(NEXT) | instid1(SALU_CYCLE_1)
	s_and_b32 s10, s10, s9
	s_and_saveexec_b32 s9, s10
	s_cbranch_execz .LBB33_12
; %bb.11:                               ;   in Loop: Header=BB33_2 Depth=1
	v_bcnt_u32_b32 v0, v0, 0
	ds_store_b32 v24, v0
.LBB33_12:                              ;   in Loop: Header=BB33_2 Depth=1
	s_or_b32 exec_lo, exec_lo, s9
	; wave barrier
	s_waitcnt lgkmcnt(0)
	s_barrier
	buffer_gl0_inv
	ds_load_2addr_b64 v[4:7], v13 offset0:5 offset1:6
	ds_load_2addr_b64 v[0:3], v15 offset0:2 offset1:3
	s_waitcnt lgkmcnt(1)
	v_add_nc_u32_e32 v25, v5, v4
	s_delay_alu instid0(VALU_DEP_1) | instskip(SKIP_1) | instid1(VALU_DEP_1)
	v_add3_u32 v25, v25, v6, v7
	s_waitcnt lgkmcnt(0)
	v_add3_u32 v25, v25, v0, v1
	s_delay_alu instid0(VALU_DEP_1) | instskip(NEXT) | instid1(VALU_DEP_1)
	v_add3_u32 v3, v25, v2, v3
	v_mov_b32_dpp v25, v3 row_shr:1 row_mask:0xf bank_mask:0xf
	s_delay_alu instid0(VALU_DEP_1) | instskip(NEXT) | instid1(VALU_DEP_1)
	v_cndmask_b32_e64 v25, v25, 0, s0
	v_add_nc_u32_e32 v3, v25, v3
	s_delay_alu instid0(VALU_DEP_1) | instskip(NEXT) | instid1(VALU_DEP_1)
	v_mov_b32_dpp v25, v3 row_shr:2 row_mask:0xf bank_mask:0xf
	v_cndmask_b32_e64 v25, 0, v25, s1
	s_delay_alu instid0(VALU_DEP_1) | instskip(NEXT) | instid1(VALU_DEP_1)
	v_add_nc_u32_e32 v3, v3, v25
	v_mov_b32_dpp v25, v3 row_shr:4 row_mask:0xf bank_mask:0xf
	s_delay_alu instid0(VALU_DEP_1) | instskip(NEXT) | instid1(VALU_DEP_1)
	v_cndmask_b32_e64 v25, 0, v25, s2
	v_add_nc_u32_e32 v3, v3, v25
	s_delay_alu instid0(VALU_DEP_1) | instskip(NEXT) | instid1(VALU_DEP_1)
	v_mov_b32_dpp v25, v3 row_shr:8 row_mask:0xf bank_mask:0xf
	v_cndmask_b32_e64 v25, 0, v25, s3
	s_delay_alu instid0(VALU_DEP_1) | instskip(SKIP_3) | instid1(VALU_DEP_1)
	v_add_nc_u32_e32 v3, v3, v25
	ds_swizzle_b32 v25, v3 offset:swizzle(BROADCAST,32,15)
	s_waitcnt lgkmcnt(0)
	v_cndmask_b32_e64 v25, v25, 0, s4
	v_add_nc_u32_e32 v3, v3, v25
	s_and_saveexec_b32 s9, s8
	s_cbranch_execz .LBB33_14
; %bb.13:                               ;   in Loop: Header=BB33_2 Depth=1
	ds_store_b32 v14, v3
.LBB33_14:                              ;   in Loop: Header=BB33_2 Depth=1
	s_or_b32 exec_lo, exec_lo, s9
	s_waitcnt lgkmcnt(0)
	s_barrier
	buffer_gl0_inv
	s_and_saveexec_b32 s9, s5
	s_cbranch_execz .LBB33_16
; %bb.15:                               ;   in Loop: Header=BB33_2 Depth=1
	ds_load_b32 v25, v20
	s_waitcnt lgkmcnt(0)
	v_mov_b32_dpp v26, v25 row_shr:1 row_mask:0xf bank_mask:0xf
	s_delay_alu instid0(VALU_DEP_1) | instskip(NEXT) | instid1(VALU_DEP_1)
	v_cndmask_b32_e64 v26, v26, 0, s0
	v_add_nc_u32_e32 v25, v26, v25
	s_delay_alu instid0(VALU_DEP_1) | instskip(NEXT) | instid1(VALU_DEP_1)
	v_mov_b32_dpp v26, v25 row_shr:2 row_mask:0xf bank_mask:0xf
	v_cndmask_b32_e64 v26, 0, v26, s1
	s_delay_alu instid0(VALU_DEP_1) | instskip(NEXT) | instid1(VALU_DEP_1)
	v_add_nc_u32_e32 v25, v25, v26
	v_mov_b32_dpp v26, v25 row_shr:4 row_mask:0xf bank_mask:0xf
	s_delay_alu instid0(VALU_DEP_1) | instskip(NEXT) | instid1(VALU_DEP_1)
	v_cndmask_b32_e64 v26, 0, v26, s2
	v_add_nc_u32_e32 v25, v25, v26
	s_delay_alu instid0(VALU_DEP_1) | instskip(NEXT) | instid1(VALU_DEP_1)
	v_mov_b32_dpp v26, v25 row_shr:8 row_mask:0xf bank_mask:0xf
	v_cndmask_b32_e64 v26, 0, v26, s3
	s_delay_alu instid0(VALU_DEP_1)
	v_add_nc_u32_e32 v25, v25, v26
	ds_store_b32 v20, v25
.LBB33_16:                              ;   in Loop: Header=BB33_2 Depth=1
	s_or_b32 exec_lo, exec_lo, s9
	v_mov_b32_e32 v25, 0
	s_waitcnt lgkmcnt(0)
	s_barrier
	buffer_gl0_inv
	s_and_saveexec_b32 s9, s6
	s_cbranch_execz .LBB33_18
; %bb.17:                               ;   in Loop: Header=BB33_2 Depth=1
	ds_load_b32 v25, v17
.LBB33_18:                              ;   in Loop: Header=BB33_2 Depth=1
	s_or_b32 exec_lo, exec_lo, s9
	s_waitcnt lgkmcnt(0)
	v_add_nc_u32_e32 v3, v25, v3
	ds_bpermute_b32 v3, v16, v3
	s_waitcnt lgkmcnt(0)
	v_cndmask_b32_e32 v3, v3, v25, vcc_lo
	s_delay_alu instid0(VALU_DEP_1) | instskip(NEXT) | instid1(VALU_DEP_1)
	v_cndmask_b32_e64 v3, v3, 0, s7
	v_add_nc_u32_e32 v4, v3, v4
	s_delay_alu instid0(VALU_DEP_1) | instskip(NEXT) | instid1(VALU_DEP_1)
	v_add_nc_u32_e32 v5, v4, v5
	v_add_nc_u32_e32 v6, v5, v6
	s_delay_alu instid0(VALU_DEP_1) | instskip(NEXT) | instid1(VALU_DEP_1)
	v_add_nc_u32_e32 v25, v6, v7
	;; [unrolled: 3-line block ×3, first 2 shown]
	v_add_nc_u32_e32 v1, v0, v2
	ds_store_2addr_b64 v13, v[3:4], v[5:6] offset0:5 offset1:6
	ds_store_2addr_b64 v15, v[25:26], v[0:1] offset0:2 offset1:3
	s_waitcnt lgkmcnt(0)
	s_barrier
	buffer_gl0_inv
	ds_load_b32 v0, v24
	v_lshlrev_b32_e32 v1, 2, v21
	s_waitcnt lgkmcnt(0)
	s_barrier
	buffer_gl0_inv
	v_lshl_add_u32 v0, v0, 2, v1
	v_dual_mov_b32 v1, s20 :: v_dual_mov_b32 v2, s21
	ds_store_b32 v0, v23
	s_waitcnt lgkmcnt(0)
	s_barrier
	buffer_gl0_inv
	ds_load_b32 v21, v18
	s_waitcnt lgkmcnt(0)
	s_barrier
	buffer_gl0_inv
	ds_store_b32 v0, v22
	s_waitcnt lgkmcnt(0)
	s_barrier
	buffer_gl0_inv
	ds_load_b32 v22, v18
	s_waitcnt lgkmcnt(0)
	s_barrier
	buffer_gl0_inv
	v_bfe_u32 v3, v21, 16, 1
	v_lshrrev_b32_e32 v4, 16, v21
	s_delay_alu instid0(VALU_DEP_2) | instskip(NEXT) | instid1(VALU_DEP_1)
	v_add_co_u32 v3, s9, v3, -1
	v_cndmask_b32_e64 v5, 0, 1, s9
	s_delay_alu instid0(VALU_DEP_3)
	v_lshlrev_b32_e32 v6, 30, v4
	v_lshlrev_b32_e32 v7, 29, v4
	;; [unrolled: 1-line block ×4, first 2 shown]
	v_cmp_ne_u32_e64 s9, 0, v5
	v_not_b32_e32 v5, v6
	v_cmp_gt_i32_e64 s10, 0, v6
	v_not_b32_e32 v6, v7
	v_lshlrev_b32_e32 v25, 26, v4
	v_xor_b32_e32 v3, s9, v3
	v_ashrrev_i32_e32 v5, 31, v5
	v_cmp_gt_i32_e64 s9, 0, v7
	v_not_b32_e32 v7, v23
	v_ashrrev_i32_e32 v6, 31, v6
	v_and_b32_e32 v3, exec_lo, v3
	v_xor_b32_e32 v5, s10, v5
	v_cmp_gt_i32_e64 s10, 0, v23
	v_not_b32_e32 v23, v24
	v_ashrrev_i32_e32 v7, 31, v7
	v_xor_b32_e32 v6, s9, v6
	v_and_b32_e32 v3, v3, v5
	v_lshlrev_b32_e32 v26, 25, v4
	v_cmp_gt_i32_e64 s9, 0, v24
	v_not_b32_e32 v5, v25
	v_ashrrev_i32_e32 v23, 31, v23
	v_xor_b32_e32 v7, s10, v7
	v_and_b32_e32 v3, v3, v6
	v_lshlrev_b32_e32 v4, 24, v4
	v_cmp_gt_i32_e64 s10, 0, v25
	v_not_b32_e32 v6, v26
	v_ashrrev_i32_e32 v5, 31, v5
	v_xor_b32_e32 v23, s9, v23
	v_and_b32_e32 v3, v3, v7
	v_cmp_gt_i32_e64 s9, 0, v26
	v_not_b32_e32 v7, v4
	v_ashrrev_i32_e32 v6, 31, v6
	v_xor_b32_e32 v5, s10, v5
	v_and_b32_e32 v3, v3, v23
	v_cmp_gt_i32_e64 s10, 0, v4
	v_ashrrev_i32_e32 v4, 31, v7
	v_xor_b32_e32 v6, s9, v6
	s_delay_alu instid0(VALU_DEP_4) | instskip(NEXT) | instid1(VALU_DEP_3)
	v_and_b32_e32 v3, v3, v5
	v_xor_b32_e32 v0, s10, v4
	s_delay_alu instid0(VALU_DEP_2)
	v_and_b32_e32 v5, v3, v6
	v_dual_mov_b32 v3, s14 :: v_dual_mov_b32 v4, s15
	ds_store_2addr_b64 v13, v[1:2], v[3:4] offset0:5 offset1:6
	ds_store_2addr_b64 v15, v[1:2], v[3:4] offset0:2 offset1:3
	v_and_b32_e32 v0, v5, v0
	v_bfe_u32 v5, v21, 16, 8
	s_waitcnt lgkmcnt(0)
	s_barrier
	buffer_gl0_inv
	v_mbcnt_lo_u32_b32 v23, v0, 0
	v_mad_u32_u24 v1, v5, 10, v19
	v_cmp_ne_u32_e64 s10, 0, v0
	; wave barrier
	s_delay_alu instid0(VALU_DEP_3) | instskip(NEXT) | instid1(VALU_DEP_3)
	v_cmp_eq_u32_e64 s9, 0, v23
	v_lshl_add_u32 v24, v1, 2, 40
	s_delay_alu instid0(VALU_DEP_2) | instskip(NEXT) | instid1(SALU_CYCLE_1)
	s_and_b32 s10, s10, s9
	s_and_saveexec_b32 s9, s10
	s_cbranch_execz .LBB33_20
; %bb.19:                               ;   in Loop: Header=BB33_2 Depth=1
	v_bcnt_u32_b32 v0, v0, 0
	ds_store_b32 v24, v0
.LBB33_20:                              ;   in Loop: Header=BB33_2 Depth=1
	s_or_b32 exec_lo, exec_lo, s9
	; wave barrier
	s_waitcnt lgkmcnt(0)
	s_barrier
	buffer_gl0_inv
	ds_load_2addr_b64 v[4:7], v13 offset0:5 offset1:6
	ds_load_2addr_b64 v[0:3], v15 offset0:2 offset1:3
	s_waitcnt lgkmcnt(1)
	v_add_nc_u32_e32 v25, v5, v4
	s_delay_alu instid0(VALU_DEP_1) | instskip(SKIP_1) | instid1(VALU_DEP_1)
	v_add3_u32 v25, v25, v6, v7
	s_waitcnt lgkmcnt(0)
	v_add3_u32 v25, v25, v0, v1
	s_delay_alu instid0(VALU_DEP_1) | instskip(NEXT) | instid1(VALU_DEP_1)
	v_add3_u32 v3, v25, v2, v3
	v_mov_b32_dpp v25, v3 row_shr:1 row_mask:0xf bank_mask:0xf
	s_delay_alu instid0(VALU_DEP_1) | instskip(NEXT) | instid1(VALU_DEP_1)
	v_cndmask_b32_e64 v25, v25, 0, s0
	v_add_nc_u32_e32 v3, v25, v3
	s_delay_alu instid0(VALU_DEP_1) | instskip(NEXT) | instid1(VALU_DEP_1)
	v_mov_b32_dpp v25, v3 row_shr:2 row_mask:0xf bank_mask:0xf
	v_cndmask_b32_e64 v25, 0, v25, s1
	s_delay_alu instid0(VALU_DEP_1) | instskip(NEXT) | instid1(VALU_DEP_1)
	v_add_nc_u32_e32 v3, v3, v25
	v_mov_b32_dpp v25, v3 row_shr:4 row_mask:0xf bank_mask:0xf
	s_delay_alu instid0(VALU_DEP_1) | instskip(NEXT) | instid1(VALU_DEP_1)
	v_cndmask_b32_e64 v25, 0, v25, s2
	v_add_nc_u32_e32 v3, v3, v25
	s_delay_alu instid0(VALU_DEP_1) | instskip(NEXT) | instid1(VALU_DEP_1)
	v_mov_b32_dpp v25, v3 row_shr:8 row_mask:0xf bank_mask:0xf
	v_cndmask_b32_e64 v25, 0, v25, s3
	s_delay_alu instid0(VALU_DEP_1) | instskip(SKIP_3) | instid1(VALU_DEP_1)
	v_add_nc_u32_e32 v3, v3, v25
	ds_swizzle_b32 v25, v3 offset:swizzle(BROADCAST,32,15)
	s_waitcnt lgkmcnt(0)
	v_cndmask_b32_e64 v25, v25, 0, s4
	v_add_nc_u32_e32 v3, v3, v25
	s_and_saveexec_b32 s9, s8
	s_cbranch_execz .LBB33_22
; %bb.21:                               ;   in Loop: Header=BB33_2 Depth=1
	ds_store_b32 v14, v3
.LBB33_22:                              ;   in Loop: Header=BB33_2 Depth=1
	s_or_b32 exec_lo, exec_lo, s9
	s_waitcnt lgkmcnt(0)
	s_barrier
	buffer_gl0_inv
	s_and_saveexec_b32 s9, s5
	s_cbranch_execz .LBB33_24
; %bb.23:                               ;   in Loop: Header=BB33_2 Depth=1
	ds_load_b32 v25, v20
	s_waitcnt lgkmcnt(0)
	v_mov_b32_dpp v26, v25 row_shr:1 row_mask:0xf bank_mask:0xf
	s_delay_alu instid0(VALU_DEP_1) | instskip(NEXT) | instid1(VALU_DEP_1)
	v_cndmask_b32_e64 v26, v26, 0, s0
	v_add_nc_u32_e32 v25, v26, v25
	s_delay_alu instid0(VALU_DEP_1) | instskip(NEXT) | instid1(VALU_DEP_1)
	v_mov_b32_dpp v26, v25 row_shr:2 row_mask:0xf bank_mask:0xf
	v_cndmask_b32_e64 v26, 0, v26, s1
	s_delay_alu instid0(VALU_DEP_1) | instskip(NEXT) | instid1(VALU_DEP_1)
	v_add_nc_u32_e32 v25, v25, v26
	v_mov_b32_dpp v26, v25 row_shr:4 row_mask:0xf bank_mask:0xf
	s_delay_alu instid0(VALU_DEP_1) | instskip(NEXT) | instid1(VALU_DEP_1)
	v_cndmask_b32_e64 v26, 0, v26, s2
	v_add_nc_u32_e32 v25, v25, v26
	s_delay_alu instid0(VALU_DEP_1) | instskip(NEXT) | instid1(VALU_DEP_1)
	v_mov_b32_dpp v26, v25 row_shr:8 row_mask:0xf bank_mask:0xf
	v_cndmask_b32_e64 v26, 0, v26, s3
	s_delay_alu instid0(VALU_DEP_1)
	v_add_nc_u32_e32 v25, v25, v26
	ds_store_b32 v20, v25
.LBB33_24:                              ;   in Loop: Header=BB33_2 Depth=1
	s_or_b32 exec_lo, exec_lo, s9
	v_mov_b32_e32 v25, 0
	s_waitcnt lgkmcnt(0)
	s_barrier
	buffer_gl0_inv
	s_and_saveexec_b32 s9, s6
	s_cbranch_execz .LBB33_26
; %bb.25:                               ;   in Loop: Header=BB33_2 Depth=1
	ds_load_b32 v25, v17
.LBB33_26:                              ;   in Loop: Header=BB33_2 Depth=1
	s_or_b32 exec_lo, exec_lo, s9
	s_waitcnt lgkmcnt(0)
	v_add_nc_u32_e32 v3, v25, v3
	ds_bpermute_b32 v3, v16, v3
	s_waitcnt lgkmcnt(0)
	v_cndmask_b32_e32 v3, v3, v25, vcc_lo
	s_delay_alu instid0(VALU_DEP_1) | instskip(NEXT) | instid1(VALU_DEP_1)
	v_cndmask_b32_e64 v3, v3, 0, s7
	v_add_nc_u32_e32 v4, v3, v4
	s_delay_alu instid0(VALU_DEP_1) | instskip(NEXT) | instid1(VALU_DEP_1)
	v_add_nc_u32_e32 v5, v4, v5
	v_add_nc_u32_e32 v6, v5, v6
	s_delay_alu instid0(VALU_DEP_1) | instskip(NEXT) | instid1(VALU_DEP_1)
	v_add_nc_u32_e32 v25, v6, v7
	;; [unrolled: 3-line block ×3, first 2 shown]
	v_add_nc_u32_e32 v1, v0, v2
	ds_store_2addr_b64 v13, v[3:4], v[5:6] offset0:5 offset1:6
	ds_store_2addr_b64 v15, v[25:26], v[0:1] offset0:2 offset1:3
	s_waitcnt lgkmcnt(0)
	s_barrier
	buffer_gl0_inv
	ds_load_b32 v0, v24
	v_lshlrev_b32_e32 v1, 2, v23
	s_waitcnt lgkmcnt(0)
	s_barrier
	buffer_gl0_inv
	v_lshl_add_u32 v0, v0, 2, v1
	ds_store_b32 v0, v21
	s_waitcnt lgkmcnt(0)
	s_barrier
	buffer_gl0_inv
	ds_load_b32 v21, v18
	s_waitcnt lgkmcnt(0)
	s_barrier
	buffer_gl0_inv
	ds_store_b32 v0, v22
	s_waitcnt lgkmcnt(0)
	s_barrier
	buffer_gl0_inv
	v_bfe_u32 v1, v21, 24, 1
	v_lshrrev_b32_e32 v5, 24, v21
	s_delay_alu instid0(VALU_DEP_2) | instskip(NEXT) | instid1(VALU_DEP_1)
	v_add_co_u32 v1, s9, v1, -1
	v_cndmask_b32_e64 v2, 0, 1, s9
	s_delay_alu instid0(VALU_DEP_3)
	v_lshlrev_b32_e32 v3, 30, v5
	v_lshlrev_b32_e32 v4, 29, v5
	;; [unrolled: 1-line block ×4, first 2 shown]
	v_cmp_ne_u32_e64 s9, 0, v2
	v_not_b32_e32 v2, v3
	v_cmp_gt_i32_e64 s10, 0, v3
	v_not_b32_e32 v3, v4
	v_lshlrev_b32_e32 v23, 26, v5
	v_xor_b32_e32 v1, s9, v1
	v_ashrrev_i32_e32 v2, 31, v2
	v_cmp_gt_i32_e64 s9, 0, v4
	v_not_b32_e32 v4, v6
	v_ashrrev_i32_e32 v3, 31, v3
	v_and_b32_e32 v1, exec_lo, v1
	v_xor_b32_e32 v2, s10, v2
	v_cmp_gt_i32_e64 s10, 0, v6
	v_not_b32_e32 v6, v7
	v_ashrrev_i32_e32 v4, 31, v4
	v_xor_b32_e32 v3, s9, v3
	v_and_b32_e32 v1, v1, v2
	v_lshlrev_b32_e32 v24, 25, v5
	v_cmp_gt_i32_e64 s9, 0, v7
	v_not_b32_e32 v2, v23
	v_ashrrev_i32_e32 v6, 31, v6
	v_xor_b32_e32 v4, s10, v4
	v_and_b32_e32 v1, v1, v3
	v_cmp_gt_i32_e64 s10, 0, v23
	v_not_b32_e32 v3, v24
	v_ashrrev_i32_e32 v2, 31, v2
	v_xor_b32_e32 v6, s9, v6
	v_and_b32_e32 v1, v1, v4
	v_not_b32_e32 v4, v21
	v_cmp_gt_i32_e64 s9, 0, v24
	v_ashrrev_i32_e32 v3, 31, v3
	v_xor_b32_e32 v2, s10, v2
	v_and_b32_e32 v1, v1, v6
	v_cmp_gt_i32_e64 s10, 0, v21
	v_ashrrev_i32_e32 v4, 31, v4
	v_xor_b32_e32 v3, s9, v3
	ds_load_b32 v23, v18
	v_and_b32_e32 v1, v1, v2
	s_waitcnt lgkmcnt(0)
	v_xor_b32_e32 v0, s10, v4
	s_barrier
	buffer_gl0_inv
	v_and_b32_e32 v3, v1, v3
	v_dual_mov_b32 v1, s20 :: v_dual_mov_b32 v2, s21
	s_delay_alu instid0(VALU_DEP_2)
	v_dual_mov_b32 v3, s14 :: v_dual_and_b32 v0, v3, v0
	v_mov_b32_e32 v4, s15
	ds_store_2addr_b64 v13, v[1:2], v[3:4] offset0:5 offset1:6
	ds_store_2addr_b64 v15, v[1:2], v[3:4] offset0:2 offset1:3
	v_mbcnt_lo_u32_b32 v22, v0, 0
	v_mad_u32_u24 v1, v5, 10, v19
	v_cmp_ne_u32_e64 s10, 0, v0
	s_waitcnt lgkmcnt(0)
	s_barrier
	v_cmp_eq_u32_e64 s9, 0, v22
	v_lshl_add_u32 v24, v1, 2, 40
	buffer_gl0_inv
	; wave barrier
	s_and_b32 s10, s10, s9
	s_delay_alu instid0(SALU_CYCLE_1)
	s_and_saveexec_b32 s9, s10
	s_cbranch_execz .LBB33_28
; %bb.27:                               ;   in Loop: Header=BB33_2 Depth=1
	v_bcnt_u32_b32 v0, v0, 0
	ds_store_b32 v24, v0
.LBB33_28:                              ;   in Loop: Header=BB33_2 Depth=1
	s_or_b32 exec_lo, exec_lo, s9
	; wave barrier
	s_waitcnt lgkmcnt(0)
	s_barrier
	buffer_gl0_inv
	ds_load_2addr_b64 v[4:7], v13 offset0:5 offset1:6
	ds_load_2addr_b64 v[0:3], v15 offset0:2 offset1:3
	s_waitcnt lgkmcnt(1)
	v_add_nc_u32_e32 v25, v5, v4
	s_delay_alu instid0(VALU_DEP_1) | instskip(SKIP_1) | instid1(VALU_DEP_1)
	v_add3_u32 v25, v25, v6, v7
	s_waitcnt lgkmcnt(0)
	v_add3_u32 v25, v25, v0, v1
	s_delay_alu instid0(VALU_DEP_1) | instskip(NEXT) | instid1(VALU_DEP_1)
	v_add3_u32 v3, v25, v2, v3
	v_mov_b32_dpp v25, v3 row_shr:1 row_mask:0xf bank_mask:0xf
	s_delay_alu instid0(VALU_DEP_1) | instskip(NEXT) | instid1(VALU_DEP_1)
	v_cndmask_b32_e64 v25, v25, 0, s0
	v_add_nc_u32_e32 v3, v25, v3
	s_delay_alu instid0(VALU_DEP_1) | instskip(NEXT) | instid1(VALU_DEP_1)
	v_mov_b32_dpp v25, v3 row_shr:2 row_mask:0xf bank_mask:0xf
	v_cndmask_b32_e64 v25, 0, v25, s1
	s_delay_alu instid0(VALU_DEP_1) | instskip(NEXT) | instid1(VALU_DEP_1)
	v_add_nc_u32_e32 v3, v3, v25
	v_mov_b32_dpp v25, v3 row_shr:4 row_mask:0xf bank_mask:0xf
	s_delay_alu instid0(VALU_DEP_1) | instskip(NEXT) | instid1(VALU_DEP_1)
	v_cndmask_b32_e64 v25, 0, v25, s2
	v_add_nc_u32_e32 v3, v3, v25
	s_delay_alu instid0(VALU_DEP_1) | instskip(NEXT) | instid1(VALU_DEP_1)
	v_mov_b32_dpp v25, v3 row_shr:8 row_mask:0xf bank_mask:0xf
	v_cndmask_b32_e64 v25, 0, v25, s3
	s_delay_alu instid0(VALU_DEP_1) | instskip(SKIP_3) | instid1(VALU_DEP_1)
	v_add_nc_u32_e32 v3, v3, v25
	ds_swizzle_b32 v25, v3 offset:swizzle(BROADCAST,32,15)
	s_waitcnt lgkmcnt(0)
	v_cndmask_b32_e64 v25, v25, 0, s4
	v_add_nc_u32_e32 v3, v3, v25
	s_and_saveexec_b32 s9, s8
	s_cbranch_execz .LBB33_30
; %bb.29:                               ;   in Loop: Header=BB33_2 Depth=1
	ds_store_b32 v14, v3
.LBB33_30:                              ;   in Loop: Header=BB33_2 Depth=1
	s_or_b32 exec_lo, exec_lo, s9
	s_waitcnt lgkmcnt(0)
	s_barrier
	buffer_gl0_inv
	s_and_saveexec_b32 s9, s5
	s_cbranch_execz .LBB33_32
; %bb.31:                               ;   in Loop: Header=BB33_2 Depth=1
	ds_load_b32 v25, v20
	s_waitcnt lgkmcnt(0)
	v_mov_b32_dpp v26, v25 row_shr:1 row_mask:0xf bank_mask:0xf
	s_delay_alu instid0(VALU_DEP_1) | instskip(NEXT) | instid1(VALU_DEP_1)
	v_cndmask_b32_e64 v26, v26, 0, s0
	v_add_nc_u32_e32 v25, v26, v25
	s_delay_alu instid0(VALU_DEP_1) | instskip(NEXT) | instid1(VALU_DEP_1)
	v_mov_b32_dpp v26, v25 row_shr:2 row_mask:0xf bank_mask:0xf
	v_cndmask_b32_e64 v26, 0, v26, s1
	s_delay_alu instid0(VALU_DEP_1) | instskip(NEXT) | instid1(VALU_DEP_1)
	v_add_nc_u32_e32 v25, v25, v26
	v_mov_b32_dpp v26, v25 row_shr:4 row_mask:0xf bank_mask:0xf
	s_delay_alu instid0(VALU_DEP_1) | instskip(NEXT) | instid1(VALU_DEP_1)
	v_cndmask_b32_e64 v26, 0, v26, s2
	v_add_nc_u32_e32 v25, v25, v26
	s_delay_alu instid0(VALU_DEP_1) | instskip(NEXT) | instid1(VALU_DEP_1)
	v_mov_b32_dpp v26, v25 row_shr:8 row_mask:0xf bank_mask:0xf
	v_cndmask_b32_e64 v26, 0, v26, s3
	s_delay_alu instid0(VALU_DEP_1)
	v_add_nc_u32_e32 v25, v25, v26
	ds_store_b32 v20, v25
.LBB33_32:                              ;   in Loop: Header=BB33_2 Depth=1
	s_or_b32 exec_lo, exec_lo, s9
	v_mov_b32_e32 v25, 0
	s_waitcnt lgkmcnt(0)
	s_barrier
	buffer_gl0_inv
	s_and_saveexec_b32 s9, s6
	s_cbranch_execz .LBB33_1
; %bb.33:                               ;   in Loop: Header=BB33_2 Depth=1
	ds_load_b32 v25, v17
	s_branch .LBB33_1
.LBB33_34:
	s_waitcnt lgkmcnt(0)
	v_add3_u32 v0, v21, v22, 0x80000000
	v_lshlrev_b32_e32 v1, 2, v8
	s_add_u32 s0, s18, s12
	s_addc_u32 s1, s19, s13
	global_store_b32 v1, v0, s[0:1]
	s_nop 0
	s_sendmsg sendmsg(MSG_DEALLOC_VGPRS)
	s_endpgm
	.section	.rodata,"a",@progbits
	.p2align	6, 0x0
	.amdhsa_kernel _Z17sort_pairs_kernelI22helper_blocked_blockediLj320ELj1ELj10EEvPKT0_PS1_
		.amdhsa_group_segment_fixed_size 10288
		.amdhsa_private_segment_fixed_size 0
		.amdhsa_kernarg_size 272
		.amdhsa_user_sgpr_count 15
		.amdhsa_user_sgpr_dispatch_ptr 0
		.amdhsa_user_sgpr_queue_ptr 0
		.amdhsa_user_sgpr_kernarg_segment_ptr 1
		.amdhsa_user_sgpr_dispatch_id 0
		.amdhsa_user_sgpr_private_segment_size 0
		.amdhsa_wavefront_size32 1
		.amdhsa_uses_dynamic_stack 0
		.amdhsa_enable_private_segment 0
		.amdhsa_system_sgpr_workgroup_id_x 1
		.amdhsa_system_sgpr_workgroup_id_y 0
		.amdhsa_system_sgpr_workgroup_id_z 0
		.amdhsa_system_sgpr_workgroup_info 0
		.amdhsa_system_vgpr_workitem_id 2
		.amdhsa_next_free_vgpr 27
		.amdhsa_next_free_sgpr 22
		.amdhsa_reserve_vcc 1
		.amdhsa_float_round_mode_32 0
		.amdhsa_float_round_mode_16_64 0
		.amdhsa_float_denorm_mode_32 3
		.amdhsa_float_denorm_mode_16_64 3
		.amdhsa_dx10_clamp 1
		.amdhsa_ieee_mode 1
		.amdhsa_fp16_overflow 0
		.amdhsa_workgroup_processor_mode 1
		.amdhsa_memory_ordered 1
		.amdhsa_forward_progress 0
		.amdhsa_shared_vgpr_count 0
		.amdhsa_exception_fp_ieee_invalid_op 0
		.amdhsa_exception_fp_denorm_src 0
		.amdhsa_exception_fp_ieee_div_zero 0
		.amdhsa_exception_fp_ieee_overflow 0
		.amdhsa_exception_fp_ieee_underflow 0
		.amdhsa_exception_fp_ieee_inexact 0
		.amdhsa_exception_int_div_zero 0
	.end_amdhsa_kernel
	.section	.text._Z17sort_pairs_kernelI22helper_blocked_blockediLj320ELj1ELj10EEvPKT0_PS1_,"axG",@progbits,_Z17sort_pairs_kernelI22helper_blocked_blockediLj320ELj1ELj10EEvPKT0_PS1_,comdat
.Lfunc_end33:
	.size	_Z17sort_pairs_kernelI22helper_blocked_blockediLj320ELj1ELj10EEvPKT0_PS1_, .Lfunc_end33-_Z17sort_pairs_kernelI22helper_blocked_blockediLj320ELj1ELj10EEvPKT0_PS1_
                                        ; -- End function
	.section	.AMDGPU.csdata,"",@progbits
; Kernel info:
; codeLenInByte = 4532
; NumSgprs: 24
; NumVgprs: 27
; ScratchSize: 0
; MemoryBound: 0
; FloatMode: 240
; IeeeMode: 1
; LDSByteSize: 10288 bytes/workgroup (compile time only)
; SGPRBlocks: 2
; VGPRBlocks: 3
; NumSGPRsForWavesPerEU: 24
; NumVGPRsForWavesPerEU: 27
; Occupancy: 15
; WaveLimiterHint : 0
; COMPUTE_PGM_RSRC2:SCRATCH_EN: 0
; COMPUTE_PGM_RSRC2:USER_SGPR: 15
; COMPUTE_PGM_RSRC2:TRAP_HANDLER: 0
; COMPUTE_PGM_RSRC2:TGID_X_EN: 1
; COMPUTE_PGM_RSRC2:TGID_Y_EN: 0
; COMPUTE_PGM_RSRC2:TGID_Z_EN: 0
; COMPUTE_PGM_RSRC2:TIDIG_COMP_CNT: 2
	.section	.text._Z16sort_keys_kernelI22helper_blocked_blockediLj320ELj3ELj10EEvPKT0_PS1_,"axG",@progbits,_Z16sort_keys_kernelI22helper_blocked_blockediLj320ELj3ELj10EEvPKT0_PS1_,comdat
	.protected	_Z16sort_keys_kernelI22helper_blocked_blockediLj320ELj3ELj10EEvPKT0_PS1_ ; -- Begin function _Z16sort_keys_kernelI22helper_blocked_blockediLj320ELj3ELj10EEvPKT0_PS1_
	.globl	_Z16sort_keys_kernelI22helper_blocked_blockediLj320ELj3ELj10EEvPKT0_PS1_
	.p2align	8
	.type	_Z16sort_keys_kernelI22helper_blocked_blockediLj320ELj3ELj10EEvPKT0_PS1_,@function
_Z16sort_keys_kernelI22helper_blocked_blockediLj320ELj3ELj10EEvPKT0_PS1_: ; @_Z16sort_keys_kernelI22helper_blocked_blockediLj320ELj3ELj10EEvPKT0_PS1_
; %bb.0:
	s_mov_b32 s11, 0
	s_mul_i32 s10, s15, 0x3c0
	s_clause 0x1
	s_load_b128 s[16:19], s[0:1], 0x0
	s_load_b32 s2, s[0:1], 0x1c
	s_lshl_b64 s[12:13], s[10:11], 2
	s_mov_b32 s10, s11
	v_and_b32_e32 v8, 0x3ff, v0
	v_mbcnt_lo_u32_b32 v7, -1, 0
	s_mov_b32 s14, s11
	s_mov_b32 s15, s11
	v_bfe_u32 v4, v0, 10, 10
	v_lshrrev_b32_e32 v6, 5, v8
	v_bfe_u32 v0, v0, 20, 10
	v_cmp_eq_u32_e64 s8, 0, v7
	v_dual_mov_b32 v11, s14 :: v_dual_mov_b32 v12, s15
	s_delay_alu instid0(VALU_DEP_4) | instskip(SKIP_1) | instid1(VALU_DEP_2)
	v_mul_u32_u24_e32 v5, 0x60, v6
	v_lshlrev_b32_e32 v19, 2, v6
	v_or_b32_e32 v10, v7, v5
	s_waitcnt lgkmcnt(0)
	s_add_u32 s0, s16, s12
	s_addc_u32 s1, s17, s13
	v_lshlrev_b32_e32 v9, 2, v5
	v_add_nc_u32_e32 v21, -4, v19
	v_lshlrev_b32_e32 v15, 2, v10
	v_add_nc_u32_e32 v10, -1, v7
	s_delay_alu instid0(VALU_DEP_4) | instskip(NEXT) | instid1(VALU_DEP_2)
	v_mad_u32_u24 v13, v7, 12, v9
	v_cmp_gt_i32_e32 vcc_lo, 0, v10
	v_lshlrev_b32_e32 v1, 2, v8
	s_clause 0x2
	global_load_b32 v2, v1, s[0:1]
	global_load_b32 v3, v1, s[0:1] offset:1280
	global_load_b32 v1, v1, s[0:1] offset:2560
	s_lshr_b32 s0, s2, 16
	s_delay_alu instid0(SALU_CYCLE_1)
	v_mad_u32_u24 v0, v0, s0, v4
	s_and_b32 s0, s2, 0xffff
	s_delay_alu instid0(VALU_DEP_1) | instid1(SALU_CYCLE_1)
	v_mad_u64_u32 v[4:5], null, v0, s0, v[8:9]
	v_and_b32_e32 v0, 15, v7
	v_and_b32_e32 v9, 16, v7
	s_delay_alu instid0(VALU_DEP_2)
	v_cmp_eq_u32_e64 s0, 0, v0
	v_cmp_lt_u32_e64 s1, 1, v0
	v_cmp_lt_u32_e64 s2, 3, v0
	v_cmp_lt_u32_e64 s3, 7, v0
	v_cndmask_b32_e32 v0, v10, v7, vcc_lo
	v_cmp_eq_u32_e64 s4, 0, v9
	v_mov_b32_e32 v9, s10
	v_and_b32_e32 v5, 0x1e0, v8
	v_lshrrev_b32_e32 v17, 5, v4
	v_lshlrev_b32_e32 v14, 5, v8
	v_lshlrev_b32_e32 v23, 3, v8
	;; [unrolled: 1-line block ×3, first 2 shown]
	v_min_u32_e32 v4, 0x120, v5
	v_cmp_gt_u32_e64 s6, 10, v8
	v_mad_i32_i24 v20, 0xffffffe4, v8, v14
	v_add_nc_u32_e32 v16, 40, v14
	v_cmp_lt_u32_e64 s7, 31, v8
	v_or_b32_e32 v4, 31, v4
	v_cmp_eq_u32_e64 s9, 0, v8
	v_dual_mov_b32 v10, s11 :: v_dual_add_nc_u32 v23, v20, v23
	s_delay_alu instid0(VALU_DEP_3) | instskip(SKIP_1) | instid1(VALU_DEP_1)
	v_cmp_eq_u32_e64 s5, v4, v8
	v_mul_u32_u24_e32 v4, 3, v5
	v_or_b32_e32 v0, v7, v4
	s_delay_alu instid0(VALU_DEP_1)
	v_lshlrev_b32_e32 v22, 2, v0
	s_branch .LBB34_2
.LBB34_1:                               ;   in Loop: Header=BB34_2 Depth=1
	v_lshlrev_b32_e32 v0, 2, v5
	v_lshlrev_b32_e32 v1, 2, v4
	;; [unrolled: 1-line block ×3, first 2 shown]
	s_barrier
	buffer_gl0_inv
	ds_store_b32 v0, v24
	ds_store_b32 v1, v26
	;; [unrolled: 1-line block ×3, first 2 shown]
	s_waitcnt lgkmcnt(0)
	s_barrier
	buffer_gl0_inv
	ds_load_2addr_b32 v[0:1], v23 offset1:1
	ds_load_b32 v4, v23 offset:8
	s_add_i32 s11, s11, 1
	s_delay_alu instid0(SALU_CYCLE_1)
	s_cmp_eq_u32 s11, 10
	s_waitcnt lgkmcnt(1)
	v_xor_b32_e32 v2, 0x80000000, v0
	v_xor_b32_e32 v3, 0x80000000, v1
	s_waitcnt lgkmcnt(0)
	v_xor_b32_e32 v1, 0x80000000, v4
	s_cbranch_scc1 .LBB34_18
.LBB34_2:                               ; =>This Loop Header: Depth=1
                                        ;     Child Loop BB34_4 Depth 2
	s_waitcnt vmcnt(2)
	v_xor_b32_e32 v0, 0x80000000, v2
	s_waitcnt vmcnt(1)
	v_xor_b32_e32 v2, 0x80000000, v3
	;; [unrolled: 2-line block ×3, first 2 shown]
	s_mov_b32 s14, 0
	ds_store_2addr_b32 v13, v0, v2 offset1:1
	ds_store_b32 v13, v1 offset:8
	; wave barrier
	ds_load_2addr_b32 v[0:1], v15 offset1:32
	ds_load_b32 v2, v15 offset:256
	s_waitcnt lgkmcnt(0)
	s_barrier
	buffer_gl0_inv
	; wave barrier
	s_barrier
	s_branch .LBB34_4
.LBB34_3:                               ;   in Loop: Header=BB34_4 Depth=2
	v_lshlrev_b32_e32 v0, 2, v5
	v_lshlrev_b32_e32 v1, 2, v4
	s_delay_alu instid0(VALU_DEP_3)
	v_lshlrev_b32_e32 v2, 2, v3
	s_barrier
	buffer_gl0_inv
	ds_store_b32 v0, v24
	ds_store_b32 v1, v26
	;; [unrolled: 1-line block ×3, first 2 shown]
	s_waitcnt lgkmcnt(0)
	s_barrier
	buffer_gl0_inv
	ds_load_2addr_b32 v[0:1], v22 offset1:32
	ds_load_b32 v2, v22 offset:256
	s_add_i32 s14, s14, 8
	s_waitcnt lgkmcnt(0)
	s_barrier
	s_cbranch_execz .LBB34_1
.LBB34_4:                               ;   Parent Loop BB34_2 Depth=1
                                        ; =>  This Inner Loop Header: Depth=2
	v_mov_b32_e32 v24, v0
	buffer_gl0_inv
	ds_store_2addr_b64 v14, v[9:10], v[11:12] offset0:5 offset1:6
	ds_store_2addr_b64 v16, v[9:10], v[11:12] offset0:2 offset1:3
	s_waitcnt lgkmcnt(0)
	s_barrier
	v_lshrrev_b32_e32 v3, s14, v24
	buffer_gl0_inv
	; wave barrier
	v_lshlrev_b32_e32 v5, 30, v3
	v_bfe_u32 v0, v24, s14, 1
	v_lshlrev_b32_e32 v6, 29, v3
	v_lshlrev_b32_e32 v7, 28, v3
	;; [unrolled: 1-line block ×4, first 2 shown]
	v_add_co_u32 v0, s10, v0, -1
	s_delay_alu instid0(VALU_DEP_1) | instskip(SKIP_3) | instid1(VALU_DEP_4)
	v_cndmask_b32_e64 v4, 0, 1, s10
	v_cmp_gt_i32_e64 s10, 0, v5
	v_lshlrev_b32_e32 v27, 25, v3
	v_lshlrev_b32_e32 v3, 24, v3
	v_cmp_ne_u32_e32 vcc_lo, 0, v4
	v_not_b32_e32 v4, v5
	v_not_b32_e32 v5, v6
	v_xor_b32_e32 v0, vcc_lo, v0
	s_delay_alu instid0(VALU_DEP_3)
	v_ashrrev_i32_e32 v4, 31, v4
	v_cmp_gt_i32_e32 vcc_lo, 0, v6
	v_not_b32_e32 v6, v7
	v_ashrrev_i32_e32 v5, 31, v5
	v_and_b32_e32 v0, exec_lo, v0
	v_xor_b32_e32 v4, s10, v4
	v_cmp_gt_i32_e64 s10, 0, v7
	v_not_b32_e32 v7, v25
	v_ashrrev_i32_e32 v6, 31, v6
	v_xor_b32_e32 v5, vcc_lo, v5
	v_and_b32_e32 v0, v0, v4
	v_cmp_gt_i32_e32 vcc_lo, 0, v25
	v_not_b32_e32 v4, v26
	v_ashrrev_i32_e32 v7, 31, v7
	v_xor_b32_e32 v6, s10, v6
	v_and_b32_e32 v0, v0, v5
	v_cmp_gt_i32_e64 s10, 0, v26
	v_mov_b32_e32 v26, v1
	v_not_b32_e32 v5, v27
	v_ashrrev_i32_e32 v4, 31, v4
	v_xor_b32_e32 v7, vcc_lo, v7
	v_and_b32_e32 v0, v0, v6
	v_cmp_gt_i32_e32 vcc_lo, 0, v27
	v_not_b32_e32 v6, v3
	v_ashrrev_i32_e32 v5, 31, v5
	v_xor_b32_e32 v4, s10, v4
	v_and_b32_e32 v0, v0, v7
	v_cmp_gt_i32_e64 s10, 0, v3
	v_ashrrev_i32_e32 v3, 31, v6
	v_xor_b32_e32 v5, vcc_lo, v5
	v_bfe_u32 v1, v24, s14, 8
	v_dual_mov_b32 v25, v2 :: v_dual_and_b32 v0, v0, v4
	s_delay_alu instid0(VALU_DEP_4) | instskip(NEXT) | instid1(VALU_DEP_3)
	v_xor_b32_e32 v3, s10, v3
	v_mad_u32_u24 v1, v1, 10, v17
	s_delay_alu instid0(VALU_DEP_3) | instskip(NEXT) | instid1(VALU_DEP_2)
	v_and_b32_e32 v0, v0, v5
	v_lshl_add_u32 v28, v1, 2, 40
	s_delay_alu instid0(VALU_DEP_2) | instskip(NEXT) | instid1(VALU_DEP_1)
	v_and_b32_e32 v0, v0, v3
	v_mbcnt_lo_u32_b32 v27, v0, 0
	v_cmp_ne_u32_e64 s10, 0, v0
	s_delay_alu instid0(VALU_DEP_2) | instskip(NEXT) | instid1(VALU_DEP_2)
	v_cmp_eq_u32_e32 vcc_lo, 0, v27
	s_and_b32 s15, s10, vcc_lo
	s_delay_alu instid0(SALU_CYCLE_1)
	s_and_saveexec_b32 s10, s15
	s_cbranch_execz .LBB34_6
; %bb.5:                                ;   in Loop: Header=BB34_4 Depth=2
	v_bcnt_u32_b32 v0, v0, 0
	ds_store_b32 v28, v0
.LBB34_6:                               ;   in Loop: Header=BB34_4 Depth=2
	s_or_b32 exec_lo, exec_lo, s10
	v_bfe_u32 v0, v26, s14, 1
	v_lshrrev_b32_e32 v1, s14, v26
	; wave barrier
	s_delay_alu instid0(VALU_DEP_2) | instskip(NEXT) | instid1(VALU_DEP_1)
	v_add_co_u32 v0, s10, v0, -1
	v_cndmask_b32_e64 v2, 0, 1, s10
	s_delay_alu instid0(VALU_DEP_3)
	v_lshlrev_b32_e32 v3, 30, v1
	v_lshlrev_b32_e32 v4, 29, v1
	;; [unrolled: 1-line block ×4, first 2 shown]
	v_cmp_ne_u32_e32 vcc_lo, 0, v2
	v_not_b32_e32 v2, v3
	v_cmp_gt_i32_e64 s10, 0, v3
	v_not_b32_e32 v3, v4
	v_lshlrev_b32_e32 v7, 26, v1
	v_xor_b32_e32 v0, vcc_lo, v0
	v_ashrrev_i32_e32 v2, 31, v2
	v_cmp_gt_i32_e32 vcc_lo, 0, v4
	v_not_b32_e32 v4, v5
	v_ashrrev_i32_e32 v3, 31, v3
	v_and_b32_e32 v0, exec_lo, v0
	v_xor_b32_e32 v2, s10, v2
	v_cmp_gt_i32_e64 s10, 0, v5
	v_not_b32_e32 v5, v6
	v_ashrrev_i32_e32 v4, 31, v4
	v_xor_b32_e32 v3, vcc_lo, v3
	v_and_b32_e32 v0, v0, v2
	v_cmp_gt_i32_e32 vcc_lo, 0, v6
	v_not_b32_e32 v2, v7
	v_ashrrev_i32_e32 v5, 31, v5
	v_xor_b32_e32 v4, s10, v4
	v_and_b32_e32 v0, v0, v3
	v_lshlrev_b32_e32 v3, 25, v1
	v_cmp_gt_i32_e64 s10, 0, v7
	v_ashrrev_i32_e32 v2, 31, v2
	v_xor_b32_e32 v5, vcc_lo, v5
	v_and_b32_e32 v0, v0, v4
	v_not_b32_e32 v6, v3
	v_lshlrev_b32_e32 v1, 24, v1
	v_bfe_u32 v4, v26, s14, 8
	v_xor_b32_e32 v2, s10, v2
	v_and_b32_e32 v0, v0, v5
	v_cmp_gt_i32_e32 vcc_lo, 0, v3
	v_ashrrev_i32_e32 v3, 31, v6
	v_not_b32_e32 v5, v1
	v_mul_u32_u24_e32 v4, 10, v4
	v_and_b32_e32 v0, v0, v2
	s_delay_alu instid0(VALU_DEP_4) | instskip(SKIP_3) | instid1(VALU_DEP_4)
	v_xor_b32_e32 v2, vcc_lo, v3
	v_cmp_gt_i32_e32 vcc_lo, 0, v1
	v_ashrrev_i32_e32 v1, 31, v5
	v_add_lshl_u32 v3, v4, v17, 2
	v_and_b32_e32 v0, v0, v2
	s_delay_alu instid0(VALU_DEP_3) | instskip(SKIP_3) | instid1(VALU_DEP_1)
	v_xor_b32_e32 v1, vcc_lo, v1
	ds_load_b32 v29, v3 offset:40
	v_add_nc_u32_e32 v31, 40, v3
	; wave barrier
	v_and_b32_e32 v0, v0, v1
	v_mbcnt_lo_u32_b32 v30, v0, 0
	v_cmp_ne_u32_e64 s10, 0, v0
	s_delay_alu instid0(VALU_DEP_2) | instskip(NEXT) | instid1(VALU_DEP_2)
	v_cmp_eq_u32_e32 vcc_lo, 0, v30
	s_and_b32 s15, s10, vcc_lo
	s_delay_alu instid0(SALU_CYCLE_1)
	s_and_saveexec_b32 s10, s15
	s_cbranch_execz .LBB34_8
; %bb.7:                                ;   in Loop: Header=BB34_4 Depth=2
	s_waitcnt lgkmcnt(0)
	v_bcnt_u32_b32 v0, v0, v29
	ds_store_b32 v31, v0
.LBB34_8:                               ;   in Loop: Header=BB34_4 Depth=2
	s_or_b32 exec_lo, exec_lo, s10
	v_bfe_u32 v0, v25, s14, 1
	v_lshrrev_b32_e32 v1, s14, v25
	; wave barrier
	s_delay_alu instid0(VALU_DEP_2) | instskip(NEXT) | instid1(VALU_DEP_1)
	v_add_co_u32 v0, s10, v0, -1
	v_cndmask_b32_e64 v2, 0, 1, s10
	s_delay_alu instid0(VALU_DEP_3)
	v_lshlrev_b32_e32 v3, 30, v1
	v_lshlrev_b32_e32 v4, 29, v1
	;; [unrolled: 1-line block ×4, first 2 shown]
	v_cmp_ne_u32_e32 vcc_lo, 0, v2
	v_not_b32_e32 v2, v3
	v_cmp_gt_i32_e64 s10, 0, v3
	v_not_b32_e32 v3, v4
	v_lshlrev_b32_e32 v7, 26, v1
	v_xor_b32_e32 v0, vcc_lo, v0
	v_ashrrev_i32_e32 v2, 31, v2
	v_cmp_gt_i32_e32 vcc_lo, 0, v4
	v_not_b32_e32 v4, v5
	v_ashrrev_i32_e32 v3, 31, v3
	v_and_b32_e32 v0, exec_lo, v0
	v_xor_b32_e32 v2, s10, v2
	v_cmp_gt_i32_e64 s10, 0, v5
	v_not_b32_e32 v5, v6
	v_ashrrev_i32_e32 v4, 31, v4
	v_xor_b32_e32 v3, vcc_lo, v3
	v_and_b32_e32 v0, v0, v2
	v_cmp_gt_i32_e32 vcc_lo, 0, v6
	v_not_b32_e32 v2, v7
	v_ashrrev_i32_e32 v5, 31, v5
	v_xor_b32_e32 v4, s10, v4
	v_and_b32_e32 v0, v0, v3
	v_lshlrev_b32_e32 v3, 25, v1
	v_cmp_gt_i32_e64 s10, 0, v7
	v_ashrrev_i32_e32 v2, 31, v2
	v_xor_b32_e32 v5, vcc_lo, v5
	v_and_b32_e32 v0, v0, v4
	v_not_b32_e32 v6, v3
	v_lshlrev_b32_e32 v1, 24, v1
	v_bfe_u32 v4, v25, s14, 8
	v_xor_b32_e32 v2, s10, v2
	v_and_b32_e32 v0, v0, v5
	v_cmp_gt_i32_e32 vcc_lo, 0, v3
	v_ashrrev_i32_e32 v3, 31, v6
	v_not_b32_e32 v5, v1
	v_mul_u32_u24_e32 v4, 10, v4
	v_and_b32_e32 v0, v0, v2
	s_delay_alu instid0(VALU_DEP_4) | instskip(SKIP_3) | instid1(VALU_DEP_4)
	v_xor_b32_e32 v2, vcc_lo, v3
	v_cmp_gt_i32_e32 vcc_lo, 0, v1
	v_ashrrev_i32_e32 v1, 31, v5
	v_add_lshl_u32 v3, v4, v17, 2
	v_and_b32_e32 v0, v0, v2
	s_delay_alu instid0(VALU_DEP_3) | instskip(SKIP_3) | instid1(VALU_DEP_1)
	v_xor_b32_e32 v1, vcc_lo, v1
	ds_load_b32 v32, v3 offset:40
	v_add_nc_u32_e32 v34, 40, v3
	; wave barrier
	v_and_b32_e32 v0, v0, v1
	v_mbcnt_lo_u32_b32 v33, v0, 0
	v_cmp_ne_u32_e64 s10, 0, v0
	s_delay_alu instid0(VALU_DEP_2) | instskip(NEXT) | instid1(VALU_DEP_2)
	v_cmp_eq_u32_e32 vcc_lo, 0, v33
	s_and_b32 s15, s10, vcc_lo
	s_delay_alu instid0(SALU_CYCLE_1)
	s_and_saveexec_b32 s10, s15
	s_cbranch_execz .LBB34_10
; %bb.9:                                ;   in Loop: Header=BB34_4 Depth=2
	s_waitcnt lgkmcnt(0)
	v_bcnt_u32_b32 v0, v0, v32
	ds_store_b32 v34, v0
.LBB34_10:                              ;   in Loop: Header=BB34_4 Depth=2
	s_or_b32 exec_lo, exec_lo, s10
	; wave barrier
	s_waitcnt lgkmcnt(0)
	s_barrier
	buffer_gl0_inv
	ds_load_2addr_b64 v[4:7], v14 offset0:5 offset1:6
	ds_load_2addr_b64 v[0:3], v16 offset0:2 offset1:3
	s_waitcnt lgkmcnt(1)
	v_add_nc_u32_e32 v35, v5, v4
	s_delay_alu instid0(VALU_DEP_1) | instskip(SKIP_1) | instid1(VALU_DEP_1)
	v_add3_u32 v35, v35, v6, v7
	s_waitcnt lgkmcnt(0)
	v_add3_u32 v35, v35, v0, v1
	s_delay_alu instid0(VALU_DEP_1) | instskip(NEXT) | instid1(VALU_DEP_1)
	v_add3_u32 v3, v35, v2, v3
	v_mov_b32_dpp v35, v3 row_shr:1 row_mask:0xf bank_mask:0xf
	s_delay_alu instid0(VALU_DEP_1) | instskip(NEXT) | instid1(VALU_DEP_1)
	v_cndmask_b32_e64 v35, v35, 0, s0
	v_add_nc_u32_e32 v3, v35, v3
	s_delay_alu instid0(VALU_DEP_1) | instskip(NEXT) | instid1(VALU_DEP_1)
	v_mov_b32_dpp v35, v3 row_shr:2 row_mask:0xf bank_mask:0xf
	v_cndmask_b32_e64 v35, 0, v35, s1
	s_delay_alu instid0(VALU_DEP_1) | instskip(NEXT) | instid1(VALU_DEP_1)
	v_add_nc_u32_e32 v3, v3, v35
	v_mov_b32_dpp v35, v3 row_shr:4 row_mask:0xf bank_mask:0xf
	s_delay_alu instid0(VALU_DEP_1) | instskip(NEXT) | instid1(VALU_DEP_1)
	v_cndmask_b32_e64 v35, 0, v35, s2
	v_add_nc_u32_e32 v3, v3, v35
	s_delay_alu instid0(VALU_DEP_1) | instskip(NEXT) | instid1(VALU_DEP_1)
	v_mov_b32_dpp v35, v3 row_shr:8 row_mask:0xf bank_mask:0xf
	v_cndmask_b32_e64 v35, 0, v35, s3
	s_delay_alu instid0(VALU_DEP_1) | instskip(SKIP_3) | instid1(VALU_DEP_1)
	v_add_nc_u32_e32 v3, v3, v35
	ds_swizzle_b32 v35, v3 offset:swizzle(BROADCAST,32,15)
	s_waitcnt lgkmcnt(0)
	v_cndmask_b32_e64 v35, v35, 0, s4
	v_add_nc_u32_e32 v3, v3, v35
	s_and_saveexec_b32 s10, s5
	s_cbranch_execz .LBB34_12
; %bb.11:                               ;   in Loop: Header=BB34_4 Depth=2
	ds_store_b32 v19, v3
.LBB34_12:                              ;   in Loop: Header=BB34_4 Depth=2
	s_or_b32 exec_lo, exec_lo, s10
	s_waitcnt lgkmcnt(0)
	s_barrier
	buffer_gl0_inv
	s_and_saveexec_b32 s10, s6
	s_cbranch_execz .LBB34_14
; %bb.13:                               ;   in Loop: Header=BB34_4 Depth=2
	ds_load_b32 v35, v20
	s_waitcnt lgkmcnt(0)
	v_mov_b32_dpp v36, v35 row_shr:1 row_mask:0xf bank_mask:0xf
	s_delay_alu instid0(VALU_DEP_1) | instskip(NEXT) | instid1(VALU_DEP_1)
	v_cndmask_b32_e64 v36, v36, 0, s0
	v_add_nc_u32_e32 v35, v36, v35
	s_delay_alu instid0(VALU_DEP_1) | instskip(NEXT) | instid1(VALU_DEP_1)
	v_mov_b32_dpp v36, v35 row_shr:2 row_mask:0xf bank_mask:0xf
	v_cndmask_b32_e64 v36, 0, v36, s1
	s_delay_alu instid0(VALU_DEP_1) | instskip(NEXT) | instid1(VALU_DEP_1)
	v_add_nc_u32_e32 v35, v35, v36
	v_mov_b32_dpp v36, v35 row_shr:4 row_mask:0xf bank_mask:0xf
	s_delay_alu instid0(VALU_DEP_1) | instskip(NEXT) | instid1(VALU_DEP_1)
	v_cndmask_b32_e64 v36, 0, v36, s2
	v_add_nc_u32_e32 v35, v35, v36
	s_delay_alu instid0(VALU_DEP_1) | instskip(NEXT) | instid1(VALU_DEP_1)
	v_mov_b32_dpp v36, v35 row_shr:8 row_mask:0xf bank_mask:0xf
	v_cndmask_b32_e64 v36, 0, v36, s3
	s_delay_alu instid0(VALU_DEP_1)
	v_add_nc_u32_e32 v35, v35, v36
	ds_store_b32 v20, v35
.LBB34_14:                              ;   in Loop: Header=BB34_4 Depth=2
	s_or_b32 exec_lo, exec_lo, s10
	v_mov_b32_e32 v35, 0
	s_waitcnt lgkmcnt(0)
	s_barrier
	buffer_gl0_inv
	s_and_saveexec_b32 s10, s7
	s_cbranch_execz .LBB34_16
; %bb.15:                               ;   in Loop: Header=BB34_4 Depth=2
	ds_load_b32 v35, v21
.LBB34_16:                              ;   in Loop: Header=BB34_4 Depth=2
	s_or_b32 exec_lo, exec_lo, s10
	s_waitcnt lgkmcnt(0)
	v_add_nc_u32_e32 v3, v35, v3
	s_cmp_gt_u32 s14, 23
	ds_bpermute_b32 v3, v18, v3
	s_waitcnt lgkmcnt(0)
	v_cndmask_b32_e64 v3, v3, v35, s8
	s_delay_alu instid0(VALU_DEP_1) | instskip(NEXT) | instid1(VALU_DEP_1)
	v_cndmask_b32_e64 v3, v3, 0, s9
	v_add_nc_u32_e32 v4, v3, v4
	s_delay_alu instid0(VALU_DEP_1) | instskip(NEXT) | instid1(VALU_DEP_1)
	v_add_nc_u32_e32 v5, v4, v5
	v_add_nc_u32_e32 v6, v5, v6
	s_delay_alu instid0(VALU_DEP_1) | instskip(NEXT) | instid1(VALU_DEP_1)
	v_add_nc_u32_e32 v35, v6, v7
	;; [unrolled: 3-line block ×3, first 2 shown]
	v_add_nc_u32_e32 v1, v0, v2
	ds_store_2addr_b64 v14, v[3:4], v[5:6] offset0:5 offset1:6
	ds_store_2addr_b64 v16, v[35:36], v[0:1] offset0:2 offset1:3
	s_waitcnt lgkmcnt(0)
	s_barrier
	buffer_gl0_inv
	ds_load_b32 v0, v28
	ds_load_b32 v1, v31
	;; [unrolled: 1-line block ×3, first 2 shown]
	s_waitcnt lgkmcnt(2)
	v_add_nc_u32_e32 v5, v0, v27
	s_waitcnt lgkmcnt(1)
	v_add3_u32 v4, v30, v29, v1
	s_waitcnt lgkmcnt(0)
	v_add3_u32 v3, v33, v32, v2
	s_cbranch_scc0 .LBB34_3
; %bb.17:                               ;   in Loop: Header=BB34_2 Depth=1
                                        ; implicit-def: $vgpr2
                                        ; implicit-def: $vgpr1
                                        ; implicit-def: $sgpr14
	s_branch .LBB34_1
.LBB34_18:
	v_lshlrev_b32_e32 v0, 2, v8
	s_add_u32 s0, s18, s12
	s_addc_u32 s1, s19, s13
	s_clause 0x2
	global_store_b32 v0, v2, s[0:1]
	global_store_b32 v0, v3, s[0:1] offset:1280
	global_store_b32 v0, v1, s[0:1] offset:2560
	s_nop 0
	s_sendmsg sendmsg(MSG_DEALLOC_VGPRS)
	s_endpgm
	.section	.rodata,"a",@progbits
	.p2align	6, 0x0
	.amdhsa_kernel _Z16sort_keys_kernelI22helper_blocked_blockediLj320ELj3ELj10EEvPKT0_PS1_
		.amdhsa_group_segment_fixed_size 10288
		.amdhsa_private_segment_fixed_size 0
		.amdhsa_kernarg_size 272
		.amdhsa_user_sgpr_count 15
		.amdhsa_user_sgpr_dispatch_ptr 0
		.amdhsa_user_sgpr_queue_ptr 0
		.amdhsa_user_sgpr_kernarg_segment_ptr 1
		.amdhsa_user_sgpr_dispatch_id 0
		.amdhsa_user_sgpr_private_segment_size 0
		.amdhsa_wavefront_size32 1
		.amdhsa_uses_dynamic_stack 0
		.amdhsa_enable_private_segment 0
		.amdhsa_system_sgpr_workgroup_id_x 1
		.amdhsa_system_sgpr_workgroup_id_y 0
		.amdhsa_system_sgpr_workgroup_id_z 0
		.amdhsa_system_sgpr_workgroup_info 0
		.amdhsa_system_vgpr_workitem_id 2
		.amdhsa_next_free_vgpr 37
		.amdhsa_next_free_sgpr 20
		.amdhsa_reserve_vcc 1
		.amdhsa_float_round_mode_32 0
		.amdhsa_float_round_mode_16_64 0
		.amdhsa_float_denorm_mode_32 3
		.amdhsa_float_denorm_mode_16_64 3
		.amdhsa_dx10_clamp 1
		.amdhsa_ieee_mode 1
		.amdhsa_fp16_overflow 0
		.amdhsa_workgroup_processor_mode 1
		.amdhsa_memory_ordered 1
		.amdhsa_forward_progress 0
		.amdhsa_shared_vgpr_count 0
		.amdhsa_exception_fp_ieee_invalid_op 0
		.amdhsa_exception_fp_denorm_src 0
		.amdhsa_exception_fp_ieee_div_zero 0
		.amdhsa_exception_fp_ieee_overflow 0
		.amdhsa_exception_fp_ieee_underflow 0
		.amdhsa_exception_fp_ieee_inexact 0
		.amdhsa_exception_int_div_zero 0
	.end_amdhsa_kernel
	.section	.text._Z16sort_keys_kernelI22helper_blocked_blockediLj320ELj3ELj10EEvPKT0_PS1_,"axG",@progbits,_Z16sort_keys_kernelI22helper_blocked_blockediLj320ELj3ELj10EEvPKT0_PS1_,comdat
.Lfunc_end34:
	.size	_Z16sort_keys_kernelI22helper_blocked_blockediLj320ELj3ELj10EEvPKT0_PS1_, .Lfunc_end34-_Z16sort_keys_kernelI22helper_blocked_blockediLj320ELj3ELj10EEvPKT0_PS1_
                                        ; -- End function
	.section	.AMDGPU.csdata,"",@progbits
; Kernel info:
; codeLenInByte = 2424
; NumSgprs: 22
; NumVgprs: 37
; ScratchSize: 0
; MemoryBound: 0
; FloatMode: 240
; IeeeMode: 1
; LDSByteSize: 10288 bytes/workgroup (compile time only)
; SGPRBlocks: 2
; VGPRBlocks: 4
; NumSGPRsForWavesPerEU: 22
; NumVGPRsForWavesPerEU: 37
; Occupancy: 15
; WaveLimiterHint : 1
; COMPUTE_PGM_RSRC2:SCRATCH_EN: 0
; COMPUTE_PGM_RSRC2:USER_SGPR: 15
; COMPUTE_PGM_RSRC2:TRAP_HANDLER: 0
; COMPUTE_PGM_RSRC2:TGID_X_EN: 1
; COMPUTE_PGM_RSRC2:TGID_Y_EN: 0
; COMPUTE_PGM_RSRC2:TGID_Z_EN: 0
; COMPUTE_PGM_RSRC2:TIDIG_COMP_CNT: 2
	.section	.text._Z17sort_pairs_kernelI22helper_blocked_blockediLj320ELj3ELj10EEvPKT0_PS1_,"axG",@progbits,_Z17sort_pairs_kernelI22helper_blocked_blockediLj320ELj3ELj10EEvPKT0_PS1_,comdat
	.protected	_Z17sort_pairs_kernelI22helper_blocked_blockediLj320ELj3ELj10EEvPKT0_PS1_ ; -- Begin function _Z17sort_pairs_kernelI22helper_blocked_blockediLj320ELj3ELj10EEvPKT0_PS1_
	.globl	_Z17sort_pairs_kernelI22helper_blocked_blockediLj320ELj3ELj10EEvPKT0_PS1_
	.p2align	8
	.type	_Z17sort_pairs_kernelI22helper_blocked_blockediLj320ELj3ELj10EEvPKT0_PS1_,@function
_Z17sort_pairs_kernelI22helper_blocked_blockediLj320ELj3ELj10EEvPKT0_PS1_: ; @_Z17sort_pairs_kernelI22helper_blocked_blockediLj320ELj3ELj10EEvPKT0_PS1_
; %bb.0:
	s_clause 0x1
	s_load_b128 s[16:19], s[0:1], 0x0
	s_load_b32 s9, s[0:1], 0x1c
	v_and_b32_e32 v8, 0x3ff, v0
	s_mov_b32 s11, 0
	s_mul_i32 s10, s15, 0x3c0
	v_mbcnt_lo_u32_b32 v6, -1, 0
	s_lshl_b64 s[12:13], s[10:11], 2
	v_lshlrev_b32_e32 v1, 2, v8
	s_mov_b32 s10, s11
	v_mov_b32_e32 v12, s11
	v_dual_mov_b32 v11, s10 :: v_dual_add_nc_u32 v14, -1, v6
	v_and_b32_e32 v3, 15, v6
	v_and_b32_e32 v7, 16, v6
	v_bfe_u32 v2, v0, 10, 10
	s_delay_alu instid0(VALU_DEP_4)
	v_cmp_gt_i32_e32 vcc_lo, 0, v14
	v_bfe_u32 v0, v0, 20, 10
	v_cmp_lt_u32_e64 s2, 1, v3
	v_cmp_lt_u32_e64 s3, 3, v3
	v_cmp_lt_u32_e64 s4, 7, v3
	s_waitcnt lgkmcnt(0)
	s_add_u32 s0, s16, s12
	s_addc_u32 s1, s17, s13
	v_cmp_eq_u32_e64 s5, 0, v7
	s_clause 0x2
	global_load_b32 v4, v1, s[0:1]
	global_load_b32 v5, v1, s[0:1] offset:1280
	global_load_b32 v1, v1, s[0:1] offset:2560
	s_mov_b32 s1, s11
	s_mov_b32 s0, s11
	s_delay_alu instid0(SALU_CYCLE_1)
	v_dual_mov_b32 v10, s1 :: v_dual_mov_b32 v9, s0
	v_lshrrev_b32_e32 v16, 5, v8
	v_lshlrev_b32_e32 v13, 5, v8
	v_cmp_eq_u32_e64 s1, 0, v3
	v_and_b32_e32 v3, 0x1e0, v8
	v_cndmask_b32_e32 v7, v14, v6, vcc_lo
	s_lshr_b32 s10, s9, 16
	v_add_nc_u32_e32 v14, 40, v13
	v_mad_u32_u24 v0, v0, s10, v2
	v_mul_u32_u24_e32 v18, 0x60, v16
	v_min_u32_e32 v19, 0x120, v3
	v_lshlrev_b32_e32 v15, 2, v7
	v_mul_u32_u24_e32 v7, 3, v3
	s_and_b32 s9, s9, 0xffff
	v_lshlrev_b32_e32 v23, 3, v8
	v_mad_u64_u32 v[2:3], null, v0, s9, v[8:9]
	v_lshlrev_b32_e32 v16, 2, v16
	v_mad_i32_i24 v17, 0xffffffe4, v8, v13
	v_lshlrev_b32_e32 v20, 2, v18
	v_or_b32_e32 v21, v6, v18
	v_or_b32_e32 v0, 31, v19
	v_or_b32_e32 v3, v6, v7
	v_cmp_eq_u32_e64 s0, 0, v6
	v_cmp_gt_u32_e64 s6, 10, v8
	v_cmp_lt_u32_e64 s7, 31, v8
	v_cmp_eq_u32_e64 s8, 0, v8
	v_add_nc_u32_e32 v18, -4, v16
	v_mad_u32_u24 v19, v6, 12, v20
	v_lshlrev_b32_e32 v20, 2, v21
	v_cmp_eq_u32_e64 s9, v0, v8
	v_lshlrev_b32_e32 v21, 2, v3
	v_lshrrev_b32_e32 v22, 5, v2
	v_add_nc_u32_e32 v23, v17, v23
	s_waitcnt vmcnt(2)
	v_add_nc_u32_e32 v2, 1, v4
	s_waitcnt vmcnt(1)
	;; [unrolled: 2-line block ×3, first 2 shown]
	v_add_nc_u32_e32 v6, 1, v1
	s_branch .LBB35_2
.LBB35_1:                               ;   in Loop: Header=BB35_2 Depth=1
	v_lshlrev_b32_e32 v2, 2, v30
	v_lshlrev_b32_e32 v3, 2, v7
	;; [unrolled: 1-line block ×3, first 2 shown]
	s_barrier
	buffer_gl0_inv
	ds_store_b32 v2, v24
	ds_store_b32 v3, v29
	ds_store_b32 v4, v28
	s_waitcnt lgkmcnt(0)
	s_barrier
	buffer_gl0_inv
	ds_load_2addr_b32 v[0:1], v23 offset1:1
	ds_load_b32 v7, v23 offset:8
	s_waitcnt lgkmcnt(0)
	s_barrier
	buffer_gl0_inv
	ds_store_b32 v2, v27
	ds_store_b32 v3, v26
	;; [unrolled: 1-line block ×3, first 2 shown]
	s_waitcnt lgkmcnt(0)
	s_barrier
	buffer_gl0_inv
	ds_load_2addr_b32 v[2:3], v23 offset1:1
	ds_load_b32 v6, v23 offset:8
	s_add_i32 s11, s11, 1
	s_delay_alu instid0(SALU_CYCLE_1)
	s_cmp_eq_u32 s11, 10
	v_xor_b32_e32 v4, 0x80000000, v0
	v_xor_b32_e32 v5, 0x80000000, v1
	;; [unrolled: 1-line block ×3, first 2 shown]
	s_cbranch_scc1 .LBB35_18
.LBB35_2:                               ; =>This Loop Header: Depth=1
                                        ;     Child Loop BB35_4 Depth 2
	s_delay_alu instid0(VALU_DEP_3) | instskip(NEXT) | instid1(VALU_DEP_3)
	v_xor_b32_e32 v0, 0x80000000, v4
	v_xor_b32_e32 v4, 0x80000000, v5
	s_delay_alu instid0(VALU_DEP_3)
	v_xor_b32_e32 v1, 0x80000000, v1
	s_mov_b32 s14, 0
	ds_store_2addr_b32 v19, v0, v4 offset1:1
	ds_store_b32 v19, v1 offset:8
	; wave barrier
	ds_load_2addr_b32 v[0:1], v20 offset1:32
	ds_load_b32 v4, v20 offset:256
	; wave barrier
	s_waitcnt lgkmcnt(5)
	ds_store_2addr_b32 v19, v2, v3 offset1:1
	s_waitcnt lgkmcnt(5)
	ds_store_b32 v19, v6 offset:8
	; wave barrier
	ds_load_2addr_b32 v[2:3], v20 offset1:32
	ds_load_b32 v5, v20 offset:256
	s_waitcnt lgkmcnt(0)
	s_barrier
	s_branch .LBB35_4
.LBB35_3:                               ;   in Loop: Header=BB35_4 Depth=2
	v_lshlrev_b32_e32 v2, 2, v30
	v_lshlrev_b32_e32 v3, 2, v7
	s_delay_alu instid0(VALU_DEP_3)
	v_lshlrev_b32_e32 v5, 2, v6
	s_barrier
	buffer_gl0_inv
	ds_store_b32 v2, v24
	ds_store_b32 v3, v29
	;; [unrolled: 1-line block ×3, first 2 shown]
	s_waitcnt lgkmcnt(0)
	s_barrier
	buffer_gl0_inv
	ds_load_2addr_b32 v[0:1], v21 offset1:32
	ds_load_b32 v4, v21 offset:256
	s_waitcnt lgkmcnt(0)
	s_barrier
	buffer_gl0_inv
	ds_store_b32 v2, v27
	ds_store_b32 v3, v26
	;; [unrolled: 1-line block ×3, first 2 shown]
	s_waitcnt lgkmcnt(0)
	s_barrier
	buffer_gl0_inv
	ds_load_2addr_b32 v[2:3], v21 offset1:32
	ds_load_b32 v5, v21 offset:256
	s_add_i32 s14, s14, 8
	s_waitcnt lgkmcnt(0)
	s_barrier
	s_cbranch_execz .LBB35_1
.LBB35_4:                               ;   Parent Loop BB35_2 Depth=1
                                        ; =>  This Inner Loop Header: Depth=2
	v_mov_b32_e32 v24, v0
	buffer_gl0_inv
	ds_store_2addr_b64 v13, v[11:12], v[9:10] offset0:5 offset1:6
	ds_store_2addr_b64 v14, v[11:12], v[9:10] offset0:2 offset1:3
	s_waitcnt lgkmcnt(0)
	s_barrier
	v_lshrrev_b32_e32 v6, s14, v24
	buffer_gl0_inv
	; wave barrier
	v_lshlrev_b32_e32 v25, 30, v6
	v_bfe_u32 v0, v24, s14, 1
	v_lshlrev_b32_e32 v26, 29, v6
	v_lshlrev_b32_e32 v27, 28, v6
	;; [unrolled: 1-line block ×4, first 2 shown]
	v_add_co_u32 v0, s10, v0, -1
	s_delay_alu instid0(VALU_DEP_1) | instskip(SKIP_3) | instid1(VALU_DEP_4)
	v_cndmask_b32_e64 v7, 0, 1, s10
	v_cmp_gt_i32_e64 s10, 0, v25
	v_lshlrev_b32_e32 v30, 25, v6
	v_lshlrev_b32_e32 v6, 24, v6
	v_cmp_ne_u32_e32 vcc_lo, 0, v7
	v_not_b32_e32 v7, v25
	v_not_b32_e32 v25, v26
	v_xor_b32_e32 v0, vcc_lo, v0
	s_delay_alu instid0(VALU_DEP_3)
	v_ashrrev_i32_e32 v7, 31, v7
	v_cmp_gt_i32_e32 vcc_lo, 0, v26
	v_not_b32_e32 v26, v27
	v_ashrrev_i32_e32 v25, 31, v25
	v_and_b32_e32 v0, exec_lo, v0
	v_xor_b32_e32 v7, s10, v7
	v_cmp_gt_i32_e64 s10, 0, v27
	v_not_b32_e32 v27, v28
	v_ashrrev_i32_e32 v26, 31, v26
	v_xor_b32_e32 v25, vcc_lo, v25
	v_and_b32_e32 v0, v0, v7
	v_cmp_gt_i32_e32 vcc_lo, 0, v28
	v_ashrrev_i32_e32 v27, 31, v27
	v_xor_b32_e32 v26, s10, v26
	v_not_b32_e32 v7, v29
	v_and_b32_e32 v0, v0, v25
	v_cmp_gt_i32_e64 s10, 0, v29
	v_xor_b32_e32 v27, vcc_lo, v27
	v_mov_b32_e32 v29, v1
	v_ashrrev_i32_e32 v7, 31, v7
	v_and_b32_e32 v0, v0, v26
	v_not_b32_e32 v26, v6
	v_bfe_u32 v1, v24, s14, 8
	v_mov_b32_e32 v28, v4
	v_xor_b32_e32 v7, s10, v7
	v_dual_mov_b32 v27, v2 :: v_dual_and_b32 v0, v0, v27
	v_not_b32_e32 v25, v30
	v_cmp_gt_i32_e32 vcc_lo, 0, v30
	v_cmp_gt_i32_e64 s10, 0, v6
	v_ashrrev_i32_e32 v6, 31, v26
	v_and_b32_e32 v0, v0, v7
	v_ashrrev_i32_e32 v25, 31, v25
	v_mad_u32_u24 v1, v1, 10, v22
	v_mov_b32_e32 v26, v3
	v_xor_b32_e32 v6, s10, v6
	s_delay_alu instid0(VALU_DEP_4) | instskip(NEXT) | instid1(VALU_DEP_4)
	v_xor_b32_e32 v25, vcc_lo, v25
	v_lshl_add_u32 v31, v1, 2, 40
	s_delay_alu instid0(VALU_DEP_2) | instskip(NEXT) | instid1(VALU_DEP_1)
	v_dual_mov_b32 v25, v5 :: v_dual_and_b32 v0, v0, v25
	v_and_b32_e32 v0, v0, v6
	s_delay_alu instid0(VALU_DEP_1) | instskip(SKIP_1) | instid1(VALU_DEP_2)
	v_mbcnt_lo_u32_b32 v30, v0, 0
	v_cmp_ne_u32_e64 s10, 0, v0
	v_cmp_eq_u32_e32 vcc_lo, 0, v30
	s_delay_alu instid0(VALU_DEP_2) | instskip(NEXT) | instid1(SALU_CYCLE_1)
	s_and_b32 s15, s10, vcc_lo
	s_and_saveexec_b32 s10, s15
	s_cbranch_execz .LBB35_6
; %bb.5:                                ;   in Loop: Header=BB35_4 Depth=2
	v_bcnt_u32_b32 v0, v0, 0
	ds_store_b32 v31, v0
.LBB35_6:                               ;   in Loop: Header=BB35_4 Depth=2
	s_or_b32 exec_lo, exec_lo, s10
	v_bfe_u32 v0, v29, s14, 1
	v_lshrrev_b32_e32 v1, s14, v29
	; wave barrier
	s_delay_alu instid0(VALU_DEP_2) | instskip(NEXT) | instid1(VALU_DEP_1)
	v_add_co_u32 v0, s10, v0, -1
	v_cndmask_b32_e64 v2, 0, 1, s10
	s_delay_alu instid0(VALU_DEP_3)
	v_lshlrev_b32_e32 v3, 30, v1
	v_lshlrev_b32_e32 v4, 29, v1
	;; [unrolled: 1-line block ×4, first 2 shown]
	v_cmp_ne_u32_e32 vcc_lo, 0, v2
	v_not_b32_e32 v2, v3
	v_cmp_gt_i32_e64 s10, 0, v3
	v_not_b32_e32 v3, v4
	v_lshlrev_b32_e32 v7, 26, v1
	v_xor_b32_e32 v0, vcc_lo, v0
	v_ashrrev_i32_e32 v2, 31, v2
	v_cmp_gt_i32_e32 vcc_lo, 0, v4
	v_not_b32_e32 v4, v5
	v_ashrrev_i32_e32 v3, 31, v3
	v_and_b32_e32 v0, exec_lo, v0
	v_xor_b32_e32 v2, s10, v2
	v_cmp_gt_i32_e64 s10, 0, v5
	v_not_b32_e32 v5, v6
	v_ashrrev_i32_e32 v4, 31, v4
	v_xor_b32_e32 v3, vcc_lo, v3
	v_and_b32_e32 v0, v0, v2
	v_cmp_gt_i32_e32 vcc_lo, 0, v6
	v_not_b32_e32 v2, v7
	v_ashrrev_i32_e32 v5, 31, v5
	v_xor_b32_e32 v4, s10, v4
	v_and_b32_e32 v0, v0, v3
	v_lshlrev_b32_e32 v3, 25, v1
	v_cmp_gt_i32_e64 s10, 0, v7
	v_ashrrev_i32_e32 v2, 31, v2
	v_xor_b32_e32 v5, vcc_lo, v5
	v_and_b32_e32 v0, v0, v4
	v_not_b32_e32 v6, v3
	v_lshlrev_b32_e32 v1, 24, v1
	v_bfe_u32 v4, v29, s14, 8
	v_xor_b32_e32 v2, s10, v2
	v_and_b32_e32 v0, v0, v5
	v_cmp_gt_i32_e32 vcc_lo, 0, v3
	v_ashrrev_i32_e32 v3, 31, v6
	v_not_b32_e32 v5, v1
	v_mul_u32_u24_e32 v4, 10, v4
	v_and_b32_e32 v0, v0, v2
	s_delay_alu instid0(VALU_DEP_4) | instskip(SKIP_3) | instid1(VALU_DEP_4)
	v_xor_b32_e32 v2, vcc_lo, v3
	v_cmp_gt_i32_e32 vcc_lo, 0, v1
	v_ashrrev_i32_e32 v1, 31, v5
	v_add_lshl_u32 v3, v4, v22, 2
	v_and_b32_e32 v0, v0, v2
	s_delay_alu instid0(VALU_DEP_3) | instskip(SKIP_3) | instid1(VALU_DEP_1)
	v_xor_b32_e32 v1, vcc_lo, v1
	ds_load_b32 v32, v3 offset:40
	v_add_nc_u32_e32 v34, 40, v3
	; wave barrier
	v_and_b32_e32 v0, v0, v1
	v_mbcnt_lo_u32_b32 v33, v0, 0
	v_cmp_ne_u32_e64 s10, 0, v0
	s_delay_alu instid0(VALU_DEP_2) | instskip(NEXT) | instid1(VALU_DEP_2)
	v_cmp_eq_u32_e32 vcc_lo, 0, v33
	s_and_b32 s15, s10, vcc_lo
	s_delay_alu instid0(SALU_CYCLE_1)
	s_and_saveexec_b32 s10, s15
	s_cbranch_execz .LBB35_8
; %bb.7:                                ;   in Loop: Header=BB35_4 Depth=2
	s_waitcnt lgkmcnt(0)
	v_bcnt_u32_b32 v0, v0, v32
	ds_store_b32 v34, v0
.LBB35_8:                               ;   in Loop: Header=BB35_4 Depth=2
	s_or_b32 exec_lo, exec_lo, s10
	v_bfe_u32 v0, v28, s14, 1
	v_lshrrev_b32_e32 v1, s14, v28
	; wave barrier
	s_delay_alu instid0(VALU_DEP_2) | instskip(NEXT) | instid1(VALU_DEP_1)
	v_add_co_u32 v0, s10, v0, -1
	v_cndmask_b32_e64 v2, 0, 1, s10
	s_delay_alu instid0(VALU_DEP_3)
	v_lshlrev_b32_e32 v3, 30, v1
	v_lshlrev_b32_e32 v4, 29, v1
	;; [unrolled: 1-line block ×4, first 2 shown]
	v_cmp_ne_u32_e32 vcc_lo, 0, v2
	v_not_b32_e32 v2, v3
	v_cmp_gt_i32_e64 s10, 0, v3
	v_not_b32_e32 v3, v4
	v_lshlrev_b32_e32 v7, 26, v1
	v_xor_b32_e32 v0, vcc_lo, v0
	v_ashrrev_i32_e32 v2, 31, v2
	v_cmp_gt_i32_e32 vcc_lo, 0, v4
	v_not_b32_e32 v4, v5
	v_ashrrev_i32_e32 v3, 31, v3
	v_and_b32_e32 v0, exec_lo, v0
	v_xor_b32_e32 v2, s10, v2
	v_cmp_gt_i32_e64 s10, 0, v5
	v_not_b32_e32 v5, v6
	v_ashrrev_i32_e32 v4, 31, v4
	v_xor_b32_e32 v3, vcc_lo, v3
	v_and_b32_e32 v0, v0, v2
	v_cmp_gt_i32_e32 vcc_lo, 0, v6
	v_not_b32_e32 v2, v7
	v_ashrrev_i32_e32 v5, 31, v5
	v_xor_b32_e32 v4, s10, v4
	v_and_b32_e32 v0, v0, v3
	v_lshlrev_b32_e32 v3, 25, v1
	v_cmp_gt_i32_e64 s10, 0, v7
	v_ashrrev_i32_e32 v2, 31, v2
	v_xor_b32_e32 v5, vcc_lo, v5
	v_and_b32_e32 v0, v0, v4
	v_not_b32_e32 v6, v3
	v_lshlrev_b32_e32 v1, 24, v1
	v_bfe_u32 v4, v28, s14, 8
	v_xor_b32_e32 v2, s10, v2
	v_and_b32_e32 v0, v0, v5
	v_cmp_gt_i32_e32 vcc_lo, 0, v3
	v_ashrrev_i32_e32 v3, 31, v6
	v_not_b32_e32 v5, v1
	v_mul_u32_u24_e32 v4, 10, v4
	v_and_b32_e32 v0, v0, v2
	s_delay_alu instid0(VALU_DEP_4) | instskip(SKIP_3) | instid1(VALU_DEP_4)
	v_xor_b32_e32 v2, vcc_lo, v3
	v_cmp_gt_i32_e32 vcc_lo, 0, v1
	v_ashrrev_i32_e32 v1, 31, v5
	v_add_lshl_u32 v3, v4, v22, 2
	v_and_b32_e32 v0, v0, v2
	s_delay_alu instid0(VALU_DEP_3) | instskip(SKIP_3) | instid1(VALU_DEP_1)
	v_xor_b32_e32 v1, vcc_lo, v1
	ds_load_b32 v35, v3 offset:40
	v_add_nc_u32_e32 v37, 40, v3
	; wave barrier
	v_and_b32_e32 v0, v0, v1
	v_mbcnt_lo_u32_b32 v36, v0, 0
	v_cmp_ne_u32_e64 s10, 0, v0
	s_delay_alu instid0(VALU_DEP_2) | instskip(NEXT) | instid1(VALU_DEP_2)
	v_cmp_eq_u32_e32 vcc_lo, 0, v36
	s_and_b32 s15, s10, vcc_lo
	s_delay_alu instid0(SALU_CYCLE_1)
	s_and_saveexec_b32 s10, s15
	s_cbranch_execz .LBB35_10
; %bb.9:                                ;   in Loop: Header=BB35_4 Depth=2
	s_waitcnt lgkmcnt(0)
	v_bcnt_u32_b32 v0, v0, v35
	ds_store_b32 v37, v0
.LBB35_10:                              ;   in Loop: Header=BB35_4 Depth=2
	s_or_b32 exec_lo, exec_lo, s10
	; wave barrier
	s_waitcnt lgkmcnt(0)
	s_barrier
	buffer_gl0_inv
	ds_load_2addr_b64 v[4:7], v13 offset0:5 offset1:6
	ds_load_2addr_b64 v[0:3], v14 offset0:2 offset1:3
	s_waitcnt lgkmcnt(1)
	v_add_nc_u32_e32 v38, v5, v4
	s_delay_alu instid0(VALU_DEP_1) | instskip(SKIP_1) | instid1(VALU_DEP_1)
	v_add3_u32 v38, v38, v6, v7
	s_waitcnt lgkmcnt(0)
	v_add3_u32 v38, v38, v0, v1
	s_delay_alu instid0(VALU_DEP_1) | instskip(NEXT) | instid1(VALU_DEP_1)
	v_add3_u32 v3, v38, v2, v3
	v_mov_b32_dpp v38, v3 row_shr:1 row_mask:0xf bank_mask:0xf
	s_delay_alu instid0(VALU_DEP_1) | instskip(NEXT) | instid1(VALU_DEP_1)
	v_cndmask_b32_e64 v38, v38, 0, s1
	v_add_nc_u32_e32 v3, v38, v3
	s_delay_alu instid0(VALU_DEP_1) | instskip(NEXT) | instid1(VALU_DEP_1)
	v_mov_b32_dpp v38, v3 row_shr:2 row_mask:0xf bank_mask:0xf
	v_cndmask_b32_e64 v38, 0, v38, s2
	s_delay_alu instid0(VALU_DEP_1) | instskip(NEXT) | instid1(VALU_DEP_1)
	v_add_nc_u32_e32 v3, v3, v38
	v_mov_b32_dpp v38, v3 row_shr:4 row_mask:0xf bank_mask:0xf
	s_delay_alu instid0(VALU_DEP_1) | instskip(NEXT) | instid1(VALU_DEP_1)
	v_cndmask_b32_e64 v38, 0, v38, s3
	v_add_nc_u32_e32 v3, v3, v38
	s_delay_alu instid0(VALU_DEP_1) | instskip(NEXT) | instid1(VALU_DEP_1)
	v_mov_b32_dpp v38, v3 row_shr:8 row_mask:0xf bank_mask:0xf
	v_cndmask_b32_e64 v38, 0, v38, s4
	s_delay_alu instid0(VALU_DEP_1) | instskip(SKIP_3) | instid1(VALU_DEP_1)
	v_add_nc_u32_e32 v3, v3, v38
	ds_swizzle_b32 v38, v3 offset:swizzle(BROADCAST,32,15)
	s_waitcnt lgkmcnt(0)
	v_cndmask_b32_e64 v38, v38, 0, s5
	v_add_nc_u32_e32 v3, v3, v38
	s_and_saveexec_b32 s10, s9
	s_cbranch_execz .LBB35_12
; %bb.11:                               ;   in Loop: Header=BB35_4 Depth=2
	ds_store_b32 v16, v3
.LBB35_12:                              ;   in Loop: Header=BB35_4 Depth=2
	s_or_b32 exec_lo, exec_lo, s10
	s_waitcnt lgkmcnt(0)
	s_barrier
	buffer_gl0_inv
	s_and_saveexec_b32 s10, s6
	s_cbranch_execz .LBB35_14
; %bb.13:                               ;   in Loop: Header=BB35_4 Depth=2
	ds_load_b32 v38, v17
	s_waitcnt lgkmcnt(0)
	v_mov_b32_dpp v39, v38 row_shr:1 row_mask:0xf bank_mask:0xf
	s_delay_alu instid0(VALU_DEP_1) | instskip(NEXT) | instid1(VALU_DEP_1)
	v_cndmask_b32_e64 v39, v39, 0, s1
	v_add_nc_u32_e32 v38, v39, v38
	s_delay_alu instid0(VALU_DEP_1) | instskip(NEXT) | instid1(VALU_DEP_1)
	v_mov_b32_dpp v39, v38 row_shr:2 row_mask:0xf bank_mask:0xf
	v_cndmask_b32_e64 v39, 0, v39, s2
	s_delay_alu instid0(VALU_DEP_1) | instskip(NEXT) | instid1(VALU_DEP_1)
	v_add_nc_u32_e32 v38, v38, v39
	v_mov_b32_dpp v39, v38 row_shr:4 row_mask:0xf bank_mask:0xf
	s_delay_alu instid0(VALU_DEP_1) | instskip(NEXT) | instid1(VALU_DEP_1)
	v_cndmask_b32_e64 v39, 0, v39, s3
	v_add_nc_u32_e32 v38, v38, v39
	s_delay_alu instid0(VALU_DEP_1) | instskip(NEXT) | instid1(VALU_DEP_1)
	v_mov_b32_dpp v39, v38 row_shr:8 row_mask:0xf bank_mask:0xf
	v_cndmask_b32_e64 v39, 0, v39, s4
	s_delay_alu instid0(VALU_DEP_1)
	v_add_nc_u32_e32 v38, v38, v39
	ds_store_b32 v17, v38
.LBB35_14:                              ;   in Loop: Header=BB35_4 Depth=2
	s_or_b32 exec_lo, exec_lo, s10
	v_mov_b32_e32 v38, 0
	s_waitcnt lgkmcnt(0)
	s_barrier
	buffer_gl0_inv
	s_and_saveexec_b32 s10, s7
	s_cbranch_execz .LBB35_16
; %bb.15:                               ;   in Loop: Header=BB35_4 Depth=2
	ds_load_b32 v38, v18
.LBB35_16:                              ;   in Loop: Header=BB35_4 Depth=2
	s_or_b32 exec_lo, exec_lo, s10
	s_waitcnt lgkmcnt(0)
	v_add_nc_u32_e32 v3, v38, v3
	s_cmp_gt_u32 s14, 23
	ds_bpermute_b32 v3, v15, v3
	s_waitcnt lgkmcnt(0)
	v_cndmask_b32_e64 v3, v3, v38, s0
	s_delay_alu instid0(VALU_DEP_1) | instskip(NEXT) | instid1(VALU_DEP_1)
	v_cndmask_b32_e64 v3, v3, 0, s8
	v_add_nc_u32_e32 v4, v3, v4
	s_delay_alu instid0(VALU_DEP_1) | instskip(NEXT) | instid1(VALU_DEP_1)
	v_add_nc_u32_e32 v5, v4, v5
	v_add_nc_u32_e32 v6, v5, v6
	s_delay_alu instid0(VALU_DEP_1) | instskip(NEXT) | instid1(VALU_DEP_1)
	v_add_nc_u32_e32 v38, v6, v7
	v_add_nc_u32_e32 v39, v38, v0
	s_delay_alu instid0(VALU_DEP_1) | instskip(NEXT) | instid1(VALU_DEP_1)
	v_add_nc_u32_e32 v0, v39, v1
	v_add_nc_u32_e32 v1, v0, v2
	ds_store_2addr_b64 v13, v[3:4], v[5:6] offset0:5 offset1:6
	ds_store_2addr_b64 v14, v[38:39], v[0:1] offset0:2 offset1:3
	s_waitcnt lgkmcnt(0)
	s_barrier
	buffer_gl0_inv
	ds_load_b32 v0, v31
	ds_load_b32 v1, v34
	;; [unrolled: 1-line block ×3, first 2 shown]
	s_waitcnt lgkmcnt(2)
	v_add_nc_u32_e32 v30, v0, v30
	s_waitcnt lgkmcnt(1)
	v_add3_u32 v7, v33, v32, v1
	s_waitcnt lgkmcnt(0)
	v_add3_u32 v6, v36, v35, v2
	s_cbranch_scc0 .LBB35_3
; %bb.17:                               ;   in Loop: Header=BB35_2 Depth=1
                                        ; implicit-def: $vgpr4
                                        ; implicit-def: $vgpr1
                                        ; implicit-def: $vgpr5
                                        ; implicit-def: $vgpr3
                                        ; implicit-def: $sgpr14
	s_branch .LBB35_1
.LBB35_18:
	s_waitcnt lgkmcnt(1)
	v_add_nc_u32_e32 v0, v4, v2
	v_add_nc_u32_e32 v2, v5, v3
	v_lshlrev_b32_e32 v3, 2, v8
	s_waitcnt lgkmcnt(0)
	v_add_nc_u32_e32 v1, v1, v6
	s_add_u32 s0, s18, s12
	s_addc_u32 s1, s19, s13
	s_clause 0x2
	global_store_b32 v3, v0, s[0:1]
	global_store_b32 v3, v2, s[0:1] offset:1280
	global_store_b32 v3, v1, s[0:1] offset:2560
	s_nop 0
	s_sendmsg sendmsg(MSG_DEALLOC_VGPRS)
	s_endpgm
	.section	.rodata,"a",@progbits
	.p2align	6, 0x0
	.amdhsa_kernel _Z17sort_pairs_kernelI22helper_blocked_blockediLj320ELj3ELj10EEvPKT0_PS1_
		.amdhsa_group_segment_fixed_size 10288
		.amdhsa_private_segment_fixed_size 0
		.amdhsa_kernarg_size 272
		.amdhsa_user_sgpr_count 15
		.amdhsa_user_sgpr_dispatch_ptr 0
		.amdhsa_user_sgpr_queue_ptr 0
		.amdhsa_user_sgpr_kernarg_segment_ptr 1
		.amdhsa_user_sgpr_dispatch_id 0
		.amdhsa_user_sgpr_private_segment_size 0
		.amdhsa_wavefront_size32 1
		.amdhsa_uses_dynamic_stack 0
		.amdhsa_enable_private_segment 0
		.amdhsa_system_sgpr_workgroup_id_x 1
		.amdhsa_system_sgpr_workgroup_id_y 0
		.amdhsa_system_sgpr_workgroup_id_z 0
		.amdhsa_system_sgpr_workgroup_info 0
		.amdhsa_system_vgpr_workitem_id 2
		.amdhsa_next_free_vgpr 40
		.amdhsa_next_free_sgpr 20
		.amdhsa_reserve_vcc 1
		.amdhsa_float_round_mode_32 0
		.amdhsa_float_round_mode_16_64 0
		.amdhsa_float_denorm_mode_32 3
		.amdhsa_float_denorm_mode_16_64 3
		.amdhsa_dx10_clamp 1
		.amdhsa_ieee_mode 1
		.amdhsa_fp16_overflow 0
		.amdhsa_workgroup_processor_mode 1
		.amdhsa_memory_ordered 1
		.amdhsa_forward_progress 0
		.amdhsa_shared_vgpr_count 0
		.amdhsa_exception_fp_ieee_invalid_op 0
		.amdhsa_exception_fp_denorm_src 0
		.amdhsa_exception_fp_ieee_div_zero 0
		.amdhsa_exception_fp_ieee_overflow 0
		.amdhsa_exception_fp_ieee_underflow 0
		.amdhsa_exception_fp_ieee_inexact 0
		.amdhsa_exception_int_div_zero 0
	.end_amdhsa_kernel
	.section	.text._Z17sort_pairs_kernelI22helper_blocked_blockediLj320ELj3ELj10EEvPKT0_PS1_,"axG",@progbits,_Z17sort_pairs_kernelI22helper_blocked_blockediLj320ELj3ELj10EEvPKT0_PS1_,comdat
.Lfunc_end35:
	.size	_Z17sort_pairs_kernelI22helper_blocked_blockediLj320ELj3ELj10EEvPKT0_PS1_, .Lfunc_end35-_Z17sort_pairs_kernelI22helper_blocked_blockediLj320ELj3ELj10EEvPKT0_PS1_
                                        ; -- End function
	.section	.AMDGPU.csdata,"",@progbits
; Kernel info:
; codeLenInByte = 2616
; NumSgprs: 22
; NumVgprs: 40
; ScratchSize: 0
; MemoryBound: 0
; FloatMode: 240
; IeeeMode: 1
; LDSByteSize: 10288 bytes/workgroup (compile time only)
; SGPRBlocks: 2
; VGPRBlocks: 4
; NumSGPRsForWavesPerEU: 22
; NumVGPRsForWavesPerEU: 40
; Occupancy: 15
; WaveLimiterHint : 1
; COMPUTE_PGM_RSRC2:SCRATCH_EN: 0
; COMPUTE_PGM_RSRC2:USER_SGPR: 15
; COMPUTE_PGM_RSRC2:TRAP_HANDLER: 0
; COMPUTE_PGM_RSRC2:TGID_X_EN: 1
; COMPUTE_PGM_RSRC2:TGID_Y_EN: 0
; COMPUTE_PGM_RSRC2:TGID_Z_EN: 0
; COMPUTE_PGM_RSRC2:TIDIG_COMP_CNT: 2
	.section	.text._Z16sort_keys_kernelI22helper_blocked_blockediLj320ELj4ELj10EEvPKT0_PS1_,"axG",@progbits,_Z16sort_keys_kernelI22helper_blocked_blockediLj320ELj4ELj10EEvPKT0_PS1_,comdat
	.protected	_Z16sort_keys_kernelI22helper_blocked_blockediLj320ELj4ELj10EEvPKT0_PS1_ ; -- Begin function _Z16sort_keys_kernelI22helper_blocked_blockediLj320ELj4ELj10EEvPKT0_PS1_
	.globl	_Z16sort_keys_kernelI22helper_blocked_blockediLj320ELj4ELj10EEvPKT0_PS1_
	.p2align	8
	.type	_Z16sort_keys_kernelI22helper_blocked_blockediLj320ELj4ELj10EEvPKT0_PS1_,@function
_Z16sort_keys_kernelI22helper_blocked_blockediLj320ELj4ELj10EEvPKT0_PS1_: ; @_Z16sort_keys_kernelI22helper_blocked_blockediLj320ELj4ELj10EEvPKT0_PS1_
; %bb.0:
	s_clause 0x1
	s_load_b128 s[16:19], s[0:1], 0x0
	s_load_b32 s3, s[0:1], 0x1c
	s_mov_b32 s21, 0
	s_mul_i32 s20, s15, 0x500
	v_mbcnt_lo_u32_b32 v9, -1, 0
	s_lshl_b64 s[14:15], s[20:21], 2
	s_mov_b32 s20, s21
	v_bfe_u32 v6, v0, 10, 10
	s_delay_alu instid0(VALU_DEP_2) | instskip(SKIP_1) | instid1(VALU_DEP_2)
	v_and_b32_e32 v13, 28, v9
	v_cmp_eq_u32_e64 s11, 0, v9
	v_or_b32_e32 v14, 32, v13
	v_or_b32_e32 v16, 64, v13
	;; [unrolled: 1-line block ×3, first 2 shown]
	s_waitcnt lgkmcnt(0)
	s_add_u32 s0, s16, s14
	s_addc_u32 s1, s17, s15
	s_mov_b32 s16, s21
	s_mov_b32 s17, s21
	v_dual_mov_b32 v11, s16 :: v_dual_add_nc_u32 v10, -1, v9
	s_lshr_b32 s2, s3, 16
	v_dual_mov_b32 v12, s17 :: v_dual_and_b32 v5, 3, v9
	s_delay_alu instid0(VALU_DEP_2) | instskip(SKIP_3) | instid1(VALU_DEP_2)
	v_cmp_gt_i32_e32 vcc_lo, 0, v10
	v_and_b32_e32 v8, 0x3ff, v0
	v_bfe_u32 v0, v0, 20, 10
	s_and_b32 s3, s3, 0xffff
	v_lshlrev_b32_e32 v7, 2, v8
	s_clause 0x3
	global_load_b32 v2, v7, s[0:1]
	global_load_b32 v3, v7, s[0:1] offset:1280
	global_load_b32 v4, v7, s[0:1] offset:2560
	;; [unrolled: 1-line block ×3, first 2 shown]
	v_mad_u32_u24 v0, v0, s2, v6
	v_cmp_eq_u32_e64 s0, 3, v5
	v_cmp_eq_u32_e64 s1, 2, v5
	;; [unrolled: 1-line block ×3, first 2 shown]
	s_delay_alu instid0(VALU_DEP_4) | instskip(SKIP_2) | instid1(VALU_DEP_3)
	v_mad_u64_u32 v[5:6], null, v0, s3, v[8:9]
	v_and_b32_e32 v6, 0x1e0, v8
	v_and_b32_e32 v0, 15, v9
	v_lshrrev_b32_e32 v19, 5, v5
	s_delay_alu instid0(VALU_DEP_3) | instskip(NEXT) | instid1(VALU_DEP_3)
	v_min_u32_e32 v5, 0x120, v6
	v_cmp_eq_u32_e64 s3, 0, v0
	v_cmp_lt_u32_e64 s4, 1, v0
	v_and_b32_e32 v6, 16, v9
	v_cmp_lt_u32_e64 s5, 3, v0
	v_cmp_lt_u32_e64 s6, 7, v0
	v_or_b32_e32 v0, 31, v5
	v_cndmask_b32_e32 v5, v10, v9, vcc_lo
	v_lshlrev_b32_e32 v15, 5, v8
	v_cmp_eq_u32_e64 s7, 0, v6
	v_lshrrev_b32_e32 v6, 3, v8
	v_cmp_eq_u32_e64 s8, v0, v8
	v_and_or_b32 v0, 0x780, v7, v9
	v_mov_b32_e32 v9, s20
	v_mad_i32_i24 v22, 0xffffffe4, v8, v15
	v_and_b32_e32 v21, 60, v6
	v_add_nc_u32_e32 v18, 40, v15
	v_lshlrev_b32_e32 v24, 2, v0
	v_mul_u32_u24_e32 v0, 12, v8
	v_cmp_gt_u32_e64 s9, 10, v8
	v_cmp_lt_u32_e64 s10, 31, v8
	v_lshlrev_b32_e32 v20, 2, v5
	v_cmp_eq_u32_e64 s12, 0, v8
	v_dual_mov_b32 v10, s21 :: v_dual_add_nc_u32 v23, -4, v21
	v_add_nc_u32_e32 v25, v22, v0
	s_branch .LBB36_2
.LBB36_1:                               ;   in Loop: Header=BB36_2 Depth=1
	v_lshlrev_b32_e32 v0, 2, v7
	v_lshlrev_b32_e32 v1, 2, v6
	;; [unrolled: 1-line block ×4, first 2 shown]
	s_barrier
	buffer_gl0_inv
	ds_store_b32 v0, v26
	ds_store_b32 v1, v29
	;; [unrolled: 1-line block ×4, first 2 shown]
	s_waitcnt lgkmcnt(0)
	s_barrier
	buffer_gl0_inv
	ds_load_2addr_b64 v[2:5], v25 offset1:1
	s_add_i32 s21, s21, 1
	s_delay_alu instid0(SALU_CYCLE_1)
	s_cmp_eq_u32 s21, 10
	s_waitcnt lgkmcnt(0)
	v_xor_b32_e32 v2, 0x80000000, v2
	v_xor_b32_e32 v3, 0x80000000, v3
	;; [unrolled: 1-line block ×4, first 2 shown]
	s_cbranch_scc1 .LBB36_20
.LBB36_2:                               ; =>This Loop Header: Depth=1
                                        ;     Child Loop BB36_4 Depth 2
	s_waitcnt vmcnt(3)
	v_xor_b32_e32 v0, 0x80000000, v2
	s_waitcnt vmcnt(2)
	v_xor_b32_e32 v2, 0x80000000, v3
	s_waitcnt vmcnt(1)
	v_xor_b32_e32 v3, 0x80000000, v4
	s_waitcnt vmcnt(0)
	v_xor_b32_e32 v1, 0x80000000, v1
	s_mov_b32 s16, 0
	ds_bpermute_b32 v4, v13, v0
	ds_bpermute_b32 v5, v13, v2
	;; [unrolled: 1-line block ×16, first 2 shown]
	s_waitcnt lgkmcnt(0)
	s_barrier
	v_cndmask_b32_e64 v1, v4, v5, s2
	v_cndmask_b32_e64 v4, v6, v7, s2
	;; [unrolled: 1-line block ×4, first 2 shown]
	s_delay_alu instid0(VALU_DEP_4) | instskip(NEXT) | instid1(VALU_DEP_4)
	v_cndmask_b32_e64 v1, v1, v28, s1
	v_cndmask_b32_e64 v2, v4, v29, s1
	s_delay_alu instid0(VALU_DEP_4) | instskip(NEXT) | instid1(VALU_DEP_4)
	v_cndmask_b32_e64 v4, v5, v30, s1
	v_cndmask_b32_e64 v3, v0, v3, s1
	;; [unrolled: 3-line block ×4, first 2 shown]
	s_branch .LBB36_4
.LBB36_3:                               ;   in Loop: Header=BB36_4 Depth=2
	v_lshlrev_b32_e32 v0, 2, v7
	v_lshlrev_b32_e32 v1, 2, v6
	;; [unrolled: 1-line block ×4, first 2 shown]
	s_barrier
	buffer_gl0_inv
	ds_store_b32 v0, v26
	ds_store_b32 v1, v29
	;; [unrolled: 1-line block ×4, first 2 shown]
	s_waitcnt lgkmcnt(0)
	s_barrier
	buffer_gl0_inv
	ds_load_2addr_b32 v[0:1], v24 offset1:32
	ds_load_2addr_b32 v[2:3], v24 offset0:64 offset1:96
	s_add_i32 s16, s16, 8
	s_waitcnt lgkmcnt(0)
	s_barrier
	s_cbranch_execz .LBB36_1
.LBB36_4:                               ;   Parent Loop BB36_2 Depth=1
                                        ; =>  This Inner Loop Header: Depth=2
	v_mov_b32_e32 v26, v0
	buffer_gl0_inv
	ds_store_2addr_b64 v15, v[9:10], v[11:12] offset0:5 offset1:6
	ds_store_2addr_b64 v18, v[9:10], v[11:12] offset0:2 offset1:3
	s_waitcnt lgkmcnt(0)
	s_barrier
	v_lshrrev_b32_e32 v4, s16, v26
	buffer_gl0_inv
	; wave barrier
	v_lshlrev_b32_e32 v7, 29, v4
	v_bfe_u32 v0, v26, s16, 1
	v_lshlrev_b32_e32 v6, 30, v4
	v_lshlrev_b32_e32 v27, 28, v4
	;; [unrolled: 1-line block ×4, first 2 shown]
	v_add_co_u32 v0, s13, v0, -1
	s_delay_alu instid0(VALU_DEP_1) | instskip(SKIP_3) | instid1(VALU_DEP_4)
	v_cndmask_b32_e64 v5, 0, 1, s13
	v_cmp_gt_i32_e64 s13, 0, v6
	v_lshlrev_b32_e32 v30, 25, v4
	v_lshlrev_b32_e32 v4, 24, v4
	v_cmp_ne_u32_e32 vcc_lo, 0, v5
	v_not_b32_e32 v5, v6
	v_not_b32_e32 v6, v7
	v_xor_b32_e32 v0, vcc_lo, v0
	s_delay_alu instid0(VALU_DEP_3)
	v_ashrrev_i32_e32 v5, 31, v5
	v_cmp_gt_i32_e32 vcc_lo, 0, v7
	v_not_b32_e32 v7, v27
	v_ashrrev_i32_e32 v6, 31, v6
	v_and_b32_e32 v0, exec_lo, v0
	v_xor_b32_e32 v5, s13, v5
	v_cmp_gt_i32_e64 s13, 0, v27
	v_ashrrev_i32_e32 v7, 31, v7
	v_xor_b32_e32 v6, vcc_lo, v6
	s_delay_alu instid0(VALU_DEP_4) | instskip(SKIP_1) | instid1(VALU_DEP_4)
	v_and_b32_e32 v0, v0, v5
	v_not_b32_e32 v5, v29
	v_xor_b32_e32 v7, s13, v7
	v_cmp_gt_i32_e64 s13, 0, v29
	v_mov_b32_e32 v29, v1
	v_not_b32_e32 v27, v28
	v_cmp_gt_i32_e32 vcc_lo, 0, v28
	v_and_b32_e32 v0, v0, v6
	v_not_b32_e32 v6, v30
	v_ashrrev_i32_e32 v5, 31, v5
	v_ashrrev_i32_e32 v27, 31, v27
	v_bfe_u32 v1, v26, s16, 8
	v_and_b32_e32 v0, v0, v7
	v_not_b32_e32 v7, v4
	v_ashrrev_i32_e32 v6, 31, v6
	v_xor_b32_e32 v27, vcc_lo, v27
	v_cmp_gt_i32_e32 vcc_lo, 0, v30
	v_xor_b32_e32 v5, s13, v5
	v_cmp_gt_i32_e64 s13, 0, v4
	v_ashrrev_i32_e32 v4, 31, v7
	v_and_b32_e32 v0, v0, v27
	v_xor_b32_e32 v6, vcc_lo, v6
	v_mad_u32_u24 v1, v1, 10, v19
	v_mov_b32_e32 v27, v3
	v_xor_b32_e32 v4, s13, v4
	v_and_b32_e32 v0, v0, v5
	v_mov_b32_e32 v28, v2
	v_lshl_add_u32 v31, v1, 2, 40
	s_delay_alu instid0(VALU_DEP_3) | instskip(NEXT) | instid1(VALU_DEP_1)
	v_and_b32_e32 v0, v0, v6
	v_and_b32_e32 v0, v0, v4
	s_delay_alu instid0(VALU_DEP_1) | instskip(SKIP_1) | instid1(VALU_DEP_2)
	v_mbcnt_lo_u32_b32 v30, v0, 0
	v_cmp_ne_u32_e64 s13, 0, v0
	v_cmp_eq_u32_e32 vcc_lo, 0, v30
	s_delay_alu instid0(VALU_DEP_2) | instskip(NEXT) | instid1(SALU_CYCLE_1)
	s_and_b32 s17, s13, vcc_lo
	s_and_saveexec_b32 s13, s17
	s_cbranch_execz .LBB36_6
; %bb.5:                                ;   in Loop: Header=BB36_4 Depth=2
	v_bcnt_u32_b32 v0, v0, 0
	ds_store_b32 v31, v0
.LBB36_6:                               ;   in Loop: Header=BB36_4 Depth=2
	s_or_b32 exec_lo, exec_lo, s13
	v_bfe_u32 v0, v29, s16, 1
	v_lshrrev_b32_e32 v1, s16, v29
	; wave barrier
	s_delay_alu instid0(VALU_DEP_2) | instskip(NEXT) | instid1(VALU_DEP_1)
	v_add_co_u32 v0, s13, v0, -1
	v_cndmask_b32_e64 v2, 0, 1, s13
	s_delay_alu instid0(VALU_DEP_3)
	v_lshlrev_b32_e32 v3, 30, v1
	v_lshlrev_b32_e32 v4, 29, v1
	;; [unrolled: 1-line block ×4, first 2 shown]
	v_cmp_ne_u32_e32 vcc_lo, 0, v2
	v_not_b32_e32 v2, v3
	v_cmp_gt_i32_e64 s13, 0, v3
	v_not_b32_e32 v3, v4
	v_lshlrev_b32_e32 v7, 26, v1
	v_xor_b32_e32 v0, vcc_lo, v0
	v_ashrrev_i32_e32 v2, 31, v2
	v_cmp_gt_i32_e32 vcc_lo, 0, v4
	v_not_b32_e32 v4, v5
	v_ashrrev_i32_e32 v3, 31, v3
	v_and_b32_e32 v0, exec_lo, v0
	v_xor_b32_e32 v2, s13, v2
	v_cmp_gt_i32_e64 s13, 0, v5
	v_not_b32_e32 v5, v6
	v_ashrrev_i32_e32 v4, 31, v4
	v_xor_b32_e32 v3, vcc_lo, v3
	v_and_b32_e32 v0, v0, v2
	v_cmp_gt_i32_e32 vcc_lo, 0, v6
	v_not_b32_e32 v2, v7
	v_ashrrev_i32_e32 v5, 31, v5
	v_xor_b32_e32 v4, s13, v4
	v_and_b32_e32 v0, v0, v3
	v_lshlrev_b32_e32 v3, 25, v1
	v_cmp_gt_i32_e64 s13, 0, v7
	v_ashrrev_i32_e32 v2, 31, v2
	v_xor_b32_e32 v5, vcc_lo, v5
	v_and_b32_e32 v0, v0, v4
	v_not_b32_e32 v6, v3
	v_lshlrev_b32_e32 v1, 24, v1
	v_bfe_u32 v4, v29, s16, 8
	v_xor_b32_e32 v2, s13, v2
	v_and_b32_e32 v0, v0, v5
	v_cmp_gt_i32_e32 vcc_lo, 0, v3
	v_ashrrev_i32_e32 v3, 31, v6
	v_not_b32_e32 v5, v1
	v_mul_u32_u24_e32 v4, 10, v4
	v_and_b32_e32 v0, v0, v2
	s_delay_alu instid0(VALU_DEP_4) | instskip(SKIP_3) | instid1(VALU_DEP_4)
	v_xor_b32_e32 v2, vcc_lo, v3
	v_cmp_gt_i32_e32 vcc_lo, 0, v1
	v_ashrrev_i32_e32 v1, 31, v5
	v_add_lshl_u32 v3, v4, v19, 2
	v_and_b32_e32 v0, v0, v2
	s_delay_alu instid0(VALU_DEP_3) | instskip(SKIP_3) | instid1(VALU_DEP_1)
	v_xor_b32_e32 v1, vcc_lo, v1
	ds_load_b32 v32, v3 offset:40
	v_add_nc_u32_e32 v34, 40, v3
	; wave barrier
	v_and_b32_e32 v0, v0, v1
	v_mbcnt_lo_u32_b32 v33, v0, 0
	v_cmp_ne_u32_e64 s13, 0, v0
	s_delay_alu instid0(VALU_DEP_2) | instskip(NEXT) | instid1(VALU_DEP_2)
	v_cmp_eq_u32_e32 vcc_lo, 0, v33
	s_and_b32 s17, s13, vcc_lo
	s_delay_alu instid0(SALU_CYCLE_1)
	s_and_saveexec_b32 s13, s17
	s_cbranch_execz .LBB36_8
; %bb.7:                                ;   in Loop: Header=BB36_4 Depth=2
	s_waitcnt lgkmcnt(0)
	v_bcnt_u32_b32 v0, v0, v32
	ds_store_b32 v34, v0
.LBB36_8:                               ;   in Loop: Header=BB36_4 Depth=2
	s_or_b32 exec_lo, exec_lo, s13
	v_bfe_u32 v0, v28, s16, 1
	v_lshrrev_b32_e32 v1, s16, v28
	; wave barrier
	s_delay_alu instid0(VALU_DEP_2) | instskip(NEXT) | instid1(VALU_DEP_1)
	v_add_co_u32 v0, s13, v0, -1
	v_cndmask_b32_e64 v2, 0, 1, s13
	s_delay_alu instid0(VALU_DEP_3)
	v_lshlrev_b32_e32 v3, 30, v1
	v_lshlrev_b32_e32 v4, 29, v1
	;; [unrolled: 1-line block ×4, first 2 shown]
	v_cmp_ne_u32_e32 vcc_lo, 0, v2
	v_not_b32_e32 v2, v3
	v_cmp_gt_i32_e64 s13, 0, v3
	v_not_b32_e32 v3, v4
	v_lshlrev_b32_e32 v7, 26, v1
	v_xor_b32_e32 v0, vcc_lo, v0
	v_ashrrev_i32_e32 v2, 31, v2
	v_cmp_gt_i32_e32 vcc_lo, 0, v4
	v_not_b32_e32 v4, v5
	v_ashrrev_i32_e32 v3, 31, v3
	v_and_b32_e32 v0, exec_lo, v0
	v_xor_b32_e32 v2, s13, v2
	v_cmp_gt_i32_e64 s13, 0, v5
	v_not_b32_e32 v5, v6
	v_ashrrev_i32_e32 v4, 31, v4
	v_xor_b32_e32 v3, vcc_lo, v3
	v_and_b32_e32 v0, v0, v2
	v_cmp_gt_i32_e32 vcc_lo, 0, v6
	v_not_b32_e32 v2, v7
	v_ashrrev_i32_e32 v5, 31, v5
	v_xor_b32_e32 v4, s13, v4
	v_and_b32_e32 v0, v0, v3
	v_lshlrev_b32_e32 v3, 25, v1
	v_cmp_gt_i32_e64 s13, 0, v7
	v_ashrrev_i32_e32 v2, 31, v2
	v_xor_b32_e32 v5, vcc_lo, v5
	v_and_b32_e32 v0, v0, v4
	v_not_b32_e32 v6, v3
	v_lshlrev_b32_e32 v1, 24, v1
	v_bfe_u32 v4, v28, s16, 8
	v_xor_b32_e32 v2, s13, v2
	v_and_b32_e32 v0, v0, v5
	v_cmp_gt_i32_e32 vcc_lo, 0, v3
	v_ashrrev_i32_e32 v3, 31, v6
	v_not_b32_e32 v5, v1
	v_mul_u32_u24_e32 v4, 10, v4
	v_and_b32_e32 v0, v0, v2
	s_delay_alu instid0(VALU_DEP_4) | instskip(SKIP_3) | instid1(VALU_DEP_4)
	v_xor_b32_e32 v2, vcc_lo, v3
	v_cmp_gt_i32_e32 vcc_lo, 0, v1
	v_ashrrev_i32_e32 v1, 31, v5
	v_add_lshl_u32 v3, v4, v19, 2
	v_and_b32_e32 v0, v0, v2
	s_delay_alu instid0(VALU_DEP_3) | instskip(SKIP_3) | instid1(VALU_DEP_1)
	v_xor_b32_e32 v1, vcc_lo, v1
	ds_load_b32 v35, v3 offset:40
	v_add_nc_u32_e32 v37, 40, v3
	; wave barrier
	v_and_b32_e32 v0, v0, v1
	v_mbcnt_lo_u32_b32 v36, v0, 0
	v_cmp_ne_u32_e64 s13, 0, v0
	s_delay_alu instid0(VALU_DEP_2) | instskip(NEXT) | instid1(VALU_DEP_2)
	v_cmp_eq_u32_e32 vcc_lo, 0, v36
	s_and_b32 s17, s13, vcc_lo
	s_delay_alu instid0(SALU_CYCLE_1)
	s_and_saveexec_b32 s13, s17
	s_cbranch_execz .LBB36_10
; %bb.9:                                ;   in Loop: Header=BB36_4 Depth=2
	s_waitcnt lgkmcnt(0)
	v_bcnt_u32_b32 v0, v0, v35
	ds_store_b32 v37, v0
.LBB36_10:                              ;   in Loop: Header=BB36_4 Depth=2
	s_or_b32 exec_lo, exec_lo, s13
	v_bfe_u32 v0, v27, s16, 1
	v_lshrrev_b32_e32 v1, s16, v27
	; wave barrier
	s_delay_alu instid0(VALU_DEP_2) | instskip(NEXT) | instid1(VALU_DEP_1)
	v_add_co_u32 v0, s13, v0, -1
	v_cndmask_b32_e64 v2, 0, 1, s13
	s_delay_alu instid0(VALU_DEP_3)
	v_lshlrev_b32_e32 v3, 30, v1
	v_lshlrev_b32_e32 v4, 29, v1
	;; [unrolled: 1-line block ×4, first 2 shown]
	v_cmp_ne_u32_e32 vcc_lo, 0, v2
	v_not_b32_e32 v2, v3
	v_cmp_gt_i32_e64 s13, 0, v3
	v_not_b32_e32 v3, v4
	v_lshlrev_b32_e32 v7, 26, v1
	v_xor_b32_e32 v0, vcc_lo, v0
	v_ashrrev_i32_e32 v2, 31, v2
	v_cmp_gt_i32_e32 vcc_lo, 0, v4
	v_not_b32_e32 v4, v5
	v_ashrrev_i32_e32 v3, 31, v3
	v_and_b32_e32 v0, exec_lo, v0
	v_xor_b32_e32 v2, s13, v2
	v_cmp_gt_i32_e64 s13, 0, v5
	v_not_b32_e32 v5, v6
	v_ashrrev_i32_e32 v4, 31, v4
	v_xor_b32_e32 v3, vcc_lo, v3
	v_and_b32_e32 v0, v0, v2
	v_cmp_gt_i32_e32 vcc_lo, 0, v6
	v_not_b32_e32 v2, v7
	v_ashrrev_i32_e32 v5, 31, v5
	v_xor_b32_e32 v4, s13, v4
	v_and_b32_e32 v0, v0, v3
	v_lshlrev_b32_e32 v3, 25, v1
	v_cmp_gt_i32_e64 s13, 0, v7
	v_ashrrev_i32_e32 v2, 31, v2
	v_xor_b32_e32 v5, vcc_lo, v5
	v_and_b32_e32 v0, v0, v4
	v_not_b32_e32 v6, v3
	v_lshlrev_b32_e32 v1, 24, v1
	v_bfe_u32 v4, v27, s16, 8
	v_xor_b32_e32 v2, s13, v2
	v_and_b32_e32 v0, v0, v5
	v_cmp_gt_i32_e32 vcc_lo, 0, v3
	v_ashrrev_i32_e32 v3, 31, v6
	v_not_b32_e32 v5, v1
	v_mul_u32_u24_e32 v4, 10, v4
	v_and_b32_e32 v0, v0, v2
	s_delay_alu instid0(VALU_DEP_4) | instskip(SKIP_3) | instid1(VALU_DEP_4)
	v_xor_b32_e32 v2, vcc_lo, v3
	v_cmp_gt_i32_e32 vcc_lo, 0, v1
	v_ashrrev_i32_e32 v1, 31, v5
	v_add_lshl_u32 v3, v4, v19, 2
	v_and_b32_e32 v0, v0, v2
	s_delay_alu instid0(VALU_DEP_3) | instskip(SKIP_3) | instid1(VALU_DEP_1)
	v_xor_b32_e32 v1, vcc_lo, v1
	ds_load_b32 v38, v3 offset:40
	v_add_nc_u32_e32 v40, 40, v3
	; wave barrier
	v_and_b32_e32 v0, v0, v1
	v_mbcnt_lo_u32_b32 v39, v0, 0
	v_cmp_ne_u32_e64 s13, 0, v0
	s_delay_alu instid0(VALU_DEP_2) | instskip(NEXT) | instid1(VALU_DEP_2)
	v_cmp_eq_u32_e32 vcc_lo, 0, v39
	s_and_b32 s17, s13, vcc_lo
	s_delay_alu instid0(SALU_CYCLE_1)
	s_and_saveexec_b32 s13, s17
	s_cbranch_execz .LBB36_12
; %bb.11:                               ;   in Loop: Header=BB36_4 Depth=2
	s_waitcnt lgkmcnt(0)
	v_bcnt_u32_b32 v0, v0, v38
	ds_store_b32 v40, v0
.LBB36_12:                              ;   in Loop: Header=BB36_4 Depth=2
	s_or_b32 exec_lo, exec_lo, s13
	; wave barrier
	s_waitcnt lgkmcnt(0)
	s_barrier
	buffer_gl0_inv
	ds_load_2addr_b64 v[4:7], v15 offset0:5 offset1:6
	ds_load_2addr_b64 v[0:3], v18 offset0:2 offset1:3
	s_waitcnt lgkmcnt(1)
	v_add_nc_u32_e32 v41, v5, v4
	s_delay_alu instid0(VALU_DEP_1) | instskip(SKIP_1) | instid1(VALU_DEP_1)
	v_add3_u32 v41, v41, v6, v7
	s_waitcnt lgkmcnt(0)
	v_add3_u32 v41, v41, v0, v1
	s_delay_alu instid0(VALU_DEP_1) | instskip(NEXT) | instid1(VALU_DEP_1)
	v_add3_u32 v3, v41, v2, v3
	v_mov_b32_dpp v41, v3 row_shr:1 row_mask:0xf bank_mask:0xf
	s_delay_alu instid0(VALU_DEP_1) | instskip(NEXT) | instid1(VALU_DEP_1)
	v_cndmask_b32_e64 v41, v41, 0, s3
	v_add_nc_u32_e32 v3, v41, v3
	s_delay_alu instid0(VALU_DEP_1) | instskip(NEXT) | instid1(VALU_DEP_1)
	v_mov_b32_dpp v41, v3 row_shr:2 row_mask:0xf bank_mask:0xf
	v_cndmask_b32_e64 v41, 0, v41, s4
	s_delay_alu instid0(VALU_DEP_1) | instskip(NEXT) | instid1(VALU_DEP_1)
	v_add_nc_u32_e32 v3, v3, v41
	v_mov_b32_dpp v41, v3 row_shr:4 row_mask:0xf bank_mask:0xf
	s_delay_alu instid0(VALU_DEP_1) | instskip(NEXT) | instid1(VALU_DEP_1)
	v_cndmask_b32_e64 v41, 0, v41, s5
	v_add_nc_u32_e32 v3, v3, v41
	s_delay_alu instid0(VALU_DEP_1) | instskip(NEXT) | instid1(VALU_DEP_1)
	v_mov_b32_dpp v41, v3 row_shr:8 row_mask:0xf bank_mask:0xf
	v_cndmask_b32_e64 v41, 0, v41, s6
	s_delay_alu instid0(VALU_DEP_1) | instskip(SKIP_3) | instid1(VALU_DEP_1)
	v_add_nc_u32_e32 v3, v3, v41
	ds_swizzle_b32 v41, v3 offset:swizzle(BROADCAST,32,15)
	s_waitcnt lgkmcnt(0)
	v_cndmask_b32_e64 v41, v41, 0, s7
	v_add_nc_u32_e32 v3, v3, v41
	s_and_saveexec_b32 s13, s8
	s_cbranch_execz .LBB36_14
; %bb.13:                               ;   in Loop: Header=BB36_4 Depth=2
	ds_store_b32 v21, v3
.LBB36_14:                              ;   in Loop: Header=BB36_4 Depth=2
	s_or_b32 exec_lo, exec_lo, s13
	s_waitcnt lgkmcnt(0)
	s_barrier
	buffer_gl0_inv
	s_and_saveexec_b32 s13, s9
	s_cbranch_execz .LBB36_16
; %bb.15:                               ;   in Loop: Header=BB36_4 Depth=2
	ds_load_b32 v41, v22
	s_waitcnt lgkmcnt(0)
	v_mov_b32_dpp v42, v41 row_shr:1 row_mask:0xf bank_mask:0xf
	s_delay_alu instid0(VALU_DEP_1) | instskip(NEXT) | instid1(VALU_DEP_1)
	v_cndmask_b32_e64 v42, v42, 0, s3
	v_add_nc_u32_e32 v41, v42, v41
	s_delay_alu instid0(VALU_DEP_1) | instskip(NEXT) | instid1(VALU_DEP_1)
	v_mov_b32_dpp v42, v41 row_shr:2 row_mask:0xf bank_mask:0xf
	v_cndmask_b32_e64 v42, 0, v42, s4
	s_delay_alu instid0(VALU_DEP_1) | instskip(NEXT) | instid1(VALU_DEP_1)
	v_add_nc_u32_e32 v41, v41, v42
	v_mov_b32_dpp v42, v41 row_shr:4 row_mask:0xf bank_mask:0xf
	s_delay_alu instid0(VALU_DEP_1) | instskip(NEXT) | instid1(VALU_DEP_1)
	v_cndmask_b32_e64 v42, 0, v42, s5
	v_add_nc_u32_e32 v41, v41, v42
	s_delay_alu instid0(VALU_DEP_1) | instskip(NEXT) | instid1(VALU_DEP_1)
	v_mov_b32_dpp v42, v41 row_shr:8 row_mask:0xf bank_mask:0xf
	v_cndmask_b32_e64 v42, 0, v42, s6
	s_delay_alu instid0(VALU_DEP_1)
	v_add_nc_u32_e32 v41, v41, v42
	ds_store_b32 v22, v41
.LBB36_16:                              ;   in Loop: Header=BB36_4 Depth=2
	s_or_b32 exec_lo, exec_lo, s13
	v_mov_b32_e32 v41, 0
	s_waitcnt lgkmcnt(0)
	s_barrier
	buffer_gl0_inv
	s_and_saveexec_b32 s13, s10
	s_cbranch_execz .LBB36_18
; %bb.17:                               ;   in Loop: Header=BB36_4 Depth=2
	ds_load_b32 v41, v23
.LBB36_18:                              ;   in Loop: Header=BB36_4 Depth=2
	s_or_b32 exec_lo, exec_lo, s13
	s_waitcnt lgkmcnt(0)
	v_add_nc_u32_e32 v3, v41, v3
	s_cmp_gt_u32 s16, 23
	ds_bpermute_b32 v3, v20, v3
	s_waitcnt lgkmcnt(0)
	v_cndmask_b32_e64 v3, v3, v41, s11
	s_delay_alu instid0(VALU_DEP_1) | instskip(NEXT) | instid1(VALU_DEP_1)
	v_cndmask_b32_e64 v3, v3, 0, s12
	v_add_nc_u32_e32 v4, v3, v4
	s_delay_alu instid0(VALU_DEP_1) | instskip(NEXT) | instid1(VALU_DEP_1)
	v_add_nc_u32_e32 v5, v4, v5
	v_add_nc_u32_e32 v6, v5, v6
	s_delay_alu instid0(VALU_DEP_1) | instskip(NEXT) | instid1(VALU_DEP_1)
	v_add_nc_u32_e32 v41, v6, v7
	;; [unrolled: 3-line block ×3, first 2 shown]
	v_add_nc_u32_e32 v1, v0, v2
	ds_store_2addr_b64 v15, v[3:4], v[5:6] offset0:5 offset1:6
	ds_store_2addr_b64 v18, v[41:42], v[0:1] offset0:2 offset1:3
	s_waitcnt lgkmcnt(0)
	s_barrier
	buffer_gl0_inv
	ds_load_b32 v0, v31
	ds_load_b32 v1, v34
	ds_load_b32 v2, v37
	ds_load_b32 v3, v40
	s_waitcnt lgkmcnt(3)
	v_add_nc_u32_e32 v7, v0, v30
	s_waitcnt lgkmcnt(2)
	v_add3_u32 v6, v33, v32, v1
	s_waitcnt lgkmcnt(1)
	v_add3_u32 v5, v36, v35, v2
	;; [unrolled: 2-line block ×3, first 2 shown]
	s_cbranch_scc0 .LBB36_3
; %bb.19:                               ;   in Loop: Header=BB36_2 Depth=1
                                        ; implicit-def: $vgpr3
                                        ; implicit-def: $vgpr1
                                        ; implicit-def: $sgpr16
	s_branch .LBB36_1
.LBB36_20:
	v_lshlrev_b32_e32 v0, 2, v8
	s_add_u32 s0, s18, s14
	s_addc_u32 s1, s19, s15
	s_clause 0x3
	global_store_b32 v0, v2, s[0:1]
	global_store_b32 v0, v3, s[0:1] offset:1280
	global_store_b32 v0, v4, s[0:1] offset:2560
	;; [unrolled: 1-line block ×3, first 2 shown]
	s_nop 0
	s_sendmsg sendmsg(MSG_DEALLOC_VGPRS)
	s_endpgm
	.section	.rodata,"a",@progbits
	.p2align	6, 0x0
	.amdhsa_kernel _Z16sort_keys_kernelI22helper_blocked_blockediLj320ELj4ELj10EEvPKT0_PS1_
		.amdhsa_group_segment_fixed_size 10288
		.amdhsa_private_segment_fixed_size 0
		.amdhsa_kernarg_size 272
		.amdhsa_user_sgpr_count 15
		.amdhsa_user_sgpr_dispatch_ptr 0
		.amdhsa_user_sgpr_queue_ptr 0
		.amdhsa_user_sgpr_kernarg_segment_ptr 1
		.amdhsa_user_sgpr_dispatch_id 0
		.amdhsa_user_sgpr_private_segment_size 0
		.amdhsa_wavefront_size32 1
		.amdhsa_uses_dynamic_stack 0
		.amdhsa_enable_private_segment 0
		.amdhsa_system_sgpr_workgroup_id_x 1
		.amdhsa_system_sgpr_workgroup_id_y 0
		.amdhsa_system_sgpr_workgroup_id_z 0
		.amdhsa_system_sgpr_workgroup_info 0
		.amdhsa_system_vgpr_workitem_id 2
		.amdhsa_next_free_vgpr 43
		.amdhsa_next_free_sgpr 22
		.amdhsa_reserve_vcc 1
		.amdhsa_float_round_mode_32 0
		.amdhsa_float_round_mode_16_64 0
		.amdhsa_float_denorm_mode_32 3
		.amdhsa_float_denorm_mode_16_64 3
		.amdhsa_dx10_clamp 1
		.amdhsa_ieee_mode 1
		.amdhsa_fp16_overflow 0
		.amdhsa_workgroup_processor_mode 1
		.amdhsa_memory_ordered 1
		.amdhsa_forward_progress 0
		.amdhsa_shared_vgpr_count 0
		.amdhsa_exception_fp_ieee_invalid_op 0
		.amdhsa_exception_fp_denorm_src 0
		.amdhsa_exception_fp_ieee_div_zero 0
		.amdhsa_exception_fp_ieee_overflow 0
		.amdhsa_exception_fp_ieee_underflow 0
		.amdhsa_exception_fp_ieee_inexact 0
		.amdhsa_exception_int_div_zero 0
	.end_amdhsa_kernel
	.section	.text._Z16sort_keys_kernelI22helper_blocked_blockediLj320ELj4ELj10EEvPKT0_PS1_,"axG",@progbits,_Z16sort_keys_kernelI22helper_blocked_blockediLj320ELj4ELj10EEvPKT0_PS1_,comdat
.Lfunc_end36:
	.size	_Z16sort_keys_kernelI22helper_blocked_blockediLj320ELj4ELj10EEvPKT0_PS1_, .Lfunc_end36-_Z16sort_keys_kernelI22helper_blocked_blockediLj320ELj4ELj10EEvPKT0_PS1_
                                        ; -- End function
	.section	.AMDGPU.csdata,"",@progbits
; Kernel info:
; codeLenInByte = 3028
; NumSgprs: 24
; NumVgprs: 43
; ScratchSize: 0
; MemoryBound: 0
; FloatMode: 240
; IeeeMode: 1
; LDSByteSize: 10288 bytes/workgroup (compile time only)
; SGPRBlocks: 2
; VGPRBlocks: 5
; NumSGPRsForWavesPerEU: 24
; NumVGPRsForWavesPerEU: 43
; Occupancy: 15
; WaveLimiterHint : 1
; COMPUTE_PGM_RSRC2:SCRATCH_EN: 0
; COMPUTE_PGM_RSRC2:USER_SGPR: 15
; COMPUTE_PGM_RSRC2:TRAP_HANDLER: 0
; COMPUTE_PGM_RSRC2:TGID_X_EN: 1
; COMPUTE_PGM_RSRC2:TGID_Y_EN: 0
; COMPUTE_PGM_RSRC2:TGID_Z_EN: 0
; COMPUTE_PGM_RSRC2:TIDIG_COMP_CNT: 2
	.section	.text._Z17sort_pairs_kernelI22helper_blocked_blockediLj320ELj4ELj10EEvPKT0_PS1_,"axG",@progbits,_Z17sort_pairs_kernelI22helper_blocked_blockediLj320ELj4ELj10EEvPKT0_PS1_,comdat
	.protected	_Z17sort_pairs_kernelI22helper_blocked_blockediLj320ELj4ELj10EEvPKT0_PS1_ ; -- Begin function _Z17sort_pairs_kernelI22helper_blocked_blockediLj320ELj4ELj10EEvPKT0_PS1_
	.globl	_Z17sort_pairs_kernelI22helper_blocked_blockediLj320ELj4ELj10EEvPKT0_PS1_
	.p2align	8
	.type	_Z17sort_pairs_kernelI22helper_blocked_blockediLj320ELj4ELj10EEvPKT0_PS1_,@function
_Z17sort_pairs_kernelI22helper_blocked_blockediLj320ELj4ELj10EEvPKT0_PS1_: ; @_Z17sort_pairs_kernelI22helper_blocked_blockediLj320ELj4ELj10EEvPKT0_PS1_
; %bb.0:
	s_clause 0x1
	s_load_b128 s[16:19], s[0:1], 0x0
	s_load_b32 s12, s[0:1], 0x1c
	v_and_b32_e32 v8, 0x3ff, v0
	s_mov_b32 s21, 0
	s_mul_i32 s20, s15, 0x500
	v_mbcnt_lo_u32_b32 v3, -1, 0
	s_lshl_b64 s[14:15], s[20:21], 2
	s_mov_b32 s20, s21
	s_delay_alu instid0(SALU_CYCLE_1) | instskip(NEXT) | instid1(VALU_DEP_2)
	v_dual_mov_b32 v11, s20 :: v_dual_lshlrev_b32 v2, 2, v8
	v_add_nc_u32_e32 v21, -1, v3
	v_bfe_u32 v19, v0, 10, 10
	v_bfe_u32 v0, v0, 20, 10
	v_and_b32_e32 v20, 16, v3
	v_dual_mov_b32 v12, s21 :: v_dual_and_b32 v13, 28, v3
	v_cmp_gt_i32_e32 vcc_lo, 0, v21
	v_and_b32_e32 v18, 15, v3
	s_delay_alu instid0(VALU_DEP_4) | instskip(NEXT) | instid1(VALU_DEP_4)
	v_cmp_eq_u32_e64 s8, 0, v20
	v_or_b32_e32 v14, 32, v13
	s_waitcnt lgkmcnt(0)
	s_add_u32 s0, s16, s14
	s_addc_u32 s1, s17, s15
	s_lshr_b32 s13, s12, 16
	s_clause 0x3
	global_load_b32 v5, v2, s[0:1]
	global_load_b32 v6, v2, s[0:1] offset:1280
	global_load_b32 v7, v2, s[0:1] offset:2560
	;; [unrolled: 1-line block ×3, first 2 shown]
	s_mov_b32 s1, s21
	s_mov_b32 s0, s21
	v_dual_mov_b32 v10, s1 :: v_dual_and_b32 v1, 3, v3
	v_mov_b32_e32 v9, s0
	v_mad_u32_u24 v22, v0, s13, v19
	v_dual_cndmask_b32 v20, v21, v3 :: v_dual_lshlrev_b32 v17, 5, v8
	s_delay_alu instid0(VALU_DEP_4)
	v_cmp_eq_u32_e64 s1, 3, v1
	v_cmp_eq_u32_e64 s2, 2, v1
	;; [unrolled: 1-line block ×3, first 2 shown]
	v_and_b32_e32 v1, 0x1e0, v8
	v_lshrrev_b32_e32 v21, 3, v8
	s_and_b32 s12, s12, 0xffff
	v_mul_u32_u24_e32 v25, 12, v8
	v_cmp_eq_u32_e64 s0, 0, v3
	v_min_u32_e32 v23, 0x120, v1
	v_mad_u64_u32 v[0:1], null, v22, s12, v[8:9]
	v_and_b32_e32 v19, 60, v21
	v_and_or_b32 v1, 0x780, v2, v3
	s_delay_alu instid0(VALU_DEP_4)
	v_or_b32_e32 v2, 31, v23
	v_mad_i32_i24 v21, 0xffffffe4, v8, v17
	v_or_b32_e32 v15, 64, v13
	v_or_b32_e32 v16, 0x60, v13
	v_cmp_eq_u32_e64 s4, 0, v18
	v_cmp_lt_u32_e64 s5, 1, v18
	v_cmp_lt_u32_e64 s6, 3, v18
	v_cmp_lt_u32_e64 s7, 7, v18
	v_cmp_gt_u32_e64 s9, 10, v8
	v_cmp_lt_u32_e64 s10, 31, v8
	v_cmp_eq_u32_e64 s11, 0, v8
	v_add_nc_u32_e32 v18, 40, v17
	v_lshlrev_b32_e32 v20, 2, v20
	v_add_nc_u32_e32 v22, -4, v19
	v_lshlrev_b32_e32 v23, 2, v1
	v_cmp_eq_u32_e64 s12, v2, v8
	v_lshrrev_b32_e32 v24, 5, v0
	v_add_nc_u32_e32 v25, v21, v25
	s_waitcnt vmcnt(3)
	v_add_nc_u32_e32 v0, 1, v5
	s_waitcnt vmcnt(2)
	;; [unrolled: 2-line block ×4, first 2 shown]
	v_add_nc_u32_e32 v3, 1, v4
	s_branch .LBB37_2
.LBB37_1:                               ;   in Loop: Header=BB37_2 Depth=1
	v_lshlrev_b32_e32 v0, 2, v38
	v_lshlrev_b32_e32 v1, 2, v36
	;; [unrolled: 1-line block ×4, first 2 shown]
	s_barrier
	buffer_gl0_inv
	ds_store_b32 v0, v26
	ds_store_b32 v1, v33
	;; [unrolled: 1-line block ×4, first 2 shown]
	s_waitcnt lgkmcnt(0)
	s_barrier
	buffer_gl0_inv
	ds_load_2addr_b64 v[32:35], v25 offset1:1
	s_waitcnt lgkmcnt(0)
	s_barrier
	buffer_gl0_inv
	ds_store_b32 v0, v31
	ds_store_b32 v1, v29
	;; [unrolled: 1-line block ×4, first 2 shown]
	s_waitcnt lgkmcnt(0)
	s_barrier
	buffer_gl0_inv
	ds_load_2addr_b64 v[0:3], v25 offset1:1
	s_add_i32 s21, s21, 1
	s_delay_alu instid0(SALU_CYCLE_1)
	s_cmp_eq_u32 s21, 10
	v_xor_b32_e32 v5, 0x80000000, v32
	v_xor_b32_e32 v6, 0x80000000, v33
	;; [unrolled: 1-line block ×4, first 2 shown]
	s_cbranch_scc1 .LBB37_20
.LBB37_2:                               ; =>This Loop Header: Depth=1
                                        ;     Child Loop BB37_4 Depth 2
	v_xor_b32_e32 v5, 0x80000000, v5
	v_xor_b32_e32 v6, 0x80000000, v6
	;; [unrolled: 1-line block ×4, first 2 shown]
	s_waitcnt lgkmcnt(0)
	ds_bpermute_b32 v35, v13, v0
	ds_bpermute_b32 v26, v13, v5
	;; [unrolled: 1-line block ×22, first 2 shown]
	s_waitcnt lgkmcnt(19)
	v_cndmask_b32_e64 v26, v26, v27, s3
	ds_bpermute_b32 v4, v16, v4
	s_waitcnt lgkmcnt(18)
	v_cndmask_b32_e64 v27, v28, v29, s3
	ds_bpermute_b32 v29, v16, v1
	s_waitcnt lgkmcnt(17)
	v_cndmask_b32_e64 v28, v30, v31, s3
	s_waitcnt lgkmcnt(16)
	v_cndmask_b32_e64 v26, v26, v32, s2
	ds_bpermute_b32 v30, v13, v2
	s_waitcnt lgkmcnt(16)
	v_cndmask_b32_e64 v27, v27, v33, s2
	ds_bpermute_b32 v31, v14, v2
	ds_bpermute_b32 v32, v15, v2
	;; [unrolled: 1-line block ×3, first 2 shown]
	s_waitcnt lgkmcnt(18)
	v_cndmask_b32_e64 v28, v28, v34, s2
	ds_bpermute_b32 v34, v13, v3
	ds_bpermute_b32 v44, v14, v3
	;; [unrolled: 1-line block ×4, first 2 shown]
	s_waitcnt lgkmcnt(15)
	v_cndmask_b32_e64 v0, v26, v0, s1
	s_waitcnt lgkmcnt(14)
	v_cndmask_b32_e64 v1, v27, v42, s1
	;; [unrolled: 2-line block ×3, first 2 shown]
	v_cndmask_b32_e64 v5, v35, v36, s3
	v_cndmask_b32_e64 v6, v37, v38, s3
	;; [unrolled: 1-line block ×3, first 2 shown]
	s_waitcnt lgkmcnt(10)
	v_cndmask_b32_e64 v2, v28, v43, s1
	s_waitcnt lgkmcnt(8)
	v_cndmask_b32_e64 v27, v41, v29, s3
	v_cndmask_b32_e64 v3, v3, v7, s2
	s_mov_b32 s16, 0
	s_waitcnt lgkmcnt(7)
	v_cndmask_b32_e64 v5, v5, v30, s2
	s_waitcnt lgkmcnt(0)
	v_cndmask_b32_e64 v6, v6, v31, s2
	v_cndmask_b32_e64 v7, v26, v32, s2
	;; [unrolled: 1-line block ×8, first 2 shown]
	s_barrier
	s_branch .LBB37_4
.LBB37_3:                               ;   in Loop: Header=BB37_4 Depth=2
	v_lshlrev_b32_e32 v4, 2, v38
	v_lshlrev_b32_e32 v5, 2, v36
	;; [unrolled: 1-line block ×4, first 2 shown]
	s_barrier
	buffer_gl0_inv
	ds_store_b32 v4, v26
	ds_store_b32 v5, v33
	;; [unrolled: 1-line block ×4, first 2 shown]
	s_waitcnt lgkmcnt(0)
	s_barrier
	buffer_gl0_inv
	ds_load_2addr_b32 v[0:1], v23 offset1:32
	ds_load_2addr_b32 v[2:3], v23 offset0:64 offset1:96
	s_waitcnt lgkmcnt(0)
	s_barrier
	buffer_gl0_inv
	ds_store_b32 v4, v31
	ds_store_b32 v5, v29
	ds_store_b32 v6, v28
	ds_store_b32 v7, v27
	s_waitcnt lgkmcnt(0)
	s_barrier
	buffer_gl0_inv
	ds_load_2addr_b32 v[4:5], v23 offset1:32
	ds_load_2addr_b32 v[6:7], v23 offset0:64 offset1:96
	s_add_i32 s16, s16, 8
	s_waitcnt lgkmcnt(0)
	s_barrier
	s_cbranch_execz .LBB37_1
.LBB37_4:                               ;   Parent Loop BB37_2 Depth=1
                                        ; =>  This Inner Loop Header: Depth=2
	v_mov_b32_e32 v26, v0
	buffer_gl0_inv
	ds_store_2addr_b64 v17, v[11:12], v[9:10] offset0:5 offset1:6
	ds_store_2addr_b64 v18, v[11:12], v[9:10] offset0:2 offset1:3
	s_waitcnt lgkmcnt(0)
	s_barrier
	v_lshrrev_b32_e32 v27, s16, v26
	buffer_gl0_inv
	; wave barrier
	v_lshlrev_b32_e32 v29, 30, v27
	v_bfe_u32 v0, v26, s16, 1
	v_lshlrev_b32_e32 v30, 29, v27
	v_lshlrev_b32_e32 v31, 28, v27
	;; [unrolled: 1-line block ×4, first 2 shown]
	v_add_co_u32 v0, s13, v0, -1
	s_delay_alu instid0(VALU_DEP_1) | instskip(SKIP_3) | instid1(VALU_DEP_4)
	v_cndmask_b32_e64 v28, 0, 1, s13
	v_cmp_gt_i32_e64 s13, 0, v29
	v_lshlrev_b32_e32 v34, 25, v27
	v_lshlrev_b32_e32 v27, 24, v27
	v_cmp_ne_u32_e32 vcc_lo, 0, v28
	v_not_b32_e32 v28, v29
	v_not_b32_e32 v29, v30
	v_xor_b32_e32 v0, vcc_lo, v0
	s_delay_alu instid0(VALU_DEP_3)
	v_ashrrev_i32_e32 v28, 31, v28
	v_cmp_gt_i32_e32 vcc_lo, 0, v30
	v_not_b32_e32 v30, v31
	v_ashrrev_i32_e32 v29, 31, v29
	v_and_b32_e32 v0, exec_lo, v0
	v_xor_b32_e32 v28, s13, v28
	v_cmp_gt_i32_e64 s13, 0, v31
	v_ashrrev_i32_e32 v30, 31, v30
	v_xor_b32_e32 v29, vcc_lo, v29
	s_delay_alu instid0(VALU_DEP_4) | instskip(SKIP_1) | instid1(VALU_DEP_4)
	v_and_b32_e32 v0, v0, v28
	v_not_b32_e32 v28, v33
	v_xor_b32_e32 v30, s13, v30
	v_cmp_gt_i32_e64 s13, 0, v33
	s_delay_alu instid0(VALU_DEP_4) | instskip(NEXT) | instid1(VALU_DEP_4)
	v_dual_mov_b32 v33, v1 :: v_dual_and_b32 v0, v0, v29
	v_ashrrev_i32_e32 v28, 31, v28
	v_not_b32_e32 v29, v34
	v_bfe_u32 v1, v26, s16, 8
	s_delay_alu instid0(VALU_DEP_4)
	v_and_b32_e32 v0, v0, v30
	v_not_b32_e32 v30, v27
	v_xor_b32_e32 v28, s13, v28
	v_cmp_gt_i32_e64 s13, 0, v27
	v_ashrrev_i32_e32 v29, 31, v29
	v_mad_u32_u24 v1, v1, 10, v24
	v_ashrrev_i32_e32 v27, 31, v30
	v_mov_b32_e32 v30, v3
	s_delay_alu instid0(VALU_DEP_3) | instskip(NEXT) | instid1(VALU_DEP_3)
	v_lshl_add_u32 v35, v1, 2, 40
	v_xor_b32_e32 v3, s13, v27
	v_mov_b32_e32 v27, v7
	v_not_b32_e32 v31, v32
	v_cmp_gt_i32_e32 vcc_lo, 0, v32
	v_mov_b32_e32 v32, v2
	s_delay_alu instid0(VALU_DEP_3) | instskip(NEXT) | instid1(VALU_DEP_1)
	v_ashrrev_i32_e32 v31, 31, v31
	v_xor_b32_e32 v31, vcc_lo, v31
	v_cmp_gt_i32_e32 vcc_lo, 0, v34
	s_delay_alu instid0(VALU_DEP_2) | instskip(SKIP_2) | instid1(VALU_DEP_3)
	v_and_b32_e32 v0, v0, v31
	v_mov_b32_e32 v31, v4
	v_xor_b32_e32 v29, vcc_lo, v29
	v_and_b32_e32 v0, v0, v28
	v_mov_b32_e32 v28, v6
	s_delay_alu instid0(VALU_DEP_2) | instskip(NEXT) | instid1(VALU_DEP_1)
	v_dual_mov_b32 v29, v5 :: v_dual_and_b32 v0, v0, v29
	v_and_b32_e32 v0, v0, v3
	s_delay_alu instid0(VALU_DEP_1) | instskip(SKIP_1) | instid1(VALU_DEP_2)
	v_mbcnt_lo_u32_b32 v34, v0, 0
	v_cmp_ne_u32_e64 s13, 0, v0
	v_cmp_eq_u32_e32 vcc_lo, 0, v34
	s_delay_alu instid0(VALU_DEP_2) | instskip(NEXT) | instid1(SALU_CYCLE_1)
	s_and_b32 s17, s13, vcc_lo
	s_and_saveexec_b32 s13, s17
	s_cbranch_execz .LBB37_6
; %bb.5:                                ;   in Loop: Header=BB37_4 Depth=2
	v_bcnt_u32_b32 v0, v0, 0
	ds_store_b32 v35, v0
.LBB37_6:                               ;   in Loop: Header=BB37_4 Depth=2
	s_or_b32 exec_lo, exec_lo, s13
	v_bfe_u32 v0, v33, s16, 1
	v_lshrrev_b32_e32 v1, s16, v33
	; wave barrier
	s_delay_alu instid0(VALU_DEP_2) | instskip(NEXT) | instid1(VALU_DEP_1)
	v_add_co_u32 v0, s13, v0, -1
	v_cndmask_b32_e64 v2, 0, 1, s13
	s_delay_alu instid0(VALU_DEP_3)
	v_lshlrev_b32_e32 v3, 30, v1
	v_lshlrev_b32_e32 v4, 29, v1
	;; [unrolled: 1-line block ×4, first 2 shown]
	v_cmp_ne_u32_e32 vcc_lo, 0, v2
	v_not_b32_e32 v2, v3
	v_cmp_gt_i32_e64 s13, 0, v3
	v_not_b32_e32 v3, v4
	v_lshlrev_b32_e32 v7, 26, v1
	v_xor_b32_e32 v0, vcc_lo, v0
	v_ashrrev_i32_e32 v2, 31, v2
	v_cmp_gt_i32_e32 vcc_lo, 0, v4
	v_not_b32_e32 v4, v5
	v_ashrrev_i32_e32 v3, 31, v3
	v_and_b32_e32 v0, exec_lo, v0
	v_xor_b32_e32 v2, s13, v2
	v_cmp_gt_i32_e64 s13, 0, v5
	v_not_b32_e32 v5, v6
	v_ashrrev_i32_e32 v4, 31, v4
	v_xor_b32_e32 v3, vcc_lo, v3
	v_and_b32_e32 v0, v0, v2
	v_cmp_gt_i32_e32 vcc_lo, 0, v6
	v_not_b32_e32 v2, v7
	v_ashrrev_i32_e32 v5, 31, v5
	v_xor_b32_e32 v4, s13, v4
	v_and_b32_e32 v0, v0, v3
	v_lshlrev_b32_e32 v3, 25, v1
	v_cmp_gt_i32_e64 s13, 0, v7
	v_ashrrev_i32_e32 v2, 31, v2
	v_xor_b32_e32 v5, vcc_lo, v5
	v_and_b32_e32 v0, v0, v4
	v_not_b32_e32 v6, v3
	v_lshlrev_b32_e32 v1, 24, v1
	v_bfe_u32 v4, v33, s16, 8
	v_xor_b32_e32 v2, s13, v2
	v_and_b32_e32 v0, v0, v5
	v_cmp_gt_i32_e32 vcc_lo, 0, v3
	v_ashrrev_i32_e32 v3, 31, v6
	v_not_b32_e32 v5, v1
	v_mul_u32_u24_e32 v4, 10, v4
	v_and_b32_e32 v0, v0, v2
	s_delay_alu instid0(VALU_DEP_4) | instskip(SKIP_3) | instid1(VALU_DEP_4)
	v_xor_b32_e32 v2, vcc_lo, v3
	v_cmp_gt_i32_e32 vcc_lo, 0, v1
	v_ashrrev_i32_e32 v1, 31, v5
	v_add_lshl_u32 v3, v4, v24, 2
	v_and_b32_e32 v0, v0, v2
	s_delay_alu instid0(VALU_DEP_3) | instskip(SKIP_3) | instid1(VALU_DEP_1)
	v_xor_b32_e32 v1, vcc_lo, v1
	ds_load_b32 v36, v3 offset:40
	v_add_nc_u32_e32 v38, 40, v3
	; wave barrier
	v_and_b32_e32 v0, v0, v1
	v_mbcnt_lo_u32_b32 v37, v0, 0
	v_cmp_ne_u32_e64 s13, 0, v0
	s_delay_alu instid0(VALU_DEP_2) | instskip(NEXT) | instid1(VALU_DEP_2)
	v_cmp_eq_u32_e32 vcc_lo, 0, v37
	s_and_b32 s17, s13, vcc_lo
	s_delay_alu instid0(SALU_CYCLE_1)
	s_and_saveexec_b32 s13, s17
	s_cbranch_execz .LBB37_8
; %bb.7:                                ;   in Loop: Header=BB37_4 Depth=2
	s_waitcnt lgkmcnt(0)
	v_bcnt_u32_b32 v0, v0, v36
	ds_store_b32 v38, v0
.LBB37_8:                               ;   in Loop: Header=BB37_4 Depth=2
	s_or_b32 exec_lo, exec_lo, s13
	v_bfe_u32 v0, v32, s16, 1
	v_lshrrev_b32_e32 v1, s16, v32
	; wave barrier
	s_delay_alu instid0(VALU_DEP_2) | instskip(NEXT) | instid1(VALU_DEP_1)
	v_add_co_u32 v0, s13, v0, -1
	v_cndmask_b32_e64 v2, 0, 1, s13
	s_delay_alu instid0(VALU_DEP_3)
	v_lshlrev_b32_e32 v3, 30, v1
	v_lshlrev_b32_e32 v4, 29, v1
	;; [unrolled: 1-line block ×4, first 2 shown]
	v_cmp_ne_u32_e32 vcc_lo, 0, v2
	v_not_b32_e32 v2, v3
	v_cmp_gt_i32_e64 s13, 0, v3
	v_not_b32_e32 v3, v4
	v_lshlrev_b32_e32 v7, 26, v1
	v_xor_b32_e32 v0, vcc_lo, v0
	v_ashrrev_i32_e32 v2, 31, v2
	v_cmp_gt_i32_e32 vcc_lo, 0, v4
	v_not_b32_e32 v4, v5
	v_ashrrev_i32_e32 v3, 31, v3
	v_and_b32_e32 v0, exec_lo, v0
	v_xor_b32_e32 v2, s13, v2
	v_cmp_gt_i32_e64 s13, 0, v5
	v_not_b32_e32 v5, v6
	v_ashrrev_i32_e32 v4, 31, v4
	v_xor_b32_e32 v3, vcc_lo, v3
	v_and_b32_e32 v0, v0, v2
	v_cmp_gt_i32_e32 vcc_lo, 0, v6
	v_not_b32_e32 v2, v7
	v_ashrrev_i32_e32 v5, 31, v5
	v_xor_b32_e32 v4, s13, v4
	v_and_b32_e32 v0, v0, v3
	v_lshlrev_b32_e32 v3, 25, v1
	v_cmp_gt_i32_e64 s13, 0, v7
	v_ashrrev_i32_e32 v2, 31, v2
	v_xor_b32_e32 v5, vcc_lo, v5
	v_and_b32_e32 v0, v0, v4
	v_not_b32_e32 v6, v3
	v_lshlrev_b32_e32 v1, 24, v1
	v_bfe_u32 v4, v32, s16, 8
	v_xor_b32_e32 v2, s13, v2
	v_and_b32_e32 v0, v0, v5
	v_cmp_gt_i32_e32 vcc_lo, 0, v3
	v_ashrrev_i32_e32 v3, 31, v6
	v_not_b32_e32 v5, v1
	v_mul_u32_u24_e32 v4, 10, v4
	v_and_b32_e32 v0, v0, v2
	s_delay_alu instid0(VALU_DEP_4) | instskip(SKIP_3) | instid1(VALU_DEP_4)
	v_xor_b32_e32 v2, vcc_lo, v3
	v_cmp_gt_i32_e32 vcc_lo, 0, v1
	v_ashrrev_i32_e32 v1, 31, v5
	v_add_lshl_u32 v3, v4, v24, 2
	v_and_b32_e32 v0, v0, v2
	s_delay_alu instid0(VALU_DEP_3) | instskip(SKIP_3) | instid1(VALU_DEP_1)
	v_xor_b32_e32 v1, vcc_lo, v1
	ds_load_b32 v39, v3 offset:40
	v_add_nc_u32_e32 v41, 40, v3
	; wave barrier
	v_and_b32_e32 v0, v0, v1
	v_mbcnt_lo_u32_b32 v40, v0, 0
	v_cmp_ne_u32_e64 s13, 0, v0
	s_delay_alu instid0(VALU_DEP_2) | instskip(NEXT) | instid1(VALU_DEP_2)
	v_cmp_eq_u32_e32 vcc_lo, 0, v40
	s_and_b32 s17, s13, vcc_lo
	s_delay_alu instid0(SALU_CYCLE_1)
	s_and_saveexec_b32 s13, s17
	s_cbranch_execz .LBB37_10
; %bb.9:                                ;   in Loop: Header=BB37_4 Depth=2
	s_waitcnt lgkmcnt(0)
	v_bcnt_u32_b32 v0, v0, v39
	ds_store_b32 v41, v0
.LBB37_10:                              ;   in Loop: Header=BB37_4 Depth=2
	s_or_b32 exec_lo, exec_lo, s13
	v_bfe_u32 v0, v30, s16, 1
	v_lshrrev_b32_e32 v1, s16, v30
	; wave barrier
	s_delay_alu instid0(VALU_DEP_2) | instskip(NEXT) | instid1(VALU_DEP_1)
	v_add_co_u32 v0, s13, v0, -1
	v_cndmask_b32_e64 v2, 0, 1, s13
	s_delay_alu instid0(VALU_DEP_3)
	v_lshlrev_b32_e32 v3, 30, v1
	v_lshlrev_b32_e32 v4, 29, v1
	;; [unrolled: 1-line block ×4, first 2 shown]
	v_cmp_ne_u32_e32 vcc_lo, 0, v2
	v_not_b32_e32 v2, v3
	v_cmp_gt_i32_e64 s13, 0, v3
	v_not_b32_e32 v3, v4
	v_lshlrev_b32_e32 v7, 26, v1
	v_xor_b32_e32 v0, vcc_lo, v0
	v_ashrrev_i32_e32 v2, 31, v2
	v_cmp_gt_i32_e32 vcc_lo, 0, v4
	v_not_b32_e32 v4, v5
	v_ashrrev_i32_e32 v3, 31, v3
	v_and_b32_e32 v0, exec_lo, v0
	v_xor_b32_e32 v2, s13, v2
	v_cmp_gt_i32_e64 s13, 0, v5
	v_not_b32_e32 v5, v6
	v_ashrrev_i32_e32 v4, 31, v4
	v_xor_b32_e32 v3, vcc_lo, v3
	v_and_b32_e32 v0, v0, v2
	v_cmp_gt_i32_e32 vcc_lo, 0, v6
	v_not_b32_e32 v2, v7
	v_ashrrev_i32_e32 v5, 31, v5
	v_xor_b32_e32 v4, s13, v4
	v_and_b32_e32 v0, v0, v3
	v_lshlrev_b32_e32 v3, 25, v1
	v_cmp_gt_i32_e64 s13, 0, v7
	v_ashrrev_i32_e32 v2, 31, v2
	v_xor_b32_e32 v5, vcc_lo, v5
	v_and_b32_e32 v0, v0, v4
	v_not_b32_e32 v6, v3
	v_lshlrev_b32_e32 v1, 24, v1
	v_bfe_u32 v4, v30, s16, 8
	v_xor_b32_e32 v2, s13, v2
	v_and_b32_e32 v0, v0, v5
	v_cmp_gt_i32_e32 vcc_lo, 0, v3
	v_ashrrev_i32_e32 v3, 31, v6
	v_not_b32_e32 v5, v1
	v_mul_u32_u24_e32 v4, 10, v4
	v_and_b32_e32 v0, v0, v2
	s_delay_alu instid0(VALU_DEP_4) | instskip(SKIP_3) | instid1(VALU_DEP_4)
	v_xor_b32_e32 v2, vcc_lo, v3
	v_cmp_gt_i32_e32 vcc_lo, 0, v1
	v_ashrrev_i32_e32 v1, 31, v5
	v_add_lshl_u32 v3, v4, v24, 2
	v_and_b32_e32 v0, v0, v2
	s_delay_alu instid0(VALU_DEP_3) | instskip(SKIP_3) | instid1(VALU_DEP_1)
	v_xor_b32_e32 v1, vcc_lo, v1
	ds_load_b32 v42, v3 offset:40
	v_add_nc_u32_e32 v44, 40, v3
	; wave barrier
	v_and_b32_e32 v0, v0, v1
	v_mbcnt_lo_u32_b32 v43, v0, 0
	v_cmp_ne_u32_e64 s13, 0, v0
	s_delay_alu instid0(VALU_DEP_2) | instskip(NEXT) | instid1(VALU_DEP_2)
	v_cmp_eq_u32_e32 vcc_lo, 0, v43
	s_and_b32 s17, s13, vcc_lo
	s_delay_alu instid0(SALU_CYCLE_1)
	s_and_saveexec_b32 s13, s17
	s_cbranch_execz .LBB37_12
; %bb.11:                               ;   in Loop: Header=BB37_4 Depth=2
	s_waitcnt lgkmcnt(0)
	v_bcnt_u32_b32 v0, v0, v42
	ds_store_b32 v44, v0
.LBB37_12:                              ;   in Loop: Header=BB37_4 Depth=2
	s_or_b32 exec_lo, exec_lo, s13
	; wave barrier
	s_waitcnt lgkmcnt(0)
	s_barrier
	buffer_gl0_inv
	ds_load_2addr_b64 v[4:7], v17 offset0:5 offset1:6
	ds_load_2addr_b64 v[0:3], v18 offset0:2 offset1:3
	s_waitcnt lgkmcnt(1)
	v_add_nc_u32_e32 v45, v5, v4
	s_delay_alu instid0(VALU_DEP_1) | instskip(SKIP_1) | instid1(VALU_DEP_1)
	v_add3_u32 v45, v45, v6, v7
	s_waitcnt lgkmcnt(0)
	v_add3_u32 v45, v45, v0, v1
	s_delay_alu instid0(VALU_DEP_1) | instskip(NEXT) | instid1(VALU_DEP_1)
	v_add3_u32 v3, v45, v2, v3
	v_mov_b32_dpp v45, v3 row_shr:1 row_mask:0xf bank_mask:0xf
	s_delay_alu instid0(VALU_DEP_1) | instskip(NEXT) | instid1(VALU_DEP_1)
	v_cndmask_b32_e64 v45, v45, 0, s4
	v_add_nc_u32_e32 v3, v45, v3
	s_delay_alu instid0(VALU_DEP_1) | instskip(NEXT) | instid1(VALU_DEP_1)
	v_mov_b32_dpp v45, v3 row_shr:2 row_mask:0xf bank_mask:0xf
	v_cndmask_b32_e64 v45, 0, v45, s5
	s_delay_alu instid0(VALU_DEP_1) | instskip(NEXT) | instid1(VALU_DEP_1)
	v_add_nc_u32_e32 v3, v3, v45
	v_mov_b32_dpp v45, v3 row_shr:4 row_mask:0xf bank_mask:0xf
	s_delay_alu instid0(VALU_DEP_1) | instskip(NEXT) | instid1(VALU_DEP_1)
	v_cndmask_b32_e64 v45, 0, v45, s6
	v_add_nc_u32_e32 v3, v3, v45
	s_delay_alu instid0(VALU_DEP_1) | instskip(NEXT) | instid1(VALU_DEP_1)
	v_mov_b32_dpp v45, v3 row_shr:8 row_mask:0xf bank_mask:0xf
	v_cndmask_b32_e64 v45, 0, v45, s7
	s_delay_alu instid0(VALU_DEP_1) | instskip(SKIP_3) | instid1(VALU_DEP_1)
	v_add_nc_u32_e32 v3, v3, v45
	ds_swizzle_b32 v45, v3 offset:swizzle(BROADCAST,32,15)
	s_waitcnt lgkmcnt(0)
	v_cndmask_b32_e64 v45, v45, 0, s8
	v_add_nc_u32_e32 v3, v3, v45
	s_and_saveexec_b32 s13, s12
	s_cbranch_execz .LBB37_14
; %bb.13:                               ;   in Loop: Header=BB37_4 Depth=2
	ds_store_b32 v19, v3
.LBB37_14:                              ;   in Loop: Header=BB37_4 Depth=2
	s_or_b32 exec_lo, exec_lo, s13
	s_waitcnt lgkmcnt(0)
	s_barrier
	buffer_gl0_inv
	s_and_saveexec_b32 s13, s9
	s_cbranch_execz .LBB37_16
; %bb.15:                               ;   in Loop: Header=BB37_4 Depth=2
	ds_load_b32 v45, v21
	s_waitcnt lgkmcnt(0)
	v_mov_b32_dpp v46, v45 row_shr:1 row_mask:0xf bank_mask:0xf
	s_delay_alu instid0(VALU_DEP_1) | instskip(NEXT) | instid1(VALU_DEP_1)
	v_cndmask_b32_e64 v46, v46, 0, s4
	v_add_nc_u32_e32 v45, v46, v45
	s_delay_alu instid0(VALU_DEP_1) | instskip(NEXT) | instid1(VALU_DEP_1)
	v_mov_b32_dpp v46, v45 row_shr:2 row_mask:0xf bank_mask:0xf
	v_cndmask_b32_e64 v46, 0, v46, s5
	s_delay_alu instid0(VALU_DEP_1) | instskip(NEXT) | instid1(VALU_DEP_1)
	v_add_nc_u32_e32 v45, v45, v46
	v_mov_b32_dpp v46, v45 row_shr:4 row_mask:0xf bank_mask:0xf
	s_delay_alu instid0(VALU_DEP_1) | instskip(NEXT) | instid1(VALU_DEP_1)
	v_cndmask_b32_e64 v46, 0, v46, s6
	v_add_nc_u32_e32 v45, v45, v46
	s_delay_alu instid0(VALU_DEP_1) | instskip(NEXT) | instid1(VALU_DEP_1)
	v_mov_b32_dpp v46, v45 row_shr:8 row_mask:0xf bank_mask:0xf
	v_cndmask_b32_e64 v46, 0, v46, s7
	s_delay_alu instid0(VALU_DEP_1)
	v_add_nc_u32_e32 v45, v45, v46
	ds_store_b32 v21, v45
.LBB37_16:                              ;   in Loop: Header=BB37_4 Depth=2
	s_or_b32 exec_lo, exec_lo, s13
	v_mov_b32_e32 v45, 0
	s_waitcnt lgkmcnt(0)
	s_barrier
	buffer_gl0_inv
	s_and_saveexec_b32 s13, s10
	s_cbranch_execz .LBB37_18
; %bb.17:                               ;   in Loop: Header=BB37_4 Depth=2
	ds_load_b32 v45, v22
.LBB37_18:                              ;   in Loop: Header=BB37_4 Depth=2
	s_or_b32 exec_lo, exec_lo, s13
	s_waitcnt lgkmcnt(0)
	v_add_nc_u32_e32 v3, v45, v3
	s_cmp_gt_u32 s16, 23
	ds_bpermute_b32 v3, v20, v3
	s_waitcnt lgkmcnt(0)
	v_cndmask_b32_e64 v3, v3, v45, s0
	s_delay_alu instid0(VALU_DEP_1) | instskip(NEXT) | instid1(VALU_DEP_1)
	v_cndmask_b32_e64 v3, v3, 0, s11
	v_add_nc_u32_e32 v4, v3, v4
	s_delay_alu instid0(VALU_DEP_1) | instskip(NEXT) | instid1(VALU_DEP_1)
	v_add_nc_u32_e32 v5, v4, v5
	v_add_nc_u32_e32 v6, v5, v6
	s_delay_alu instid0(VALU_DEP_1) | instskip(NEXT) | instid1(VALU_DEP_1)
	v_add_nc_u32_e32 v45, v6, v7
	;; [unrolled: 3-line block ×3, first 2 shown]
	v_add_nc_u32_e32 v1, v0, v2
	ds_store_2addr_b64 v17, v[3:4], v[5:6] offset0:5 offset1:6
	ds_store_2addr_b64 v18, v[45:46], v[0:1] offset0:2 offset1:3
	s_waitcnt lgkmcnt(0)
	s_barrier
	buffer_gl0_inv
	ds_load_b32 v0, v35
	ds_load_b32 v1, v38
	;; [unrolled: 1-line block ×4, first 2 shown]
	s_waitcnt lgkmcnt(3)
	v_add_nc_u32_e32 v38, v0, v34
	s_waitcnt lgkmcnt(2)
	v_add3_u32 v36, v37, v36, v1
	s_waitcnt lgkmcnt(1)
	v_add3_u32 v35, v40, v39, v2
	;; [unrolled: 2-line block ×3, first 2 shown]
	s_cbranch_scc0 .LBB37_3
; %bb.19:                               ;   in Loop: Header=BB37_2 Depth=1
                                        ; implicit-def: $vgpr3
                                        ; implicit-def: $vgpr1
                                        ; implicit-def: $vgpr7
                                        ; implicit-def: $vgpr5
                                        ; implicit-def: $sgpr16
	s_branch .LBB37_1
.LBB37_20:
	s_waitcnt lgkmcnt(0)
	v_add_nc_u32_e32 v0, v5, v0
	v_lshlrev_b32_e32 v5, 2, v8
	v_add_nc_u32_e32 v1, v6, v1
	v_add_nc_u32_e32 v2, v7, v2
	s_add_u32 s0, s18, s14
	v_add_nc_u32_e32 v3, v4, v3
	s_addc_u32 s1, s19, s15
	s_clause 0x3
	global_store_b32 v5, v0, s[0:1]
	global_store_b32 v5, v1, s[0:1] offset:1280
	global_store_b32 v5, v2, s[0:1] offset:2560
	;; [unrolled: 1-line block ×3, first 2 shown]
	s_nop 0
	s_sendmsg sendmsg(MSG_DEALLOC_VGPRS)
	s_endpgm
	.section	.rodata,"a",@progbits
	.p2align	6, 0x0
	.amdhsa_kernel _Z17sort_pairs_kernelI22helper_blocked_blockediLj320ELj4ELj10EEvPKT0_PS1_
		.amdhsa_group_segment_fixed_size 10288
		.amdhsa_private_segment_fixed_size 0
		.amdhsa_kernarg_size 272
		.amdhsa_user_sgpr_count 15
		.amdhsa_user_sgpr_dispatch_ptr 0
		.amdhsa_user_sgpr_queue_ptr 0
		.amdhsa_user_sgpr_kernarg_segment_ptr 1
		.amdhsa_user_sgpr_dispatch_id 0
		.amdhsa_user_sgpr_private_segment_size 0
		.amdhsa_wavefront_size32 1
		.amdhsa_uses_dynamic_stack 0
		.amdhsa_enable_private_segment 0
		.amdhsa_system_sgpr_workgroup_id_x 1
		.amdhsa_system_sgpr_workgroup_id_y 0
		.amdhsa_system_sgpr_workgroup_id_z 0
		.amdhsa_system_sgpr_workgroup_info 0
		.amdhsa_system_vgpr_workitem_id 2
		.amdhsa_next_free_vgpr 47
		.amdhsa_next_free_sgpr 22
		.amdhsa_reserve_vcc 1
		.amdhsa_float_round_mode_32 0
		.amdhsa_float_round_mode_16_64 0
		.amdhsa_float_denorm_mode_32 3
		.amdhsa_float_denorm_mode_16_64 3
		.amdhsa_dx10_clamp 1
		.amdhsa_ieee_mode 1
		.amdhsa_fp16_overflow 0
		.amdhsa_workgroup_processor_mode 1
		.amdhsa_memory_ordered 1
		.amdhsa_forward_progress 0
		.amdhsa_shared_vgpr_count 0
		.amdhsa_exception_fp_ieee_invalid_op 0
		.amdhsa_exception_fp_denorm_src 0
		.amdhsa_exception_fp_ieee_div_zero 0
		.amdhsa_exception_fp_ieee_overflow 0
		.amdhsa_exception_fp_ieee_underflow 0
		.amdhsa_exception_fp_ieee_inexact 0
		.amdhsa_exception_int_div_zero 0
	.end_amdhsa_kernel
	.section	.text._Z17sort_pairs_kernelI22helper_blocked_blockediLj320ELj4ELj10EEvPKT0_PS1_,"axG",@progbits,_Z17sort_pairs_kernelI22helper_blocked_blockediLj320ELj4ELj10EEvPKT0_PS1_,comdat
.Lfunc_end37:
	.size	_Z17sort_pairs_kernelI22helper_blocked_blockediLj320ELj4ELj10EEvPKT0_PS1_, .Lfunc_end37-_Z17sort_pairs_kernelI22helper_blocked_blockediLj320ELj4ELj10EEvPKT0_PS1_
                                        ; -- End function
	.section	.AMDGPU.csdata,"",@progbits
; Kernel info:
; codeLenInByte = 3508
; NumSgprs: 24
; NumVgprs: 47
; ScratchSize: 0
; MemoryBound: 0
; FloatMode: 240
; IeeeMode: 1
; LDSByteSize: 10288 bytes/workgroup (compile time only)
; SGPRBlocks: 2
; VGPRBlocks: 5
; NumSGPRsForWavesPerEU: 24
; NumVGPRsForWavesPerEU: 47
; Occupancy: 15
; WaveLimiterHint : 1
; COMPUTE_PGM_RSRC2:SCRATCH_EN: 0
; COMPUTE_PGM_RSRC2:USER_SGPR: 15
; COMPUTE_PGM_RSRC2:TRAP_HANDLER: 0
; COMPUTE_PGM_RSRC2:TGID_X_EN: 1
; COMPUTE_PGM_RSRC2:TGID_Y_EN: 0
; COMPUTE_PGM_RSRC2:TGID_Z_EN: 0
; COMPUTE_PGM_RSRC2:TIDIG_COMP_CNT: 2
	.section	.text._Z16sort_keys_kernelI22helper_blocked_blockediLj320ELj8ELj10EEvPKT0_PS1_,"axG",@progbits,_Z16sort_keys_kernelI22helper_blocked_blockediLj320ELj8ELj10EEvPKT0_PS1_,comdat
	.protected	_Z16sort_keys_kernelI22helper_blocked_blockediLj320ELj8ELj10EEvPKT0_PS1_ ; -- Begin function _Z16sort_keys_kernelI22helper_blocked_blockediLj320ELj8ELj10EEvPKT0_PS1_
	.globl	_Z16sort_keys_kernelI22helper_blocked_blockediLj320ELj8ELj10EEvPKT0_PS1_
	.p2align	8
	.type	_Z16sort_keys_kernelI22helper_blocked_blockediLj320ELj8ELj10EEvPKT0_PS1_,@function
_Z16sort_keys_kernelI22helper_blocked_blockediLj320ELj8ELj10EEvPKT0_PS1_: ; @_Z16sort_keys_kernelI22helper_blocked_blockediLj320ELj8ELj10EEvPKT0_PS1_
; %bb.0:
	s_clause 0x1
	s_load_b128 s[16:19], s[0:1], 0x0
	s_load_b32 s2, s[0:1], 0x1c
	v_and_b32_e32 v8, 0x3ff, v0
	s_mov_b32 s11, 0
	s_mul_i32 s10, s15, 0xa00
	s_mov_b32 s14, s11
	s_lshl_b64 s[12:13], s[10:11], 2
	s_mov_b32 s10, s11
	v_lshlrev_b32_e32 v1, 2, v8
	s_mov_b32 s15, s11
	v_bfe_u32 v20, v0, 10, 10
	v_bfe_u32 v0, v0, 20, 10
	s_waitcnt lgkmcnt(0)
	s_add_u32 s0, s16, s12
	s_addc_u32 s1, s17, s13
	v_add_co_u32 v2, s3, s0, v1
	s_delay_alu instid0(VALU_DEP_1) | instskip(NEXT) | instid1(VALU_DEP_2)
	v_add_co_ci_u32_e64 v3, null, s1, 0, s3
	v_add_co_u32 v9, vcc_lo, 0x1000, v2
	s_delay_alu instid0(VALU_DEP_2)
	v_add_co_ci_u32_e32 v10, vcc_lo, 0, v3, vcc_lo
	v_add_co_u32 v11, vcc_lo, 0x2000, v2
	v_add_co_ci_u32_e32 v12, vcc_lo, 0, v3, vcc_lo
	s_clause 0x7
	global_load_b32 v2, v1, s[0:1]
	global_load_b32 v3, v1, s[0:1] offset:1280
	global_load_b32 v4, v1, s[0:1] offset:2560
	;; [unrolled: 1-line block ×3, first 2 shown]
	global_load_b32 v6, v[9:10], off offset:1024
	global_load_b32 v7, v[9:10], off offset:2304
	;; [unrolled: 1-line block ×4, first 2 shown]
	v_mbcnt_lo_u32_b32 v11, -1, 0
	v_and_b32_e32 v12, 0x1e0, v8
	v_lshlrev_b32_e32 v10, 3, v8
	s_lshr_b32 s0, s2, 16
	s_delay_alu instid0(SALU_CYCLE_1) | instskip(NEXT) | instid1(VALU_DEP_3)
	v_mad_u32_u24 v0, v0, s0, v20
	v_or_b32_e32 v9, v11, v12
	s_delay_alu instid0(VALU_DEP_3) | instskip(SKIP_2) | instid1(VALU_DEP_3)
	v_and_b32_e32 v10, 0xf00, v10
	s_and_b32 s0, s2, 0xffff
	v_cmp_eq_u32_e64 s8, 0, v11
	v_and_b32_e32 v13, 0x1fc, v9
	s_delay_alu instid0(VALU_DEP_3)
	v_or_b32_e32 v14, 64, v10
	v_or_b32_e32 v15, 0x60, v10
	;; [unrolled: 1-line block ×3, first 2 shown]
	v_lshrrev_b32_e32 v16, 5, v10
	v_lshl_add_u32 v13, v9, 5, v13
	v_or_b32_e32 v9, 32, v10
	v_lshrrev_b32_e32 v17, 5, v14
	v_or_b32_e32 v18, 0x80, v10
	v_lshrrev_b32_e32 v19, 5, v15
	v_add_lshl_u32 v14, v16, v22, 2
	v_lshrrev_b32_e32 v9, 5, v9
	v_add_lshl_u32 v16, v17, v22, 2
	s_delay_alu instid0(VALU_DEP_4) | instskip(SKIP_1) | instid1(VALU_DEP_4)
	v_add_lshl_u32 v17, v19, v22, 2
	v_or_b32_e32 v19, 0xa0, v10
	v_add_lshl_u32 v15, v9, v22, 2
	v_lshrrev_b32_e32 v9, 5, v18
	s_delay_alu instid0(VALU_DEP_3) | instskip(SKIP_1) | instid1(VALU_DEP_3)
	v_lshrrev_b32_e32 v21, 5, v19
	v_or_b32_e32 v19, 0xe0, v10
	v_add_lshl_u32 v18, v9, v22, 2
	v_or_b32_e32 v9, 0xc0, v10
	s_delay_alu instid0(VALU_DEP_4) | instskip(NEXT) | instid1(VALU_DEP_2)
	v_add_lshl_u32 v20, v21, v22, 2
	v_lshrrev_b32_e32 v23, 5, v9
	v_mad_u64_u32 v[9:10], null, v0, s0, v[8:9]
	v_lshrrev_b32_e32 v0, 5, v19
	v_and_b32_e32 v10, 15, v11
	s_delay_alu instid0(VALU_DEP_4) | instskip(NEXT) | instid1(VALU_DEP_3)
	v_add_lshl_u32 v21, v23, v22, 2
	v_add_lshl_u32 v22, v0, v22, 2
	v_min_u32_e32 v0, 0x120, v12
	v_add_nc_u32_e32 v12, -1, v11
	v_lshrrev_b32_e32 v24, 5, v9
	v_and_b32_e32 v9, 16, v11
	v_cmp_eq_u32_e64 s0, 0, v10
	v_cmp_lt_u32_e64 s1, 1, v10
	v_cmp_gt_i32_e32 vcc_lo, 0, v12
	v_cmp_lt_u32_e64 s2, 3, v10
	v_cmp_lt_u32_e64 s3, 7, v10
	v_or_b32_e32 v0, 31, v0
	v_cmp_eq_u32_e64 s4, 0, v9
	v_cndmask_b32_e32 v9, v12, v11, vcc_lo
	v_lshrrev_b32_e32 v10, 3, v8
	v_lshlrev_b32_e32 v19, 5, v8
	v_cmp_eq_u32_e64 s5, v0, v8
	v_and_b32_e32 v0, 0x1fc, v8
	v_mul_i32_i24_e32 v29, 0xffffffe4, v8
	v_and_b32_e32 v26, 60, v10
	v_lshlrev_b32_e32 v25, 2, v9
	v_mov_b32_e32 v9, s10
	v_dual_mov_b32 v11, s14 :: v_dual_mov_b32 v12, s15
	v_add_nc_u32_e32 v23, 40, v19
	v_cmp_gt_u32_e64 s6, 10, v8
	v_cmp_lt_u32_e64 s7, 31, v8
	v_cmp_eq_u32_e64 s9, 0, v8
	v_add_nc_u32_e32 v27, -4, v26
	v_add_nc_u32_e32 v28, v19, v0
	v_dual_mov_b32 v10, s11 :: v_dual_add_nc_u32 v29, v19, v29
	s_branch .LBB38_2
.LBB38_1:                               ;   in Loop: Header=BB38_2 Depth=1
	v_lshrrev_b32_e32 v0, 3, v42
	v_lshrrev_b32_e32 v1, 3, v45
	;; [unrolled: 1-line block ×4, first 2 shown]
	s_delay_alu instid0(VALU_DEP_4) | instskip(NEXT) | instid1(VALU_DEP_4)
	v_and_b32_e32 v0, 0x1ffffffc, v0
	v_and_b32_e32 v1, 0x1ffffffc, v1
	s_delay_alu instid0(VALU_DEP_4)
	v_and_b32_e32 v2, 0x1ffffffc, v2
	s_barrier
	buffer_gl0_inv
	v_lshl_add_u32 v0, v42, 2, v0
	v_lshl_add_u32 v1, v45, 2, v1
	;; [unrolled: 1-line block ×3, first 2 shown]
	v_and_b32_e32 v3, 0x1ffffffc, v3
	s_add_i32 s11, s11, 1
	ds_store_b32 v0, v30
	ds_store_b32 v1, v37
	;; [unrolled: 1-line block ×3, first 2 shown]
	v_lshrrev_b32_e32 v0, 3, v5
	v_lshrrev_b32_e32 v1, 3, v6
	;; [unrolled: 1-line block ×4, first 2 shown]
	v_lshl_add_u32 v3, v4, 2, v3
	v_and_b32_e32 v0, 0x1ffffffc, v0
	v_and_b32_e32 v1, 0x1ffffffc, v1
	;; [unrolled: 1-line block ×4, first 2 shown]
	s_cmp_eq_u32 s11, 10
	v_lshl_add_u32 v0, v5, 2, v0
	v_lshl_add_u32 v1, v6, 2, v1
	;; [unrolled: 1-line block ×4, first 2 shown]
	ds_store_b32 v3, v35
	ds_store_b32 v0, v34
	;; [unrolled: 1-line block ×5, first 2 shown]
	s_waitcnt lgkmcnt(0)
	s_barrier
	buffer_gl0_inv
	ds_load_2addr_b32 v[0:1], v28 offset1:1
	ds_load_2addr_b32 v[4:5], v28 offset0:2 offset1:3
	ds_load_2addr_b32 v[6:7], v28 offset0:4 offset1:5
	;; [unrolled: 1-line block ×3, first 2 shown]
	s_waitcnt lgkmcnt(3)
	v_xor_b32_e32 v2, 0x80000000, v0
	v_xor_b32_e32 v3, 0x80000000, v1
	s_waitcnt lgkmcnt(2)
	v_xor_b32_e32 v4, 0x80000000, v4
	v_xor_b32_e32 v5, 0x80000000, v5
	;; [unrolled: 3-line block ×4, first 2 shown]
	s_cbranch_scc1 .LBB38_28
.LBB38_2:                               ; =>This Loop Header: Depth=1
                                        ;     Child Loop BB38_4 Depth 2
	s_waitcnt vmcnt(7)
	v_xor_b32_e32 v0, 0x80000000, v2
	s_waitcnt vmcnt(6)
	v_xor_b32_e32 v2, 0x80000000, v3
	;; [unrolled: 2-line block ×8, first 2 shown]
	ds_store_2addr_b32 v13, v0, v2 offset1:1
	ds_store_2addr_b32 v13, v3, v4 offset0:2 offset1:3
	ds_store_2addr_b32 v13, v5, v6 offset0:4 offset1:5
	;; [unrolled: 1-line block ×3, first 2 shown]
	; wave barrier
	ds_load_b32 v44, v14
	ds_load_b32 v0, v15 offset:128
	ds_load_b32 v1, v16 offset:256
	ds_load_b32 v2, v17 offset:384
	ds_load_b32 v3, v18 offset:512
	ds_load_b32 v39, v20 offset:640
	ds_load_b32 v40, v21 offset:768
	ds_load_b32 v41, v22 offset:896
	s_mov_b32 s14, 0
	s_waitcnt lgkmcnt(0)
	s_barrier
	buffer_gl0_inv
	; wave barrier
	s_barrier
	s_branch .LBB38_4
.LBB38_3:                               ;   in Loop: Header=BB38_4 Depth=2
	v_lshrrev_b32_e32 v0, 3, v42
	v_lshrrev_b32_e32 v1, 3, v45
	v_lshrrev_b32_e32 v2, 3, v43
	v_lshrrev_b32_e32 v3, 3, v4
	s_delay_alu instid0(VALU_DEP_4) | instskip(NEXT) | instid1(VALU_DEP_4)
	v_and_b32_e32 v0, 0x1ffffffc, v0
	v_and_b32_e32 v1, 0x1ffffffc, v1
	s_delay_alu instid0(VALU_DEP_4)
	v_and_b32_e32 v2, 0x1ffffffc, v2
	s_barrier
	buffer_gl0_inv
	v_lshl_add_u32 v0, v42, 2, v0
	v_lshl_add_u32 v1, v45, 2, v1
	;; [unrolled: 1-line block ×3, first 2 shown]
	v_lshrrev_b32_e32 v39, 3, v38
	v_and_b32_e32 v3, 0x1ffffffc, v3
	ds_store_b32 v0, v30
	ds_store_b32 v1, v37
	;; [unrolled: 1-line block ×3, first 2 shown]
	v_lshrrev_b32_e32 v0, 3, v5
	v_lshrrev_b32_e32 v1, 3, v6
	v_lshrrev_b32_e32 v2, 3, v7
	v_and_b32_e32 v39, 0x1ffffffc, v39
	v_lshl_add_u32 v3, v4, 2, v3
	v_and_b32_e32 v0, 0x1ffffffc, v0
	v_and_b32_e32 v1, 0x1ffffffc, v1
	;; [unrolled: 1-line block ×3, first 2 shown]
	v_lshl_add_u32 v39, v38, 2, v39
	s_add_i32 s14, s14, 8
	v_lshl_add_u32 v0, v5, 2, v0
	v_lshl_add_u32 v1, v6, 2, v1
	v_lshl_add_u32 v2, v7, 2, v2
	ds_store_b32 v3, v35
	ds_store_b32 v0, v34
	;; [unrolled: 1-line block ×5, first 2 shown]
	s_waitcnt lgkmcnt(0)
	s_barrier
	buffer_gl0_inv
	ds_load_b32 v44, v14
	ds_load_b32 v0, v15 offset:128
	ds_load_b32 v1, v16 offset:256
	ds_load_b32 v2, v17 offset:384
	ds_load_b32 v3, v18 offset:512
	ds_load_b32 v39, v20 offset:640
	ds_load_b32 v40, v21 offset:768
	ds_load_b32 v41, v22 offset:896
	s_waitcnt lgkmcnt(0)
	s_barrier
	s_cbranch_execz .LBB38_1
.LBB38_4:                               ;   Parent Loop BB38_2 Depth=1
                                        ; =>  This Inner Loop Header: Depth=2
	v_mov_b32_e32 v30, v44
	v_mov_b32_e32 v37, v0
	buffer_gl0_inv
	ds_store_2addr_b64 v19, v[9:10], v[11:12] offset0:5 offset1:6
	ds_store_2addr_b64 v23, v[9:10], v[11:12] offset0:2 offset1:3
	s_waitcnt lgkmcnt(0)
	v_lshrrev_b32_e32 v5, s14, v30
	s_barrier
	buffer_gl0_inv
	; wave barrier
	v_lshlrev_b32_e32 v7, 30, v5
	v_bfe_u32 v4, v30, s14, 1
	v_lshlrev_b32_e32 v31, 29, v5
	v_lshlrev_b32_e32 v32, 28, v5
	;; [unrolled: 1-line block ×4, first 2 shown]
	v_add_co_u32 v4, s10, v4, -1
	s_delay_alu instid0(VALU_DEP_1) | instskip(SKIP_3) | instid1(VALU_DEP_4)
	v_cndmask_b32_e64 v6, 0, 1, s10
	v_cmp_gt_i32_e64 s10, 0, v7
	v_dual_mov_b32 v36, v1 :: v_dual_lshlrev_b32 v35, 25, v5
	v_lshlrev_b32_e32 v5, 24, v5
	v_cmp_ne_u32_e32 vcc_lo, 0, v6
	v_not_b32_e32 v6, v7
	v_not_b32_e32 v7, v31
	v_bfe_u32 v0, v30, s14, 8
	v_xor_b32_e32 v4, vcc_lo, v4
	s_delay_alu instid0(VALU_DEP_4)
	v_ashrrev_i32_e32 v6, 31, v6
	v_cmp_gt_i32_e32 vcc_lo, 0, v31
	v_not_b32_e32 v31, v32
	v_ashrrev_i32_e32 v7, 31, v7
	v_and_b32_e32 v4, exec_lo, v4
	v_xor_b32_e32 v6, s10, v6
	v_cmp_gt_i32_e64 s10, 0, v32
	v_ashrrev_i32_e32 v31, 31, v31
	v_xor_b32_e32 v7, vcc_lo, v7
	v_mad_u32_u24 v0, v0, 10, v24
	v_and_b32_e32 v4, v4, v6
	v_not_b32_e32 v6, v34
	v_xor_b32_e32 v31, s10, v31
	v_cmp_gt_i32_e64 s10, 0, v34
	v_mov_b32_e32 v34, v3
	v_not_b32_e32 v32, v33
	v_cmp_gt_i32_e32 vcc_lo, 0, v33
	v_and_b32_e32 v4, v4, v7
	v_not_b32_e32 v7, v35
	v_ashrrev_i32_e32 v6, 31, v6
	v_ashrrev_i32_e32 v32, 31, v32
	s_delay_alu instid0(VALU_DEP_4) | instskip(SKIP_2) | instid1(VALU_DEP_4)
	v_dual_mov_b32 v33, v39 :: v_dual_and_b32 v4, v4, v31
	v_not_b32_e32 v31, v5
	v_ashrrev_i32_e32 v7, 31, v7
	v_xor_b32_e32 v32, vcc_lo, v32
	v_cmp_gt_i32_e32 vcc_lo, 0, v35
	v_mov_b32_e32 v35, v2
	v_xor_b32_e32 v6, s10, v6
	v_cmp_gt_i32_e64 s10, 0, v5
	v_and_b32_e32 v4, v4, v32
	v_ashrrev_i32_e32 v5, 31, v31
	v_xor_b32_e32 v7, vcc_lo, v7
	v_dual_mov_b32 v31, v41 :: v_dual_mov_b32 v32, v40
	s_delay_alu instid0(VALU_DEP_4) | instskip(NEXT) | instid1(VALU_DEP_4)
	v_and_b32_e32 v4, v4, v6
	v_xor_b32_e32 v5, s10, v5
	v_lshl_add_u32 v39, v0, 2, 40
	s_delay_alu instid0(VALU_DEP_3) | instskip(NEXT) | instid1(VALU_DEP_1)
	v_and_b32_e32 v4, v4, v7
	v_and_b32_e32 v2, v4, v5
	s_delay_alu instid0(VALU_DEP_1) | instskip(SKIP_1) | instid1(VALU_DEP_2)
	v_mbcnt_lo_u32_b32 v38, v2, 0
	v_cmp_ne_u32_e64 s10, 0, v2
	v_cmp_eq_u32_e32 vcc_lo, 0, v38
	s_delay_alu instid0(VALU_DEP_2) | instskip(NEXT) | instid1(SALU_CYCLE_1)
	s_and_b32 s15, s10, vcc_lo
	s_and_saveexec_b32 s10, s15
	s_cbranch_execz .LBB38_6
; %bb.5:                                ;   in Loop: Header=BB38_4 Depth=2
	v_bcnt_u32_b32 v0, v2, 0
	ds_store_b32 v39, v0
.LBB38_6:                               ;   in Loop: Header=BB38_4 Depth=2
	s_or_b32 exec_lo, exec_lo, s10
	v_bfe_u32 v0, v37, s14, 1
	v_lshrrev_b32_e32 v1, s14, v37
	; wave barrier
	s_delay_alu instid0(VALU_DEP_2) | instskip(NEXT) | instid1(VALU_DEP_1)
	v_add_co_u32 v0, s10, v0, -1
	v_cndmask_b32_e64 v2, 0, 1, s10
	s_delay_alu instid0(VALU_DEP_3)
	v_lshlrev_b32_e32 v3, 30, v1
	v_lshlrev_b32_e32 v4, 29, v1
	;; [unrolled: 1-line block ×4, first 2 shown]
	v_cmp_ne_u32_e32 vcc_lo, 0, v2
	v_not_b32_e32 v2, v3
	v_cmp_gt_i32_e64 s10, 0, v3
	v_not_b32_e32 v3, v4
	v_lshlrev_b32_e32 v7, 26, v1
	v_xor_b32_e32 v0, vcc_lo, v0
	v_ashrrev_i32_e32 v2, 31, v2
	v_cmp_gt_i32_e32 vcc_lo, 0, v4
	v_not_b32_e32 v4, v5
	v_ashrrev_i32_e32 v3, 31, v3
	v_and_b32_e32 v0, exec_lo, v0
	v_xor_b32_e32 v2, s10, v2
	v_cmp_gt_i32_e64 s10, 0, v5
	v_not_b32_e32 v5, v6
	v_ashrrev_i32_e32 v4, 31, v4
	v_xor_b32_e32 v3, vcc_lo, v3
	v_and_b32_e32 v0, v0, v2
	v_cmp_gt_i32_e32 vcc_lo, 0, v6
	v_not_b32_e32 v2, v7
	v_ashrrev_i32_e32 v5, 31, v5
	v_xor_b32_e32 v4, s10, v4
	v_and_b32_e32 v0, v0, v3
	v_lshlrev_b32_e32 v3, 25, v1
	v_cmp_gt_i32_e64 s10, 0, v7
	v_ashrrev_i32_e32 v2, 31, v2
	v_xor_b32_e32 v5, vcc_lo, v5
	v_and_b32_e32 v0, v0, v4
	v_not_b32_e32 v6, v3
	v_lshlrev_b32_e32 v1, 24, v1
	v_bfe_u32 v4, v37, s14, 8
	v_xor_b32_e32 v2, s10, v2
	v_and_b32_e32 v0, v0, v5
	v_cmp_gt_i32_e32 vcc_lo, 0, v3
	v_ashrrev_i32_e32 v3, 31, v6
	v_not_b32_e32 v5, v1
	v_mul_u32_u24_e32 v4, 10, v4
	v_and_b32_e32 v0, v0, v2
	s_delay_alu instid0(VALU_DEP_4) | instskip(SKIP_3) | instid1(VALU_DEP_4)
	v_xor_b32_e32 v2, vcc_lo, v3
	v_cmp_gt_i32_e32 vcc_lo, 0, v1
	v_ashrrev_i32_e32 v1, 31, v5
	v_add_lshl_u32 v3, v4, v24, 2
	v_and_b32_e32 v0, v0, v2
	s_delay_alu instid0(VALU_DEP_3) | instskip(SKIP_3) | instid1(VALU_DEP_1)
	v_xor_b32_e32 v1, vcc_lo, v1
	ds_load_b32 v40, v3 offset:40
	v_add_nc_u32_e32 v42, 40, v3
	; wave barrier
	v_and_b32_e32 v0, v0, v1
	v_mbcnt_lo_u32_b32 v41, v0, 0
	v_cmp_ne_u32_e64 s10, 0, v0
	s_delay_alu instid0(VALU_DEP_2) | instskip(NEXT) | instid1(VALU_DEP_2)
	v_cmp_eq_u32_e32 vcc_lo, 0, v41
	s_and_b32 s15, s10, vcc_lo
	s_delay_alu instid0(SALU_CYCLE_1)
	s_and_saveexec_b32 s10, s15
	s_cbranch_execz .LBB38_8
; %bb.7:                                ;   in Loop: Header=BB38_4 Depth=2
	s_waitcnt lgkmcnt(0)
	v_bcnt_u32_b32 v0, v0, v40
	ds_store_b32 v42, v0
.LBB38_8:                               ;   in Loop: Header=BB38_4 Depth=2
	s_or_b32 exec_lo, exec_lo, s10
	v_bfe_u32 v0, v36, s14, 1
	v_lshrrev_b32_e32 v1, s14, v36
	; wave barrier
	s_delay_alu instid0(VALU_DEP_2) | instskip(NEXT) | instid1(VALU_DEP_1)
	v_add_co_u32 v0, s10, v0, -1
	v_cndmask_b32_e64 v2, 0, 1, s10
	s_delay_alu instid0(VALU_DEP_3)
	v_lshlrev_b32_e32 v3, 30, v1
	v_lshlrev_b32_e32 v4, 29, v1
	;; [unrolled: 1-line block ×4, first 2 shown]
	v_cmp_ne_u32_e32 vcc_lo, 0, v2
	v_not_b32_e32 v2, v3
	v_cmp_gt_i32_e64 s10, 0, v3
	v_not_b32_e32 v3, v4
	v_lshlrev_b32_e32 v7, 26, v1
	v_xor_b32_e32 v0, vcc_lo, v0
	v_ashrrev_i32_e32 v2, 31, v2
	v_cmp_gt_i32_e32 vcc_lo, 0, v4
	v_not_b32_e32 v4, v5
	v_ashrrev_i32_e32 v3, 31, v3
	v_and_b32_e32 v0, exec_lo, v0
	v_xor_b32_e32 v2, s10, v2
	v_cmp_gt_i32_e64 s10, 0, v5
	v_not_b32_e32 v5, v6
	v_ashrrev_i32_e32 v4, 31, v4
	v_xor_b32_e32 v3, vcc_lo, v3
	v_and_b32_e32 v0, v0, v2
	v_cmp_gt_i32_e32 vcc_lo, 0, v6
	v_not_b32_e32 v2, v7
	v_ashrrev_i32_e32 v5, 31, v5
	v_xor_b32_e32 v4, s10, v4
	v_and_b32_e32 v0, v0, v3
	v_lshlrev_b32_e32 v3, 25, v1
	v_cmp_gt_i32_e64 s10, 0, v7
	v_ashrrev_i32_e32 v2, 31, v2
	v_xor_b32_e32 v5, vcc_lo, v5
	v_and_b32_e32 v0, v0, v4
	v_not_b32_e32 v6, v3
	v_lshlrev_b32_e32 v1, 24, v1
	v_bfe_u32 v4, v36, s14, 8
	v_xor_b32_e32 v2, s10, v2
	v_and_b32_e32 v0, v0, v5
	v_cmp_gt_i32_e32 vcc_lo, 0, v3
	v_ashrrev_i32_e32 v3, 31, v6
	v_not_b32_e32 v5, v1
	v_mul_u32_u24_e32 v4, 10, v4
	v_and_b32_e32 v0, v0, v2
	s_delay_alu instid0(VALU_DEP_4) | instskip(SKIP_3) | instid1(VALU_DEP_4)
	v_xor_b32_e32 v2, vcc_lo, v3
	v_cmp_gt_i32_e32 vcc_lo, 0, v1
	v_ashrrev_i32_e32 v1, 31, v5
	v_add_lshl_u32 v3, v4, v24, 2
	v_and_b32_e32 v0, v0, v2
	s_delay_alu instid0(VALU_DEP_3) | instskip(SKIP_3) | instid1(VALU_DEP_1)
	v_xor_b32_e32 v1, vcc_lo, v1
	ds_load_b32 v43, v3 offset:40
	v_add_nc_u32_e32 v45, 40, v3
	; wave barrier
	v_and_b32_e32 v0, v0, v1
	v_mbcnt_lo_u32_b32 v44, v0, 0
	v_cmp_ne_u32_e64 s10, 0, v0
	s_delay_alu instid0(VALU_DEP_2) | instskip(NEXT) | instid1(VALU_DEP_2)
	v_cmp_eq_u32_e32 vcc_lo, 0, v44
	s_and_b32 s15, s10, vcc_lo
	s_delay_alu instid0(SALU_CYCLE_1)
	s_and_saveexec_b32 s10, s15
	s_cbranch_execz .LBB38_10
; %bb.9:                                ;   in Loop: Header=BB38_4 Depth=2
	s_waitcnt lgkmcnt(0)
	v_bcnt_u32_b32 v0, v0, v43
	ds_store_b32 v45, v0
.LBB38_10:                              ;   in Loop: Header=BB38_4 Depth=2
	s_or_b32 exec_lo, exec_lo, s10
	v_bfe_u32 v0, v35, s14, 1
	v_lshrrev_b32_e32 v1, s14, v35
	; wave barrier
	s_delay_alu instid0(VALU_DEP_2) | instskip(NEXT) | instid1(VALU_DEP_1)
	v_add_co_u32 v0, s10, v0, -1
	v_cndmask_b32_e64 v2, 0, 1, s10
	s_delay_alu instid0(VALU_DEP_3)
	v_lshlrev_b32_e32 v3, 30, v1
	v_lshlrev_b32_e32 v4, 29, v1
	;; [unrolled: 1-line block ×4, first 2 shown]
	v_cmp_ne_u32_e32 vcc_lo, 0, v2
	v_not_b32_e32 v2, v3
	v_cmp_gt_i32_e64 s10, 0, v3
	v_not_b32_e32 v3, v4
	v_lshlrev_b32_e32 v7, 26, v1
	v_xor_b32_e32 v0, vcc_lo, v0
	v_ashrrev_i32_e32 v2, 31, v2
	v_cmp_gt_i32_e32 vcc_lo, 0, v4
	v_not_b32_e32 v4, v5
	v_ashrrev_i32_e32 v3, 31, v3
	v_and_b32_e32 v0, exec_lo, v0
	v_xor_b32_e32 v2, s10, v2
	v_cmp_gt_i32_e64 s10, 0, v5
	v_not_b32_e32 v5, v6
	v_ashrrev_i32_e32 v4, 31, v4
	v_xor_b32_e32 v3, vcc_lo, v3
	v_and_b32_e32 v0, v0, v2
	v_cmp_gt_i32_e32 vcc_lo, 0, v6
	v_not_b32_e32 v2, v7
	v_ashrrev_i32_e32 v5, 31, v5
	v_xor_b32_e32 v4, s10, v4
	v_and_b32_e32 v0, v0, v3
	v_lshlrev_b32_e32 v3, 25, v1
	v_cmp_gt_i32_e64 s10, 0, v7
	v_ashrrev_i32_e32 v2, 31, v2
	v_xor_b32_e32 v5, vcc_lo, v5
	v_and_b32_e32 v0, v0, v4
	v_not_b32_e32 v6, v3
	v_lshlrev_b32_e32 v1, 24, v1
	v_bfe_u32 v4, v35, s14, 8
	v_xor_b32_e32 v2, s10, v2
	v_and_b32_e32 v0, v0, v5
	v_cmp_gt_i32_e32 vcc_lo, 0, v3
	v_ashrrev_i32_e32 v3, 31, v6
	v_not_b32_e32 v5, v1
	v_mul_u32_u24_e32 v4, 10, v4
	v_and_b32_e32 v0, v0, v2
	s_delay_alu instid0(VALU_DEP_4) | instskip(SKIP_3) | instid1(VALU_DEP_4)
	v_xor_b32_e32 v2, vcc_lo, v3
	v_cmp_gt_i32_e32 vcc_lo, 0, v1
	v_ashrrev_i32_e32 v1, 31, v5
	v_add_lshl_u32 v3, v4, v24, 2
	v_and_b32_e32 v0, v0, v2
	s_delay_alu instid0(VALU_DEP_3) | instskip(SKIP_3) | instid1(VALU_DEP_1)
	v_xor_b32_e32 v1, vcc_lo, v1
	ds_load_b32 v46, v3 offset:40
	v_add_nc_u32_e32 v48, 40, v3
	; wave barrier
	v_and_b32_e32 v0, v0, v1
	v_mbcnt_lo_u32_b32 v47, v0, 0
	v_cmp_ne_u32_e64 s10, 0, v0
	s_delay_alu instid0(VALU_DEP_2) | instskip(NEXT) | instid1(VALU_DEP_2)
	v_cmp_eq_u32_e32 vcc_lo, 0, v47
	s_and_b32 s15, s10, vcc_lo
	s_delay_alu instid0(SALU_CYCLE_1)
	s_and_saveexec_b32 s10, s15
	s_cbranch_execz .LBB38_12
; %bb.11:                               ;   in Loop: Header=BB38_4 Depth=2
	s_waitcnt lgkmcnt(0)
	v_bcnt_u32_b32 v0, v0, v46
	ds_store_b32 v48, v0
.LBB38_12:                              ;   in Loop: Header=BB38_4 Depth=2
	s_or_b32 exec_lo, exec_lo, s10
	v_bfe_u32 v0, v34, s14, 1
	v_lshrrev_b32_e32 v1, s14, v34
	; wave barrier
	s_delay_alu instid0(VALU_DEP_2) | instskip(NEXT) | instid1(VALU_DEP_1)
	v_add_co_u32 v0, s10, v0, -1
	v_cndmask_b32_e64 v2, 0, 1, s10
	s_delay_alu instid0(VALU_DEP_3)
	v_lshlrev_b32_e32 v3, 30, v1
	v_lshlrev_b32_e32 v4, 29, v1
	;; [unrolled: 1-line block ×4, first 2 shown]
	v_cmp_ne_u32_e32 vcc_lo, 0, v2
	v_not_b32_e32 v2, v3
	v_cmp_gt_i32_e64 s10, 0, v3
	v_not_b32_e32 v3, v4
	v_lshlrev_b32_e32 v7, 26, v1
	v_xor_b32_e32 v0, vcc_lo, v0
	v_ashrrev_i32_e32 v2, 31, v2
	v_cmp_gt_i32_e32 vcc_lo, 0, v4
	v_not_b32_e32 v4, v5
	v_ashrrev_i32_e32 v3, 31, v3
	v_and_b32_e32 v0, exec_lo, v0
	v_xor_b32_e32 v2, s10, v2
	v_cmp_gt_i32_e64 s10, 0, v5
	v_not_b32_e32 v5, v6
	v_ashrrev_i32_e32 v4, 31, v4
	v_xor_b32_e32 v3, vcc_lo, v3
	v_and_b32_e32 v0, v0, v2
	v_cmp_gt_i32_e32 vcc_lo, 0, v6
	v_not_b32_e32 v2, v7
	v_ashrrev_i32_e32 v5, 31, v5
	v_xor_b32_e32 v4, s10, v4
	v_and_b32_e32 v0, v0, v3
	v_lshlrev_b32_e32 v3, 25, v1
	v_cmp_gt_i32_e64 s10, 0, v7
	v_ashrrev_i32_e32 v2, 31, v2
	v_xor_b32_e32 v5, vcc_lo, v5
	v_and_b32_e32 v0, v0, v4
	v_not_b32_e32 v6, v3
	v_lshlrev_b32_e32 v1, 24, v1
	v_bfe_u32 v4, v34, s14, 8
	v_xor_b32_e32 v2, s10, v2
	v_and_b32_e32 v0, v0, v5
	v_cmp_gt_i32_e32 vcc_lo, 0, v3
	v_ashrrev_i32_e32 v3, 31, v6
	v_not_b32_e32 v5, v1
	v_mul_u32_u24_e32 v4, 10, v4
	v_and_b32_e32 v0, v0, v2
	s_delay_alu instid0(VALU_DEP_4) | instskip(SKIP_3) | instid1(VALU_DEP_4)
	v_xor_b32_e32 v2, vcc_lo, v3
	v_cmp_gt_i32_e32 vcc_lo, 0, v1
	v_ashrrev_i32_e32 v1, 31, v5
	v_add_lshl_u32 v3, v4, v24, 2
	v_and_b32_e32 v0, v0, v2
	s_delay_alu instid0(VALU_DEP_3) | instskip(SKIP_3) | instid1(VALU_DEP_1)
	v_xor_b32_e32 v1, vcc_lo, v1
	ds_load_b32 v49, v3 offset:40
	v_add_nc_u32_e32 v51, 40, v3
	; wave barrier
	v_and_b32_e32 v0, v0, v1
	v_mbcnt_lo_u32_b32 v50, v0, 0
	v_cmp_ne_u32_e64 s10, 0, v0
	s_delay_alu instid0(VALU_DEP_2) | instskip(NEXT) | instid1(VALU_DEP_2)
	v_cmp_eq_u32_e32 vcc_lo, 0, v50
	s_and_b32 s15, s10, vcc_lo
	s_delay_alu instid0(SALU_CYCLE_1)
	s_and_saveexec_b32 s10, s15
	s_cbranch_execz .LBB38_14
; %bb.13:                               ;   in Loop: Header=BB38_4 Depth=2
	s_waitcnt lgkmcnt(0)
	v_bcnt_u32_b32 v0, v0, v49
	ds_store_b32 v51, v0
.LBB38_14:                              ;   in Loop: Header=BB38_4 Depth=2
	s_or_b32 exec_lo, exec_lo, s10
	v_bfe_u32 v0, v33, s14, 1
	v_lshrrev_b32_e32 v1, s14, v33
	; wave barrier
	s_delay_alu instid0(VALU_DEP_2) | instskip(NEXT) | instid1(VALU_DEP_1)
	v_add_co_u32 v0, s10, v0, -1
	v_cndmask_b32_e64 v2, 0, 1, s10
	s_delay_alu instid0(VALU_DEP_3)
	v_lshlrev_b32_e32 v3, 30, v1
	v_lshlrev_b32_e32 v4, 29, v1
	;; [unrolled: 1-line block ×4, first 2 shown]
	v_cmp_ne_u32_e32 vcc_lo, 0, v2
	v_not_b32_e32 v2, v3
	v_cmp_gt_i32_e64 s10, 0, v3
	v_not_b32_e32 v3, v4
	v_lshlrev_b32_e32 v7, 26, v1
	v_xor_b32_e32 v0, vcc_lo, v0
	v_ashrrev_i32_e32 v2, 31, v2
	v_cmp_gt_i32_e32 vcc_lo, 0, v4
	v_not_b32_e32 v4, v5
	v_ashrrev_i32_e32 v3, 31, v3
	v_and_b32_e32 v0, exec_lo, v0
	v_xor_b32_e32 v2, s10, v2
	v_cmp_gt_i32_e64 s10, 0, v5
	v_not_b32_e32 v5, v6
	v_ashrrev_i32_e32 v4, 31, v4
	v_xor_b32_e32 v3, vcc_lo, v3
	v_and_b32_e32 v0, v0, v2
	v_cmp_gt_i32_e32 vcc_lo, 0, v6
	v_not_b32_e32 v2, v7
	v_ashrrev_i32_e32 v5, 31, v5
	v_xor_b32_e32 v4, s10, v4
	v_and_b32_e32 v0, v0, v3
	v_lshlrev_b32_e32 v3, 25, v1
	v_cmp_gt_i32_e64 s10, 0, v7
	v_ashrrev_i32_e32 v2, 31, v2
	v_xor_b32_e32 v5, vcc_lo, v5
	v_and_b32_e32 v0, v0, v4
	v_not_b32_e32 v6, v3
	v_lshlrev_b32_e32 v1, 24, v1
	v_bfe_u32 v4, v33, s14, 8
	v_xor_b32_e32 v2, s10, v2
	v_and_b32_e32 v0, v0, v5
	v_cmp_gt_i32_e32 vcc_lo, 0, v3
	v_ashrrev_i32_e32 v3, 31, v6
	v_not_b32_e32 v5, v1
	v_mul_u32_u24_e32 v4, 10, v4
	v_and_b32_e32 v0, v0, v2
	s_delay_alu instid0(VALU_DEP_4) | instskip(SKIP_3) | instid1(VALU_DEP_4)
	v_xor_b32_e32 v2, vcc_lo, v3
	v_cmp_gt_i32_e32 vcc_lo, 0, v1
	v_ashrrev_i32_e32 v1, 31, v5
	v_add_lshl_u32 v3, v4, v24, 2
	v_and_b32_e32 v0, v0, v2
	s_delay_alu instid0(VALU_DEP_3) | instskip(SKIP_3) | instid1(VALU_DEP_1)
	v_xor_b32_e32 v1, vcc_lo, v1
	ds_load_b32 v52, v3 offset:40
	v_add_nc_u32_e32 v54, 40, v3
	; wave barrier
	v_and_b32_e32 v0, v0, v1
	v_mbcnt_lo_u32_b32 v53, v0, 0
	v_cmp_ne_u32_e64 s10, 0, v0
	s_delay_alu instid0(VALU_DEP_2) | instskip(NEXT) | instid1(VALU_DEP_2)
	v_cmp_eq_u32_e32 vcc_lo, 0, v53
	s_and_b32 s15, s10, vcc_lo
	s_delay_alu instid0(SALU_CYCLE_1)
	s_and_saveexec_b32 s10, s15
	s_cbranch_execz .LBB38_16
; %bb.15:                               ;   in Loop: Header=BB38_4 Depth=2
	s_waitcnt lgkmcnt(0)
	v_bcnt_u32_b32 v0, v0, v52
	ds_store_b32 v54, v0
.LBB38_16:                              ;   in Loop: Header=BB38_4 Depth=2
	s_or_b32 exec_lo, exec_lo, s10
	v_bfe_u32 v0, v32, s14, 1
	v_lshrrev_b32_e32 v1, s14, v32
	; wave barrier
	s_delay_alu instid0(VALU_DEP_2) | instskip(NEXT) | instid1(VALU_DEP_1)
	v_add_co_u32 v0, s10, v0, -1
	v_cndmask_b32_e64 v2, 0, 1, s10
	s_delay_alu instid0(VALU_DEP_3)
	v_lshlrev_b32_e32 v3, 30, v1
	v_lshlrev_b32_e32 v4, 29, v1
	;; [unrolled: 1-line block ×4, first 2 shown]
	v_cmp_ne_u32_e32 vcc_lo, 0, v2
	v_not_b32_e32 v2, v3
	v_cmp_gt_i32_e64 s10, 0, v3
	v_not_b32_e32 v3, v4
	v_lshlrev_b32_e32 v7, 26, v1
	v_xor_b32_e32 v0, vcc_lo, v0
	v_ashrrev_i32_e32 v2, 31, v2
	v_cmp_gt_i32_e32 vcc_lo, 0, v4
	v_not_b32_e32 v4, v5
	v_ashrrev_i32_e32 v3, 31, v3
	v_and_b32_e32 v0, exec_lo, v0
	v_xor_b32_e32 v2, s10, v2
	v_cmp_gt_i32_e64 s10, 0, v5
	v_not_b32_e32 v5, v6
	v_ashrrev_i32_e32 v4, 31, v4
	v_xor_b32_e32 v3, vcc_lo, v3
	v_and_b32_e32 v0, v0, v2
	v_cmp_gt_i32_e32 vcc_lo, 0, v6
	v_not_b32_e32 v2, v7
	v_ashrrev_i32_e32 v5, 31, v5
	v_xor_b32_e32 v4, s10, v4
	v_and_b32_e32 v0, v0, v3
	v_lshlrev_b32_e32 v3, 25, v1
	v_cmp_gt_i32_e64 s10, 0, v7
	v_ashrrev_i32_e32 v2, 31, v2
	v_xor_b32_e32 v5, vcc_lo, v5
	v_and_b32_e32 v0, v0, v4
	v_not_b32_e32 v6, v3
	v_lshlrev_b32_e32 v1, 24, v1
	v_bfe_u32 v4, v32, s14, 8
	v_xor_b32_e32 v2, s10, v2
	v_and_b32_e32 v0, v0, v5
	v_cmp_gt_i32_e32 vcc_lo, 0, v3
	v_ashrrev_i32_e32 v3, 31, v6
	v_not_b32_e32 v5, v1
	v_mul_u32_u24_e32 v4, 10, v4
	v_and_b32_e32 v0, v0, v2
	s_delay_alu instid0(VALU_DEP_4) | instskip(SKIP_3) | instid1(VALU_DEP_4)
	v_xor_b32_e32 v2, vcc_lo, v3
	v_cmp_gt_i32_e32 vcc_lo, 0, v1
	v_ashrrev_i32_e32 v1, 31, v5
	v_add_lshl_u32 v3, v4, v24, 2
	v_and_b32_e32 v0, v0, v2
	s_delay_alu instid0(VALU_DEP_3) | instskip(SKIP_3) | instid1(VALU_DEP_1)
	v_xor_b32_e32 v1, vcc_lo, v1
	ds_load_b32 v55, v3 offset:40
	v_add_nc_u32_e32 v57, 40, v3
	; wave barrier
	v_and_b32_e32 v0, v0, v1
	v_mbcnt_lo_u32_b32 v56, v0, 0
	v_cmp_ne_u32_e64 s10, 0, v0
	s_delay_alu instid0(VALU_DEP_2) | instskip(NEXT) | instid1(VALU_DEP_2)
	v_cmp_eq_u32_e32 vcc_lo, 0, v56
	s_and_b32 s15, s10, vcc_lo
	s_delay_alu instid0(SALU_CYCLE_1)
	s_and_saveexec_b32 s10, s15
	s_cbranch_execz .LBB38_18
; %bb.17:                               ;   in Loop: Header=BB38_4 Depth=2
	s_waitcnt lgkmcnt(0)
	v_bcnt_u32_b32 v0, v0, v55
	ds_store_b32 v57, v0
.LBB38_18:                              ;   in Loop: Header=BB38_4 Depth=2
	s_or_b32 exec_lo, exec_lo, s10
	v_bfe_u32 v0, v31, s14, 1
	v_lshrrev_b32_e32 v1, s14, v31
	; wave barrier
	s_delay_alu instid0(VALU_DEP_2) | instskip(NEXT) | instid1(VALU_DEP_1)
	v_add_co_u32 v0, s10, v0, -1
	v_cndmask_b32_e64 v2, 0, 1, s10
	s_delay_alu instid0(VALU_DEP_3)
	v_lshlrev_b32_e32 v3, 30, v1
	v_lshlrev_b32_e32 v4, 29, v1
	;; [unrolled: 1-line block ×4, first 2 shown]
	v_cmp_ne_u32_e32 vcc_lo, 0, v2
	v_not_b32_e32 v2, v3
	v_cmp_gt_i32_e64 s10, 0, v3
	v_not_b32_e32 v3, v4
	v_lshlrev_b32_e32 v7, 26, v1
	v_xor_b32_e32 v0, vcc_lo, v0
	v_ashrrev_i32_e32 v2, 31, v2
	v_cmp_gt_i32_e32 vcc_lo, 0, v4
	v_not_b32_e32 v4, v5
	v_ashrrev_i32_e32 v3, 31, v3
	v_and_b32_e32 v0, exec_lo, v0
	v_xor_b32_e32 v2, s10, v2
	v_cmp_gt_i32_e64 s10, 0, v5
	v_not_b32_e32 v5, v6
	v_ashrrev_i32_e32 v4, 31, v4
	v_xor_b32_e32 v3, vcc_lo, v3
	v_and_b32_e32 v0, v0, v2
	v_cmp_gt_i32_e32 vcc_lo, 0, v6
	v_not_b32_e32 v2, v7
	v_ashrrev_i32_e32 v5, 31, v5
	v_xor_b32_e32 v4, s10, v4
	v_and_b32_e32 v0, v0, v3
	v_lshlrev_b32_e32 v3, 25, v1
	v_cmp_gt_i32_e64 s10, 0, v7
	v_ashrrev_i32_e32 v2, 31, v2
	v_xor_b32_e32 v5, vcc_lo, v5
	v_and_b32_e32 v0, v0, v4
	v_not_b32_e32 v6, v3
	v_lshlrev_b32_e32 v1, 24, v1
	v_bfe_u32 v4, v31, s14, 8
	v_xor_b32_e32 v2, s10, v2
	v_and_b32_e32 v0, v0, v5
	v_cmp_gt_i32_e32 vcc_lo, 0, v3
	v_ashrrev_i32_e32 v3, 31, v6
	v_not_b32_e32 v5, v1
	v_mul_u32_u24_e32 v4, 10, v4
	v_and_b32_e32 v0, v0, v2
	s_delay_alu instid0(VALU_DEP_4) | instskip(SKIP_3) | instid1(VALU_DEP_4)
	v_xor_b32_e32 v2, vcc_lo, v3
	v_cmp_gt_i32_e32 vcc_lo, 0, v1
	v_ashrrev_i32_e32 v1, 31, v5
	v_add_lshl_u32 v3, v4, v24, 2
	v_and_b32_e32 v0, v0, v2
	s_delay_alu instid0(VALU_DEP_3) | instskip(SKIP_3) | instid1(VALU_DEP_1)
	v_xor_b32_e32 v1, vcc_lo, v1
	ds_load_b32 v58, v3 offset:40
	v_add_nc_u32_e32 v60, 40, v3
	; wave barrier
	v_and_b32_e32 v0, v0, v1
	v_mbcnt_lo_u32_b32 v59, v0, 0
	v_cmp_ne_u32_e64 s10, 0, v0
	s_delay_alu instid0(VALU_DEP_2) | instskip(NEXT) | instid1(VALU_DEP_2)
	v_cmp_eq_u32_e32 vcc_lo, 0, v59
	s_and_b32 s15, s10, vcc_lo
	s_delay_alu instid0(SALU_CYCLE_1)
	s_and_saveexec_b32 s10, s15
	s_cbranch_execz .LBB38_20
; %bb.19:                               ;   in Loop: Header=BB38_4 Depth=2
	s_waitcnt lgkmcnt(0)
	v_bcnt_u32_b32 v0, v0, v58
	ds_store_b32 v60, v0
.LBB38_20:                              ;   in Loop: Header=BB38_4 Depth=2
	s_or_b32 exec_lo, exec_lo, s10
	; wave barrier
	s_waitcnt lgkmcnt(0)
	s_barrier
	buffer_gl0_inv
	ds_load_2addr_b64 v[4:7], v19 offset0:5 offset1:6
	ds_load_2addr_b64 v[0:3], v23 offset0:2 offset1:3
	s_waitcnt lgkmcnt(1)
	v_add_nc_u32_e32 v61, v5, v4
	s_delay_alu instid0(VALU_DEP_1) | instskip(SKIP_1) | instid1(VALU_DEP_1)
	v_add3_u32 v61, v61, v6, v7
	s_waitcnt lgkmcnt(0)
	v_add3_u32 v61, v61, v0, v1
	s_delay_alu instid0(VALU_DEP_1) | instskip(NEXT) | instid1(VALU_DEP_1)
	v_add3_u32 v3, v61, v2, v3
	v_mov_b32_dpp v61, v3 row_shr:1 row_mask:0xf bank_mask:0xf
	s_delay_alu instid0(VALU_DEP_1) | instskip(NEXT) | instid1(VALU_DEP_1)
	v_cndmask_b32_e64 v61, v61, 0, s0
	v_add_nc_u32_e32 v3, v61, v3
	s_delay_alu instid0(VALU_DEP_1) | instskip(NEXT) | instid1(VALU_DEP_1)
	v_mov_b32_dpp v61, v3 row_shr:2 row_mask:0xf bank_mask:0xf
	v_cndmask_b32_e64 v61, 0, v61, s1
	s_delay_alu instid0(VALU_DEP_1) | instskip(NEXT) | instid1(VALU_DEP_1)
	v_add_nc_u32_e32 v3, v3, v61
	v_mov_b32_dpp v61, v3 row_shr:4 row_mask:0xf bank_mask:0xf
	s_delay_alu instid0(VALU_DEP_1) | instskip(NEXT) | instid1(VALU_DEP_1)
	v_cndmask_b32_e64 v61, 0, v61, s2
	v_add_nc_u32_e32 v3, v3, v61
	s_delay_alu instid0(VALU_DEP_1) | instskip(NEXT) | instid1(VALU_DEP_1)
	v_mov_b32_dpp v61, v3 row_shr:8 row_mask:0xf bank_mask:0xf
	v_cndmask_b32_e64 v61, 0, v61, s3
	s_delay_alu instid0(VALU_DEP_1) | instskip(SKIP_3) | instid1(VALU_DEP_1)
	v_add_nc_u32_e32 v3, v3, v61
	ds_swizzle_b32 v61, v3 offset:swizzle(BROADCAST,32,15)
	s_waitcnt lgkmcnt(0)
	v_cndmask_b32_e64 v61, v61, 0, s4
	v_add_nc_u32_e32 v3, v3, v61
	s_and_saveexec_b32 s10, s5
	s_cbranch_execz .LBB38_22
; %bb.21:                               ;   in Loop: Header=BB38_4 Depth=2
	ds_store_b32 v26, v3
.LBB38_22:                              ;   in Loop: Header=BB38_4 Depth=2
	s_or_b32 exec_lo, exec_lo, s10
	s_waitcnt lgkmcnt(0)
	s_barrier
	buffer_gl0_inv
	s_and_saveexec_b32 s10, s6
	s_cbranch_execz .LBB38_24
; %bb.23:                               ;   in Loop: Header=BB38_4 Depth=2
	ds_load_b32 v61, v29
	s_waitcnt lgkmcnt(0)
	v_mov_b32_dpp v62, v61 row_shr:1 row_mask:0xf bank_mask:0xf
	s_delay_alu instid0(VALU_DEP_1) | instskip(NEXT) | instid1(VALU_DEP_1)
	v_cndmask_b32_e64 v62, v62, 0, s0
	v_add_nc_u32_e32 v61, v62, v61
	s_delay_alu instid0(VALU_DEP_1) | instskip(NEXT) | instid1(VALU_DEP_1)
	v_mov_b32_dpp v62, v61 row_shr:2 row_mask:0xf bank_mask:0xf
	v_cndmask_b32_e64 v62, 0, v62, s1
	s_delay_alu instid0(VALU_DEP_1) | instskip(NEXT) | instid1(VALU_DEP_1)
	v_add_nc_u32_e32 v61, v61, v62
	v_mov_b32_dpp v62, v61 row_shr:4 row_mask:0xf bank_mask:0xf
	s_delay_alu instid0(VALU_DEP_1) | instskip(NEXT) | instid1(VALU_DEP_1)
	v_cndmask_b32_e64 v62, 0, v62, s2
	v_add_nc_u32_e32 v61, v61, v62
	s_delay_alu instid0(VALU_DEP_1) | instskip(NEXT) | instid1(VALU_DEP_1)
	v_mov_b32_dpp v62, v61 row_shr:8 row_mask:0xf bank_mask:0xf
	v_cndmask_b32_e64 v62, 0, v62, s3
	s_delay_alu instid0(VALU_DEP_1)
	v_add_nc_u32_e32 v61, v61, v62
	ds_store_b32 v29, v61
.LBB38_24:                              ;   in Loop: Header=BB38_4 Depth=2
	s_or_b32 exec_lo, exec_lo, s10
	v_mov_b32_e32 v61, 0
	s_waitcnt lgkmcnt(0)
	s_barrier
	buffer_gl0_inv
	s_and_saveexec_b32 s10, s7
	s_cbranch_execz .LBB38_26
; %bb.25:                               ;   in Loop: Header=BB38_4 Depth=2
	ds_load_b32 v61, v27
.LBB38_26:                              ;   in Loop: Header=BB38_4 Depth=2
	s_or_b32 exec_lo, exec_lo, s10
	s_waitcnt lgkmcnt(0)
	v_add_nc_u32_e32 v3, v61, v3
	s_cmp_gt_u32 s14, 23
	ds_bpermute_b32 v3, v25, v3
	s_waitcnt lgkmcnt(0)
	v_cndmask_b32_e64 v3, v3, v61, s8
	s_delay_alu instid0(VALU_DEP_1) | instskip(NEXT) | instid1(VALU_DEP_1)
	v_cndmask_b32_e64 v3, v3, 0, s9
	v_add_nc_u32_e32 v4, v3, v4
	s_delay_alu instid0(VALU_DEP_1) | instskip(NEXT) | instid1(VALU_DEP_1)
	v_add_nc_u32_e32 v5, v4, v5
	v_add_nc_u32_e32 v6, v5, v6
	s_delay_alu instid0(VALU_DEP_1) | instskip(NEXT) | instid1(VALU_DEP_1)
	v_add_nc_u32_e32 v61, v6, v7
	;; [unrolled: 3-line block ×3, first 2 shown]
	v_add_nc_u32_e32 v1, v0, v2
	ds_store_2addr_b64 v19, v[3:4], v[5:6] offset0:5 offset1:6
	ds_store_2addr_b64 v23, v[61:62], v[0:1] offset0:2 offset1:3
	s_waitcnt lgkmcnt(0)
	s_barrier
	buffer_gl0_inv
	ds_load_b32 v0, v39
	ds_load_b32 v1, v42
	;; [unrolled: 1-line block ×8, first 2 shown]
	s_waitcnt lgkmcnt(7)
	v_add_nc_u32_e32 v42, v0, v38
	s_waitcnt lgkmcnt(6)
	v_add3_u32 v45, v41, v40, v1
	s_waitcnt lgkmcnt(5)
	v_add3_u32 v43, v44, v43, v2
	;; [unrolled: 2-line block ×7, first 2 shown]
	s_cbranch_scc0 .LBB38_3
; %bb.27:                               ;   in Loop: Header=BB38_2 Depth=1
                                        ; implicit-def: $vgpr41
                                        ; implicit-def: $vgpr40
                                        ; implicit-def: $vgpr39
                                        ; implicit-def: $vgpr3
                                        ; implicit-def: $vgpr2
                                        ; implicit-def: $vgpr1
                                        ; implicit-def: $vgpr0
                                        ; implicit-def: $vgpr44
                                        ; implicit-def: $sgpr14
	s_branch .LBB38_1
.LBB38_28:
	v_lshlrev_b32_e32 v0, 2, v8
	s_add_u32 s0, s18, s12
	s_addc_u32 s1, s19, s13
	s_delay_alu instid0(VALU_DEP_1) | instskip(NEXT) | instid1(VALU_DEP_1)
	v_add_co_u32 v10, s2, s0, v0
	v_add_co_ci_u32_e64 v11, null, s1, 0, s2
	s_delay_alu instid0(VALU_DEP_2) | instskip(NEXT) | instid1(VALU_DEP_2)
	v_add_co_u32 v8, vcc_lo, 0x1000, v10
	v_add_co_ci_u32_e32 v9, vcc_lo, 0, v11, vcc_lo
	v_add_co_u32 v10, vcc_lo, 0x2000, v10
	v_add_co_ci_u32_e32 v11, vcc_lo, 0, v11, vcc_lo
	s_clause 0x7
	global_store_b32 v0, v2, s[0:1]
	global_store_b32 v0, v3, s[0:1] offset:1280
	global_store_b32 v0, v4, s[0:1] offset:2560
	;; [unrolled: 1-line block ×3, first 2 shown]
	global_store_b32 v[8:9], v6, off offset:1024
	global_store_b32 v[8:9], v7, off offset:2304
	;; [unrolled: 1-line block ×4, first 2 shown]
	s_nop 0
	s_sendmsg sendmsg(MSG_DEALLOC_VGPRS)
	s_endpgm
	.section	.rodata,"a",@progbits
	.p2align	6, 0x0
	.amdhsa_kernel _Z16sort_keys_kernelI22helper_blocked_blockediLj320ELj8ELj10EEvPKT0_PS1_
		.amdhsa_group_segment_fixed_size 10560
		.amdhsa_private_segment_fixed_size 0
		.amdhsa_kernarg_size 272
		.amdhsa_user_sgpr_count 15
		.amdhsa_user_sgpr_dispatch_ptr 0
		.amdhsa_user_sgpr_queue_ptr 0
		.amdhsa_user_sgpr_kernarg_segment_ptr 1
		.amdhsa_user_sgpr_dispatch_id 0
		.amdhsa_user_sgpr_private_segment_size 0
		.amdhsa_wavefront_size32 1
		.amdhsa_uses_dynamic_stack 0
		.amdhsa_enable_private_segment 0
		.amdhsa_system_sgpr_workgroup_id_x 1
		.amdhsa_system_sgpr_workgroup_id_y 0
		.amdhsa_system_sgpr_workgroup_id_z 0
		.amdhsa_system_sgpr_workgroup_info 0
		.amdhsa_system_vgpr_workitem_id 2
		.amdhsa_next_free_vgpr 63
		.amdhsa_next_free_sgpr 20
		.amdhsa_reserve_vcc 1
		.amdhsa_float_round_mode_32 0
		.amdhsa_float_round_mode_16_64 0
		.amdhsa_float_denorm_mode_32 3
		.amdhsa_float_denorm_mode_16_64 3
		.amdhsa_dx10_clamp 1
		.amdhsa_ieee_mode 1
		.amdhsa_fp16_overflow 0
		.amdhsa_workgroup_processor_mode 1
		.amdhsa_memory_ordered 1
		.amdhsa_forward_progress 0
		.amdhsa_shared_vgpr_count 0
		.amdhsa_exception_fp_ieee_invalid_op 0
		.amdhsa_exception_fp_denorm_src 0
		.amdhsa_exception_fp_ieee_div_zero 0
		.amdhsa_exception_fp_ieee_overflow 0
		.amdhsa_exception_fp_ieee_underflow 0
		.amdhsa_exception_fp_ieee_inexact 0
		.amdhsa_exception_int_div_zero 0
	.end_amdhsa_kernel
	.section	.text._Z16sort_keys_kernelI22helper_blocked_blockediLj320ELj8ELj10EEvPKT0_PS1_,"axG",@progbits,_Z16sort_keys_kernelI22helper_blocked_blockediLj320ELj8ELj10EEvPKT0_PS1_,comdat
.Lfunc_end38:
	.size	_Z16sort_keys_kernelI22helper_blocked_blockediLj320ELj8ELj10EEvPKT0_PS1_, .Lfunc_end38-_Z16sort_keys_kernelI22helper_blocked_blockediLj320ELj8ELj10EEvPKT0_PS1_
                                        ; -- End function
	.section	.AMDGPU.csdata,"",@progbits
; Kernel info:
; codeLenInByte = 5160
; NumSgprs: 22
; NumVgprs: 63
; ScratchSize: 0
; MemoryBound: 0
; FloatMode: 240
; IeeeMode: 1
; LDSByteSize: 10560 bytes/workgroup (compile time only)
; SGPRBlocks: 2
; VGPRBlocks: 7
; NumSGPRsForWavesPerEU: 22
; NumVGPRsForWavesPerEU: 63
; Occupancy: 15
; WaveLimiterHint : 1
; COMPUTE_PGM_RSRC2:SCRATCH_EN: 0
; COMPUTE_PGM_RSRC2:USER_SGPR: 15
; COMPUTE_PGM_RSRC2:TRAP_HANDLER: 0
; COMPUTE_PGM_RSRC2:TGID_X_EN: 1
; COMPUTE_PGM_RSRC2:TGID_Y_EN: 0
; COMPUTE_PGM_RSRC2:TGID_Z_EN: 0
; COMPUTE_PGM_RSRC2:TIDIG_COMP_CNT: 2
	.section	.text._Z17sort_pairs_kernelI22helper_blocked_blockediLj320ELj8ELj10EEvPKT0_PS1_,"axG",@progbits,_Z17sort_pairs_kernelI22helper_blocked_blockediLj320ELj8ELj10EEvPKT0_PS1_,comdat
	.protected	_Z17sort_pairs_kernelI22helper_blocked_blockediLj320ELj8ELj10EEvPKT0_PS1_ ; -- Begin function _Z17sort_pairs_kernelI22helper_blocked_blockediLj320ELj8ELj10EEvPKT0_PS1_
	.globl	_Z17sort_pairs_kernelI22helper_blocked_blockediLj320ELj8ELj10EEvPKT0_PS1_
	.p2align	8
	.type	_Z17sort_pairs_kernelI22helper_blocked_blockediLj320ELj8ELj10EEvPKT0_PS1_,@function
_Z17sort_pairs_kernelI22helper_blocked_blockediLj320ELj8ELj10EEvPKT0_PS1_: ; @_Z17sort_pairs_kernelI22helper_blocked_blockediLj320ELj8ELj10EEvPKT0_PS1_
; %bb.0:
	s_clause 0x1
	s_load_b128 s[16:19], s[0:1], 0x0
	s_load_b32 s9, s[0:1], 0x1c
	s_mov_b32 s11, 0
	s_mul_i32 s10, s15, 0xa00
	s_mov_b32 s14, s11
	s_lshl_b64 s[12:13], s[10:11], 2
	s_mov_b32 s10, s11
	s_delay_alu instid0(SALU_CYCLE_1) | instskip(SKIP_2) | instid1(VALU_DEP_2)
	v_dual_mov_b32 v9, s10 :: v_dual_and_b32 v8, 0x3ff, v0
	v_mov_b32_e32 v10, s11
	s_mov_b32 s15, s11
	v_lshlrev_b32_e32 v5, 2, v8
	v_and_b32_e32 v7, 0x1e0, v8
	v_lshlrev_b32_e32 v13, 5, v8
	v_and_b32_e32 v11, 0x1fc, v8
	v_cmp_gt_u32_e64 s6, 10, v8
	v_cmp_lt_u32_e64 s7, 31, v8
	v_cmp_eq_u32_e64 s8, 0, v8
	v_add_nc_u32_e32 v14, 40, v13
	s_waitcnt lgkmcnt(0)
	s_add_u32 s0, s16, s12
	s_addc_u32 s1, s17, s13
	v_add_co_u32 v3, s2, s0, v5
	s_delay_alu instid0(VALU_DEP_1) | instskip(SKIP_1) | instid1(VALU_DEP_2)
	v_add_co_ci_u32_e64 v4, null, s1, 0, s2
	s_lshr_b32 s10, s9, 16
	v_add_co_u32 v1, vcc_lo, 0x1000, v3
	s_delay_alu instid0(VALU_DEP_2)
	v_add_co_ci_u32_e32 v2, vcc_lo, 0, v4, vcc_lo
	v_add_co_u32 v3, vcc_lo, 0x2000, v3
	v_add_co_ci_u32_e32 v4, vcc_lo, 0, v4, vcc_lo
	s_clause 0x7
	global_load_b32 v32, v5, s[0:1]
	global_load_b32 v33, v5, s[0:1] offset:1280
	global_load_b32 v34, v5, s[0:1] offset:2560
	;; [unrolled: 1-line block ×3, first 2 shown]
	global_load_b32 v36, v[1:2], off offset:1024
	global_load_b32 v37, v[1:2], off offset:2304
	;; [unrolled: 1-line block ×4, first 2 shown]
	v_mbcnt_lo_u32_b32 v1, -1, 0
	v_bfe_u32 v2, v0, 10, 10
	v_bfe_u32 v0, v0, 20, 10
	v_add_nc_u32_e32 v17, v13, v11
	s_and_b32 s16, s9, 0xffff
	v_add_nc_u32_e32 v5, -1, v1
	v_and_b32_e32 v3, 15, v1
	v_and_b32_e32 v4, 16, v1
	v_or_b32_e32 v12, v1, v7
	v_cmp_eq_u32_e64 s0, 0, v1
	v_cmp_gt_i32_e32 vcc_lo, 0, v5
	v_lshlrev_b32_e32 v6, 3, v8
	v_cmp_eq_u32_e64 s1, 0, v3
	v_cmp_lt_u32_e64 s2, 1, v3
	v_cmp_lt_u32_e64 s3, 3, v3
	;; [unrolled: 1-line block ×3, first 2 shown]
	v_cndmask_b32_e32 v3, v5, v1, vcc_lo
	v_cmp_eq_u32_e64 s5, 0, v4
	v_lshrrev_b32_e32 v4, 3, v8
	v_and_b32_e32 v6, 0xf00, v6
	v_mul_i32_i24_e32 v5, 0xffffffe4, v8
	v_mad_u32_u24 v2, v0, s10, v2
	v_lshlrev_b32_e32 v15, 2, v3
	v_and_b32_e32 v16, 60, v4
	v_or_b32_e32 v4, v1, v6
	v_lshrrev_b32_e32 v1, 5, v6
	v_add_nc_u32_e32 v18, v13, v5
	v_and_b32_e32 v3, 0x1fc, v12
	v_or_b32_e32 v5, 32, v6
	v_or_b32_e32 v11, 64, v6
	;; [unrolled: 1-line block ×4, first 2 shown]
	v_min_u32_e32 v7, 0x120, v7
	v_or_b32_e32 v24, 0xa0, v6
	v_or_b32_e32 v25, 0xc0, v6
	;; [unrolled: 1-line block ×3, first 2 shown]
	v_add_lshl_u32 v21, v1, v4, 2
	v_mad_u64_u32 v[0:1], null, v2, s16, v[8:9]
	v_lshl_add_u32 v20, v12, 5, v3
	v_lshrrev_b32_e32 v3, 5, v5
	v_lshrrev_b32_e32 v5, 5, v11
	;; [unrolled: 1-line block ×4, first 2 shown]
	v_or_b32_e32 v7, 31, v7
	v_lshrrev_b32_e32 v26, 5, v24
	v_lshrrev_b32_e32 v27, 5, v25
	;; [unrolled: 1-line block ×3, first 2 shown]
	v_add_lshl_u32 v24, v11, v4, 2
	v_add_lshl_u32 v25, v12, v4, 2
	v_mov_b32_e32 v11, s14
	v_add_nc_u32_e32 v19, -4, v16
	v_cmp_eq_u32_e64 s9, v7, v8
	v_add_lshl_u32 v22, v3, v4, 2
	v_add_lshl_u32 v23, v5, v4, 2
	;; [unrolled: 1-line block ×5, first 2 shown]
	v_lshrrev_b32_e32 v29, 5, v0
	v_mov_b32_e32 v12, s15
	s_waitcnt vmcnt(7)
	v_add_nc_u32_e32 v2, 1, v32
	s_waitcnt vmcnt(6)
	v_add_nc_u32_e32 v3, 1, v33
	;; [unrolled: 2-line block ×8, first 2 shown]
	s_branch .LBB39_2
.LBB39_1:                               ;   in Loop: Header=BB39_2 Depth=1
	v_lshrrev_b32_e32 v5, 3, v56
	v_lshrrev_b32_e32 v6, 3, v59
	;; [unrolled: 1-line block ×4, first 2 shown]
	s_delay_alu instid0(VALU_DEP_4) | instskip(NEXT) | instid1(VALU_DEP_4)
	v_and_b32_e32 v5, 0x1ffffffc, v5
	v_and_b32_e32 v6, 0x1ffffffc, v6
	s_delay_alu instid0(VALU_DEP_4)
	v_and_b32_e32 v7, 0x1ffffffc, v7
	s_barrier
	buffer_gl0_inv
	v_lshl_add_u32 v5, v56, 2, v5
	v_lshl_add_u32 v6, v59, 2, v6
	;; [unrolled: 1-line block ×3, first 2 shown]
	v_lshrrev_b32_e32 v47, 3, v4
	v_and_b32_e32 v46, 0x1ffffffc, v46
	ds_store_b32 v5, v34
	ds_store_b32 v6, v45
	;; [unrolled: 1-line block ×3, first 2 shown]
	v_lshrrev_b32_e32 v34, 3, v1
	v_lshrrev_b32_e32 v44, 3, v2
	;; [unrolled: 1-line block ×3, first 2 shown]
	v_and_b32_e32 v47, 0x1ffffffc, v47
	v_lshl_add_u32 v0, v0, 2, v46
	v_and_b32_e32 v34, 0x1ffffffc, v34
	v_and_b32_e32 v44, 0x1ffffffc, v44
	;; [unrolled: 1-line block ×3, first 2 shown]
	v_lshl_add_u32 v4, v4, 2, v47
	s_add_i32 s11, s11, 1
	v_lshl_add_u32 v1, v1, 2, v34
	v_lshl_add_u32 v2, v2, 2, v44
	;; [unrolled: 1-line block ×3, first 2 shown]
	ds_store_b32 v0, v41
	ds_store_b32 v1, v33
	ds_store_b32 v2, v32
	ds_store_b32 v3, v31
	ds_store_b32 v4, v30
	s_waitcnt lgkmcnt(0)
	s_barrier
	buffer_gl0_inv
	ds_load_2addr_b32 v[30:31], v17 offset1:1
	ds_load_2addr_b32 v[44:45], v17 offset0:2 offset1:3
	ds_load_2addr_b32 v[46:47], v17 offset0:4 offset1:5
	;; [unrolled: 1-line block ×3, first 2 shown]
	s_waitcnt lgkmcnt(0)
	s_barrier
	buffer_gl0_inv
	ds_store_b32 v5, v43
	ds_store_b32 v6, v42
	;; [unrolled: 1-line block ×8, first 2 shown]
	s_waitcnt lgkmcnt(0)
	s_barrier
	buffer_gl0_inv
	ds_load_2addr_b32 v[2:3], v17 offset1:1
	ds_load_2addr_b32 v[4:5], v17 offset0:2 offset1:3
	ds_load_2addr_b32 v[6:7], v17 offset0:4 offset1:5
	ds_load_2addr_b32 v[0:1], v17 offset0:6 offset1:7
	s_cmp_eq_u32 s11, 10
	v_xor_b32_e32 v32, 0x80000000, v30
	v_xor_b32_e32 v33, 0x80000000, v31
	;; [unrolled: 1-line block ×8, first 2 shown]
	s_cbranch_scc1 .LBB39_28
.LBB39_2:                               ; =>This Loop Header: Depth=1
                                        ;     Child Loop BB39_4 Depth 2
	v_xor_b32_e32 v32, 0x80000000, v32
	v_xor_b32_e32 v33, 0x80000000, v33
	;; [unrolled: 1-line block ×8, first 2 shown]
	ds_store_2addr_b32 v20, v32, v33 offset1:1
	ds_store_2addr_b32 v20, v34, v35 offset0:2 offset1:3
	ds_store_2addr_b32 v20, v36, v37 offset0:4 offset1:5
	;; [unrolled: 1-line block ×3, first 2 shown]
	; wave barrier
	ds_load_b32 v57, v21
	ds_load_b32 v46, v22 offset:128
	ds_load_b32 v47, v23 offset:256
	;; [unrolled: 1-line block ×7, first 2 shown]
	; wave barrier
	s_waitcnt lgkmcnt(15)
	ds_store_2addr_b32 v20, v2, v3 offset1:1
	s_waitcnt lgkmcnt(15)
	ds_store_2addr_b32 v20, v4, v5 offset0:2 offset1:3
	s_waitcnt lgkmcnt(15)
	ds_store_2addr_b32 v20, v6, v7 offset0:4 offset1:5
	;; [unrolled: 2-line block ×3, first 2 shown]
	; wave barrier
	ds_load_b32 v5, v21
	ds_load_b32 v6, v22 offset:128
	ds_load_b32 v7, v23 offset:256
	;; [unrolled: 1-line block ×7, first 2 shown]
	s_mov_b32 s14, 0
	s_waitcnt lgkmcnt(0)
	s_barrier
	s_branch .LBB39_4
.LBB39_3:                               ;   in Loop: Header=BB39_4 Depth=2
	v_lshrrev_b32_e32 v5, 3, v56
	v_lshrrev_b32_e32 v46, 3, v0
	;; [unrolled: 1-line block ×8, first 2 shown]
	v_and_b32_e32 v5, 0x1ffffffc, v5
	v_and_b32_e32 v46, 0x1ffffffc, v46
	;; [unrolled: 1-line block ×8, first 2 shown]
	v_lshl_add_u32 v5, v56, 2, v5
	v_lshl_add_u32 v51, v0, 2, v46
	;; [unrolled: 1-line block ×8, first 2 shown]
	s_barrier
	buffer_gl0_inv
	ds_store_b32 v5, v34
	ds_store_b32 v6, v45
	ds_store_b32 v7, v44
	ds_store_b32 v51, v41
	ds_store_b32 v52, v33
	ds_store_b32 v53, v32
	ds_store_b32 v49, v31
	ds_store_b32 v50, v30
	s_waitcnt lgkmcnt(0)
	s_barrier
	buffer_gl0_inv
	ds_load_b32 v57, v21
	ds_load_b32 v46, v22 offset:128
	ds_load_b32 v47, v23 offset:256
	;; [unrolled: 1-line block ×7, first 2 shown]
	s_waitcnt lgkmcnt(0)
	s_barrier
	buffer_gl0_inv
	ds_store_b32 v5, v43
	ds_store_b32 v6, v42
	;; [unrolled: 1-line block ×8, first 2 shown]
	s_waitcnt lgkmcnt(0)
	s_barrier
	buffer_gl0_inv
	ds_load_b32 v5, v21
	ds_load_b32 v6, v22 offset:128
	ds_load_b32 v7, v23 offset:256
	;; [unrolled: 1-line block ×7, first 2 shown]
	s_add_i32 s14, s14, 8
	s_waitcnt lgkmcnt(0)
	s_barrier
	s_cbranch_execz .LBB39_1
.LBB39_4:                               ;   Parent Loop BB39_2 Depth=1
                                        ; =>  This Inner Loop Header: Depth=2
	v_dual_mov_b32 v34, v57 :: v_dual_mov_b32 v31, v58
	v_dual_mov_b32 v30, v60 :: v_dual_mov_b32 v33, v54
	v_mov_b32_e32 v42, v6
	s_delay_alu instid0(VALU_DEP_3)
	v_bfe_u32 v0, v34, s14, 1
	v_lshrrev_b32_e32 v1, s14, v34
	v_mov_b32_e32 v32, v55
	buffer_gl0_inv
	ds_store_2addr_b64 v13, v[9:10], v[11:12] offset0:5 offset1:6
	ds_store_2addr_b64 v14, v[9:10], v[11:12] offset0:2 offset1:3
	v_add_co_u32 v0, s10, v0, -1
	v_lshlrev_b32_e32 v3, 30, v1
	v_cndmask_b32_e64 v2, 0, 1, s10
	v_dual_mov_b32 v41, v48 :: v_dual_lshlrev_b32 v4, 29, v1
	v_dual_mov_b32 v44, v47 :: v_dual_lshlrev_b32 v35, 28, v1
	s_delay_alu instid0(VALU_DEP_3)
	v_cmp_ne_u32_e32 vcc_lo, 0, v2
	v_not_b32_e32 v2, v3
	v_cmp_gt_i32_e64 s10, 0, v3
	v_not_b32_e32 v3, v4
	v_dual_mov_b32 v45, v46 :: v_dual_lshlrev_b32 v36, 27, v1
	v_xor_b32_e32 v0, vcc_lo, v0
	v_ashrrev_i32_e32 v2, 31, v2
	v_cmp_gt_i32_e32 vcc_lo, 0, v4
	v_not_b32_e32 v4, v35
	v_ashrrev_i32_e32 v3, 31, v3
	v_and_b32_e32 v0, exec_lo, v0
	v_xor_b32_e32 v2, s10, v2
	v_lshlrev_b32_e32 v37, 26, v1
	v_cmp_gt_i32_e64 s10, 0, v35
	v_not_b32_e32 v35, v36
	v_ashrrev_i32_e32 v4, 31, v4
	v_xor_b32_e32 v3, vcc_lo, v3
	v_and_b32_e32 v0, v0, v2
	v_cmp_gt_i32_e32 vcc_lo, 0, v36
	v_ashrrev_i32_e32 v35, 31, v35
	v_xor_b32_e32 v4, s10, v4
	v_mov_b32_e32 v36, v52
	v_not_b32_e32 v2, v37
	v_cmp_gt_i32_e64 s10, 0, v37
	v_dual_mov_b32 v37, v51 :: v_dual_and_b32 v0, v0, v3
	v_mov_b32_e32 v39, v49
	v_dual_mov_b32 v38, v50 :: v_dual_lshlrev_b32 v3, 25, v1
	v_ashrrev_i32_e32 v2, 31, v2
	v_xor_b32_e32 v35, vcc_lo, v35
	v_dual_mov_b32 v43, v5 :: v_dual_and_b32 v0, v0, v4
	s_delay_alu instid0(VALU_DEP_4)
	v_not_b32_e32 v4, v3
	v_dual_mov_b32 v40, v7 :: v_dual_lshlrev_b32 v1, 24, v1
	v_cmp_gt_i32_e32 vcc_lo, 0, v3
	v_xor_b32_e32 v2, s10, v2
	v_and_b32_e32 v0, v0, v35
	v_ashrrev_i32_e32 v3, 31, v4
	v_not_b32_e32 v4, v1
	v_mov_b32_e32 v35, v53
	s_waitcnt lgkmcnt(0)
	v_and_b32_e32 v0, v0, v2
	v_xor_b32_e32 v2, vcc_lo, v3
	v_cmp_gt_i32_e32 vcc_lo, 0, v1
	v_ashrrev_i32_e32 v1, 31, v4
	s_barrier
	buffer_gl0_inv
	v_and_b32_e32 v0, v0, v2
	v_xor_b32_e32 v1, vcc_lo, v1
	; wave barrier
	s_delay_alu instid0(VALU_DEP_1) | instskip(SKIP_1) | instid1(VALU_DEP_2)
	v_and_b32_e32 v0, v0, v1
	v_bfe_u32 v1, v34, s14, 8
	v_mbcnt_lo_u32_b32 v46, v0, 0
	s_delay_alu instid0(VALU_DEP_2) | instskip(SKIP_1) | instid1(VALU_DEP_3)
	v_mad_u32_u24 v1, v1, 10, v29
	v_cmp_ne_u32_e64 s10, 0, v0
	v_cmp_eq_u32_e32 vcc_lo, 0, v46
	s_delay_alu instid0(VALU_DEP_3) | instskip(NEXT) | instid1(VALU_DEP_3)
	v_lshl_add_u32 v47, v1, 2, 40
	s_and_b32 s15, s10, vcc_lo
	s_delay_alu instid0(SALU_CYCLE_1)
	s_and_saveexec_b32 s10, s15
	s_cbranch_execz .LBB39_6
; %bb.5:                                ;   in Loop: Header=BB39_4 Depth=2
	v_bcnt_u32_b32 v0, v0, 0
	ds_store_b32 v47, v0
.LBB39_6:                               ;   in Loop: Header=BB39_4 Depth=2
	s_or_b32 exec_lo, exec_lo, s10
	v_bfe_u32 v0, v45, s14, 1
	v_lshrrev_b32_e32 v1, s14, v45
	; wave barrier
	s_delay_alu instid0(VALU_DEP_2) | instskip(NEXT) | instid1(VALU_DEP_1)
	v_add_co_u32 v0, s10, v0, -1
	v_cndmask_b32_e64 v2, 0, 1, s10
	s_delay_alu instid0(VALU_DEP_3)
	v_lshlrev_b32_e32 v3, 30, v1
	v_lshlrev_b32_e32 v4, 29, v1
	;; [unrolled: 1-line block ×4, first 2 shown]
	v_cmp_ne_u32_e32 vcc_lo, 0, v2
	v_not_b32_e32 v2, v3
	v_cmp_gt_i32_e64 s10, 0, v3
	v_not_b32_e32 v3, v4
	v_lshlrev_b32_e32 v7, 26, v1
	v_xor_b32_e32 v0, vcc_lo, v0
	v_ashrrev_i32_e32 v2, 31, v2
	v_cmp_gt_i32_e32 vcc_lo, 0, v4
	v_not_b32_e32 v4, v5
	v_ashrrev_i32_e32 v3, 31, v3
	v_and_b32_e32 v0, exec_lo, v0
	v_xor_b32_e32 v2, s10, v2
	v_cmp_gt_i32_e64 s10, 0, v5
	v_not_b32_e32 v5, v6
	v_ashrrev_i32_e32 v4, 31, v4
	v_xor_b32_e32 v3, vcc_lo, v3
	v_and_b32_e32 v0, v0, v2
	v_cmp_gt_i32_e32 vcc_lo, 0, v6
	v_not_b32_e32 v2, v7
	v_ashrrev_i32_e32 v5, 31, v5
	v_xor_b32_e32 v4, s10, v4
	v_and_b32_e32 v0, v0, v3
	v_lshlrev_b32_e32 v3, 25, v1
	v_cmp_gt_i32_e64 s10, 0, v7
	v_ashrrev_i32_e32 v2, 31, v2
	v_xor_b32_e32 v5, vcc_lo, v5
	v_and_b32_e32 v0, v0, v4
	v_not_b32_e32 v6, v3
	v_lshlrev_b32_e32 v1, 24, v1
	v_bfe_u32 v4, v45, s14, 8
	v_xor_b32_e32 v2, s10, v2
	v_and_b32_e32 v0, v0, v5
	v_cmp_gt_i32_e32 vcc_lo, 0, v3
	v_ashrrev_i32_e32 v3, 31, v6
	v_not_b32_e32 v5, v1
	v_mul_u32_u24_e32 v4, 10, v4
	v_and_b32_e32 v0, v0, v2
	s_delay_alu instid0(VALU_DEP_4) | instskip(SKIP_3) | instid1(VALU_DEP_4)
	v_xor_b32_e32 v2, vcc_lo, v3
	v_cmp_gt_i32_e32 vcc_lo, 0, v1
	v_ashrrev_i32_e32 v1, 31, v5
	v_add_lshl_u32 v3, v4, v29, 2
	v_and_b32_e32 v0, v0, v2
	s_delay_alu instid0(VALU_DEP_3) | instskip(SKIP_3) | instid1(VALU_DEP_1)
	v_xor_b32_e32 v1, vcc_lo, v1
	ds_load_b32 v48, v3 offset:40
	v_add_nc_u32_e32 v50, 40, v3
	; wave barrier
	v_and_b32_e32 v0, v0, v1
	v_mbcnt_lo_u32_b32 v49, v0, 0
	v_cmp_ne_u32_e64 s10, 0, v0
	s_delay_alu instid0(VALU_DEP_2) | instskip(NEXT) | instid1(VALU_DEP_2)
	v_cmp_eq_u32_e32 vcc_lo, 0, v49
	s_and_b32 s15, s10, vcc_lo
	s_delay_alu instid0(SALU_CYCLE_1)
	s_and_saveexec_b32 s10, s15
	s_cbranch_execz .LBB39_8
; %bb.7:                                ;   in Loop: Header=BB39_4 Depth=2
	s_waitcnt lgkmcnt(0)
	v_bcnt_u32_b32 v0, v0, v48
	ds_store_b32 v50, v0
.LBB39_8:                               ;   in Loop: Header=BB39_4 Depth=2
	s_or_b32 exec_lo, exec_lo, s10
	v_bfe_u32 v0, v44, s14, 1
	v_lshrrev_b32_e32 v1, s14, v44
	; wave barrier
	s_delay_alu instid0(VALU_DEP_2) | instskip(NEXT) | instid1(VALU_DEP_1)
	v_add_co_u32 v0, s10, v0, -1
	v_cndmask_b32_e64 v2, 0, 1, s10
	s_delay_alu instid0(VALU_DEP_3)
	v_lshlrev_b32_e32 v3, 30, v1
	v_lshlrev_b32_e32 v4, 29, v1
	;; [unrolled: 1-line block ×4, first 2 shown]
	v_cmp_ne_u32_e32 vcc_lo, 0, v2
	v_not_b32_e32 v2, v3
	v_cmp_gt_i32_e64 s10, 0, v3
	v_not_b32_e32 v3, v4
	v_lshlrev_b32_e32 v7, 26, v1
	v_xor_b32_e32 v0, vcc_lo, v0
	v_ashrrev_i32_e32 v2, 31, v2
	v_cmp_gt_i32_e32 vcc_lo, 0, v4
	v_not_b32_e32 v4, v5
	v_ashrrev_i32_e32 v3, 31, v3
	v_and_b32_e32 v0, exec_lo, v0
	v_xor_b32_e32 v2, s10, v2
	v_cmp_gt_i32_e64 s10, 0, v5
	v_not_b32_e32 v5, v6
	v_ashrrev_i32_e32 v4, 31, v4
	v_xor_b32_e32 v3, vcc_lo, v3
	v_and_b32_e32 v0, v0, v2
	v_cmp_gt_i32_e32 vcc_lo, 0, v6
	v_not_b32_e32 v2, v7
	v_ashrrev_i32_e32 v5, 31, v5
	v_xor_b32_e32 v4, s10, v4
	v_and_b32_e32 v0, v0, v3
	v_lshlrev_b32_e32 v3, 25, v1
	v_cmp_gt_i32_e64 s10, 0, v7
	v_ashrrev_i32_e32 v2, 31, v2
	v_xor_b32_e32 v5, vcc_lo, v5
	v_and_b32_e32 v0, v0, v4
	v_not_b32_e32 v6, v3
	v_lshlrev_b32_e32 v1, 24, v1
	v_bfe_u32 v4, v44, s14, 8
	v_xor_b32_e32 v2, s10, v2
	v_and_b32_e32 v0, v0, v5
	v_cmp_gt_i32_e32 vcc_lo, 0, v3
	v_ashrrev_i32_e32 v3, 31, v6
	v_not_b32_e32 v5, v1
	v_mul_u32_u24_e32 v4, 10, v4
	v_and_b32_e32 v0, v0, v2
	s_delay_alu instid0(VALU_DEP_4) | instskip(SKIP_3) | instid1(VALU_DEP_4)
	v_xor_b32_e32 v2, vcc_lo, v3
	v_cmp_gt_i32_e32 vcc_lo, 0, v1
	v_ashrrev_i32_e32 v1, 31, v5
	v_add_lshl_u32 v3, v4, v29, 2
	v_and_b32_e32 v0, v0, v2
	s_delay_alu instid0(VALU_DEP_3) | instskip(SKIP_3) | instid1(VALU_DEP_1)
	v_xor_b32_e32 v1, vcc_lo, v1
	ds_load_b32 v51, v3 offset:40
	v_add_nc_u32_e32 v53, 40, v3
	; wave barrier
	v_and_b32_e32 v0, v0, v1
	v_mbcnt_lo_u32_b32 v52, v0, 0
	v_cmp_ne_u32_e64 s10, 0, v0
	s_delay_alu instid0(VALU_DEP_2) | instskip(NEXT) | instid1(VALU_DEP_2)
	v_cmp_eq_u32_e32 vcc_lo, 0, v52
	s_and_b32 s15, s10, vcc_lo
	s_delay_alu instid0(SALU_CYCLE_1)
	s_and_saveexec_b32 s10, s15
	s_cbranch_execz .LBB39_10
; %bb.9:                                ;   in Loop: Header=BB39_4 Depth=2
	s_waitcnt lgkmcnt(0)
	v_bcnt_u32_b32 v0, v0, v51
	ds_store_b32 v53, v0
.LBB39_10:                              ;   in Loop: Header=BB39_4 Depth=2
	s_or_b32 exec_lo, exec_lo, s10
	v_bfe_u32 v0, v41, s14, 1
	v_lshrrev_b32_e32 v1, s14, v41
	; wave barrier
	s_delay_alu instid0(VALU_DEP_2) | instskip(NEXT) | instid1(VALU_DEP_1)
	v_add_co_u32 v0, s10, v0, -1
	v_cndmask_b32_e64 v2, 0, 1, s10
	s_delay_alu instid0(VALU_DEP_3)
	v_lshlrev_b32_e32 v3, 30, v1
	v_lshlrev_b32_e32 v4, 29, v1
	;; [unrolled: 1-line block ×4, first 2 shown]
	v_cmp_ne_u32_e32 vcc_lo, 0, v2
	v_not_b32_e32 v2, v3
	v_cmp_gt_i32_e64 s10, 0, v3
	v_not_b32_e32 v3, v4
	v_lshlrev_b32_e32 v7, 26, v1
	v_xor_b32_e32 v0, vcc_lo, v0
	v_ashrrev_i32_e32 v2, 31, v2
	v_cmp_gt_i32_e32 vcc_lo, 0, v4
	v_not_b32_e32 v4, v5
	v_ashrrev_i32_e32 v3, 31, v3
	v_and_b32_e32 v0, exec_lo, v0
	v_xor_b32_e32 v2, s10, v2
	v_cmp_gt_i32_e64 s10, 0, v5
	v_not_b32_e32 v5, v6
	v_ashrrev_i32_e32 v4, 31, v4
	v_xor_b32_e32 v3, vcc_lo, v3
	v_and_b32_e32 v0, v0, v2
	v_cmp_gt_i32_e32 vcc_lo, 0, v6
	v_not_b32_e32 v2, v7
	v_ashrrev_i32_e32 v5, 31, v5
	v_xor_b32_e32 v4, s10, v4
	v_and_b32_e32 v0, v0, v3
	v_lshlrev_b32_e32 v3, 25, v1
	v_cmp_gt_i32_e64 s10, 0, v7
	v_ashrrev_i32_e32 v2, 31, v2
	v_xor_b32_e32 v5, vcc_lo, v5
	v_and_b32_e32 v0, v0, v4
	v_not_b32_e32 v6, v3
	v_lshlrev_b32_e32 v1, 24, v1
	v_bfe_u32 v4, v41, s14, 8
	v_xor_b32_e32 v2, s10, v2
	v_and_b32_e32 v0, v0, v5
	v_cmp_gt_i32_e32 vcc_lo, 0, v3
	v_ashrrev_i32_e32 v3, 31, v6
	v_not_b32_e32 v5, v1
	v_mul_u32_u24_e32 v4, 10, v4
	v_and_b32_e32 v0, v0, v2
	s_delay_alu instid0(VALU_DEP_4) | instskip(SKIP_3) | instid1(VALU_DEP_4)
	v_xor_b32_e32 v2, vcc_lo, v3
	v_cmp_gt_i32_e32 vcc_lo, 0, v1
	v_ashrrev_i32_e32 v1, 31, v5
	v_add_lshl_u32 v3, v4, v29, 2
	v_and_b32_e32 v0, v0, v2
	s_delay_alu instid0(VALU_DEP_3) | instskip(SKIP_3) | instid1(VALU_DEP_1)
	v_xor_b32_e32 v1, vcc_lo, v1
	ds_load_b32 v54, v3 offset:40
	v_add_nc_u32_e32 v56, 40, v3
	; wave barrier
	v_and_b32_e32 v0, v0, v1
	v_mbcnt_lo_u32_b32 v55, v0, 0
	v_cmp_ne_u32_e64 s10, 0, v0
	s_delay_alu instid0(VALU_DEP_2) | instskip(NEXT) | instid1(VALU_DEP_2)
	v_cmp_eq_u32_e32 vcc_lo, 0, v55
	s_and_b32 s15, s10, vcc_lo
	s_delay_alu instid0(SALU_CYCLE_1)
	s_and_saveexec_b32 s10, s15
	s_cbranch_execz .LBB39_12
; %bb.11:                               ;   in Loop: Header=BB39_4 Depth=2
	s_waitcnt lgkmcnt(0)
	v_bcnt_u32_b32 v0, v0, v54
	ds_store_b32 v56, v0
.LBB39_12:                              ;   in Loop: Header=BB39_4 Depth=2
	s_or_b32 exec_lo, exec_lo, s10
	v_bfe_u32 v0, v33, s14, 1
	v_lshrrev_b32_e32 v1, s14, v33
	; wave barrier
	s_delay_alu instid0(VALU_DEP_2) | instskip(NEXT) | instid1(VALU_DEP_1)
	v_add_co_u32 v0, s10, v0, -1
	v_cndmask_b32_e64 v2, 0, 1, s10
	s_delay_alu instid0(VALU_DEP_3)
	v_lshlrev_b32_e32 v3, 30, v1
	v_lshlrev_b32_e32 v4, 29, v1
	v_lshlrev_b32_e32 v5, 28, v1
	v_lshlrev_b32_e32 v6, 27, v1
	v_cmp_ne_u32_e32 vcc_lo, 0, v2
	v_not_b32_e32 v2, v3
	v_cmp_gt_i32_e64 s10, 0, v3
	v_not_b32_e32 v3, v4
	v_lshlrev_b32_e32 v7, 26, v1
	v_xor_b32_e32 v0, vcc_lo, v0
	v_ashrrev_i32_e32 v2, 31, v2
	v_cmp_gt_i32_e32 vcc_lo, 0, v4
	v_not_b32_e32 v4, v5
	v_ashrrev_i32_e32 v3, 31, v3
	v_and_b32_e32 v0, exec_lo, v0
	v_xor_b32_e32 v2, s10, v2
	v_cmp_gt_i32_e64 s10, 0, v5
	v_not_b32_e32 v5, v6
	v_ashrrev_i32_e32 v4, 31, v4
	v_xor_b32_e32 v3, vcc_lo, v3
	v_and_b32_e32 v0, v0, v2
	v_cmp_gt_i32_e32 vcc_lo, 0, v6
	v_not_b32_e32 v2, v7
	v_ashrrev_i32_e32 v5, 31, v5
	v_xor_b32_e32 v4, s10, v4
	v_and_b32_e32 v0, v0, v3
	v_lshlrev_b32_e32 v3, 25, v1
	v_cmp_gt_i32_e64 s10, 0, v7
	v_ashrrev_i32_e32 v2, 31, v2
	v_xor_b32_e32 v5, vcc_lo, v5
	v_and_b32_e32 v0, v0, v4
	v_not_b32_e32 v6, v3
	v_lshlrev_b32_e32 v1, 24, v1
	v_bfe_u32 v4, v33, s14, 8
	v_xor_b32_e32 v2, s10, v2
	v_and_b32_e32 v0, v0, v5
	v_cmp_gt_i32_e32 vcc_lo, 0, v3
	v_ashrrev_i32_e32 v3, 31, v6
	v_not_b32_e32 v5, v1
	v_mul_u32_u24_e32 v4, 10, v4
	v_and_b32_e32 v0, v0, v2
	s_delay_alu instid0(VALU_DEP_4) | instskip(SKIP_3) | instid1(VALU_DEP_4)
	v_xor_b32_e32 v2, vcc_lo, v3
	v_cmp_gt_i32_e32 vcc_lo, 0, v1
	v_ashrrev_i32_e32 v1, 31, v5
	v_add_lshl_u32 v3, v4, v29, 2
	v_and_b32_e32 v0, v0, v2
	s_delay_alu instid0(VALU_DEP_3) | instskip(SKIP_3) | instid1(VALU_DEP_1)
	v_xor_b32_e32 v1, vcc_lo, v1
	ds_load_b32 v57, v3 offset:40
	v_add_nc_u32_e32 v59, 40, v3
	; wave barrier
	v_and_b32_e32 v0, v0, v1
	v_mbcnt_lo_u32_b32 v58, v0, 0
	v_cmp_ne_u32_e64 s10, 0, v0
	s_delay_alu instid0(VALU_DEP_2) | instskip(NEXT) | instid1(VALU_DEP_2)
	v_cmp_eq_u32_e32 vcc_lo, 0, v58
	s_and_b32 s15, s10, vcc_lo
	s_delay_alu instid0(SALU_CYCLE_1)
	s_and_saveexec_b32 s10, s15
	s_cbranch_execz .LBB39_14
; %bb.13:                               ;   in Loop: Header=BB39_4 Depth=2
	s_waitcnt lgkmcnt(0)
	v_bcnt_u32_b32 v0, v0, v57
	ds_store_b32 v59, v0
.LBB39_14:                              ;   in Loop: Header=BB39_4 Depth=2
	s_or_b32 exec_lo, exec_lo, s10
	v_bfe_u32 v0, v32, s14, 1
	v_lshrrev_b32_e32 v1, s14, v32
	; wave barrier
	s_delay_alu instid0(VALU_DEP_2) | instskip(NEXT) | instid1(VALU_DEP_1)
	v_add_co_u32 v0, s10, v0, -1
	v_cndmask_b32_e64 v2, 0, 1, s10
	s_delay_alu instid0(VALU_DEP_3)
	v_lshlrev_b32_e32 v3, 30, v1
	v_lshlrev_b32_e32 v4, 29, v1
	;; [unrolled: 1-line block ×4, first 2 shown]
	v_cmp_ne_u32_e32 vcc_lo, 0, v2
	v_not_b32_e32 v2, v3
	v_cmp_gt_i32_e64 s10, 0, v3
	v_not_b32_e32 v3, v4
	v_lshlrev_b32_e32 v7, 26, v1
	v_xor_b32_e32 v0, vcc_lo, v0
	v_ashrrev_i32_e32 v2, 31, v2
	v_cmp_gt_i32_e32 vcc_lo, 0, v4
	v_not_b32_e32 v4, v5
	v_ashrrev_i32_e32 v3, 31, v3
	v_and_b32_e32 v0, exec_lo, v0
	v_xor_b32_e32 v2, s10, v2
	v_cmp_gt_i32_e64 s10, 0, v5
	v_not_b32_e32 v5, v6
	v_ashrrev_i32_e32 v4, 31, v4
	v_xor_b32_e32 v3, vcc_lo, v3
	v_and_b32_e32 v0, v0, v2
	v_cmp_gt_i32_e32 vcc_lo, 0, v6
	v_not_b32_e32 v2, v7
	v_ashrrev_i32_e32 v5, 31, v5
	v_xor_b32_e32 v4, s10, v4
	v_and_b32_e32 v0, v0, v3
	v_lshlrev_b32_e32 v3, 25, v1
	v_cmp_gt_i32_e64 s10, 0, v7
	v_ashrrev_i32_e32 v2, 31, v2
	v_xor_b32_e32 v5, vcc_lo, v5
	v_and_b32_e32 v0, v0, v4
	v_not_b32_e32 v6, v3
	v_lshlrev_b32_e32 v1, 24, v1
	v_bfe_u32 v4, v32, s14, 8
	v_xor_b32_e32 v2, s10, v2
	v_and_b32_e32 v0, v0, v5
	v_cmp_gt_i32_e32 vcc_lo, 0, v3
	v_ashrrev_i32_e32 v3, 31, v6
	v_not_b32_e32 v5, v1
	v_mul_u32_u24_e32 v4, 10, v4
	v_and_b32_e32 v0, v0, v2
	s_delay_alu instid0(VALU_DEP_4) | instskip(SKIP_3) | instid1(VALU_DEP_4)
	v_xor_b32_e32 v2, vcc_lo, v3
	v_cmp_gt_i32_e32 vcc_lo, 0, v1
	v_ashrrev_i32_e32 v1, 31, v5
	v_add_lshl_u32 v3, v4, v29, 2
	v_and_b32_e32 v0, v0, v2
	s_delay_alu instid0(VALU_DEP_3) | instskip(SKIP_3) | instid1(VALU_DEP_1)
	v_xor_b32_e32 v1, vcc_lo, v1
	ds_load_b32 v60, v3 offset:40
	v_add_nc_u32_e32 v62, 40, v3
	; wave barrier
	v_and_b32_e32 v0, v0, v1
	v_mbcnt_lo_u32_b32 v61, v0, 0
	v_cmp_ne_u32_e64 s10, 0, v0
	s_delay_alu instid0(VALU_DEP_2) | instskip(NEXT) | instid1(VALU_DEP_2)
	v_cmp_eq_u32_e32 vcc_lo, 0, v61
	s_and_b32 s15, s10, vcc_lo
	s_delay_alu instid0(SALU_CYCLE_1)
	s_and_saveexec_b32 s10, s15
	s_cbranch_execz .LBB39_16
; %bb.15:                               ;   in Loop: Header=BB39_4 Depth=2
	s_waitcnt lgkmcnt(0)
	v_bcnt_u32_b32 v0, v0, v60
	ds_store_b32 v62, v0
.LBB39_16:                              ;   in Loop: Header=BB39_4 Depth=2
	s_or_b32 exec_lo, exec_lo, s10
	v_bfe_u32 v0, v31, s14, 1
	v_lshrrev_b32_e32 v1, s14, v31
	; wave barrier
	s_delay_alu instid0(VALU_DEP_2) | instskip(NEXT) | instid1(VALU_DEP_1)
	v_add_co_u32 v0, s10, v0, -1
	v_cndmask_b32_e64 v2, 0, 1, s10
	s_delay_alu instid0(VALU_DEP_3)
	v_lshlrev_b32_e32 v3, 30, v1
	v_lshlrev_b32_e32 v4, 29, v1
	;; [unrolled: 1-line block ×4, first 2 shown]
	v_cmp_ne_u32_e32 vcc_lo, 0, v2
	v_not_b32_e32 v2, v3
	v_cmp_gt_i32_e64 s10, 0, v3
	v_not_b32_e32 v3, v4
	v_lshlrev_b32_e32 v7, 26, v1
	v_xor_b32_e32 v0, vcc_lo, v0
	v_ashrrev_i32_e32 v2, 31, v2
	v_cmp_gt_i32_e32 vcc_lo, 0, v4
	v_not_b32_e32 v4, v5
	v_ashrrev_i32_e32 v3, 31, v3
	v_and_b32_e32 v0, exec_lo, v0
	v_xor_b32_e32 v2, s10, v2
	v_cmp_gt_i32_e64 s10, 0, v5
	v_not_b32_e32 v5, v6
	v_ashrrev_i32_e32 v4, 31, v4
	v_xor_b32_e32 v3, vcc_lo, v3
	v_and_b32_e32 v0, v0, v2
	v_cmp_gt_i32_e32 vcc_lo, 0, v6
	v_not_b32_e32 v2, v7
	v_ashrrev_i32_e32 v5, 31, v5
	v_xor_b32_e32 v4, s10, v4
	v_and_b32_e32 v0, v0, v3
	v_lshlrev_b32_e32 v3, 25, v1
	v_cmp_gt_i32_e64 s10, 0, v7
	v_ashrrev_i32_e32 v2, 31, v2
	v_xor_b32_e32 v5, vcc_lo, v5
	v_and_b32_e32 v0, v0, v4
	v_not_b32_e32 v6, v3
	v_lshlrev_b32_e32 v1, 24, v1
	v_bfe_u32 v4, v31, s14, 8
	v_xor_b32_e32 v2, s10, v2
	v_and_b32_e32 v0, v0, v5
	v_cmp_gt_i32_e32 vcc_lo, 0, v3
	v_ashrrev_i32_e32 v3, 31, v6
	v_not_b32_e32 v5, v1
	v_mul_u32_u24_e32 v4, 10, v4
	v_and_b32_e32 v0, v0, v2
	s_delay_alu instid0(VALU_DEP_4) | instskip(SKIP_3) | instid1(VALU_DEP_4)
	v_xor_b32_e32 v2, vcc_lo, v3
	v_cmp_gt_i32_e32 vcc_lo, 0, v1
	v_ashrrev_i32_e32 v1, 31, v5
	v_add_lshl_u32 v3, v4, v29, 2
	v_and_b32_e32 v0, v0, v2
	s_delay_alu instid0(VALU_DEP_3) | instskip(SKIP_3) | instid1(VALU_DEP_1)
	v_xor_b32_e32 v1, vcc_lo, v1
	ds_load_b32 v63, v3 offset:40
	v_add_nc_u32_e32 v65, 40, v3
	; wave barrier
	v_and_b32_e32 v0, v0, v1
	v_mbcnt_lo_u32_b32 v64, v0, 0
	v_cmp_ne_u32_e64 s10, 0, v0
	s_delay_alu instid0(VALU_DEP_2) | instskip(NEXT) | instid1(VALU_DEP_2)
	v_cmp_eq_u32_e32 vcc_lo, 0, v64
	s_and_b32 s15, s10, vcc_lo
	s_delay_alu instid0(SALU_CYCLE_1)
	s_and_saveexec_b32 s10, s15
	s_cbranch_execz .LBB39_18
; %bb.17:                               ;   in Loop: Header=BB39_4 Depth=2
	s_waitcnt lgkmcnt(0)
	v_bcnt_u32_b32 v0, v0, v63
	ds_store_b32 v65, v0
.LBB39_18:                              ;   in Loop: Header=BB39_4 Depth=2
	s_or_b32 exec_lo, exec_lo, s10
	v_bfe_u32 v0, v30, s14, 1
	v_lshrrev_b32_e32 v1, s14, v30
	; wave barrier
	s_delay_alu instid0(VALU_DEP_2) | instskip(NEXT) | instid1(VALU_DEP_1)
	v_add_co_u32 v0, s10, v0, -1
	v_cndmask_b32_e64 v2, 0, 1, s10
	s_delay_alu instid0(VALU_DEP_3)
	v_lshlrev_b32_e32 v3, 30, v1
	v_lshlrev_b32_e32 v4, 29, v1
	;; [unrolled: 1-line block ×4, first 2 shown]
	v_cmp_ne_u32_e32 vcc_lo, 0, v2
	v_not_b32_e32 v2, v3
	v_cmp_gt_i32_e64 s10, 0, v3
	v_not_b32_e32 v3, v4
	v_lshlrev_b32_e32 v7, 26, v1
	v_xor_b32_e32 v0, vcc_lo, v0
	v_ashrrev_i32_e32 v2, 31, v2
	v_cmp_gt_i32_e32 vcc_lo, 0, v4
	v_not_b32_e32 v4, v5
	v_ashrrev_i32_e32 v3, 31, v3
	v_and_b32_e32 v0, exec_lo, v0
	v_xor_b32_e32 v2, s10, v2
	v_cmp_gt_i32_e64 s10, 0, v5
	v_not_b32_e32 v5, v6
	v_ashrrev_i32_e32 v4, 31, v4
	v_xor_b32_e32 v3, vcc_lo, v3
	v_and_b32_e32 v0, v0, v2
	v_cmp_gt_i32_e32 vcc_lo, 0, v6
	v_not_b32_e32 v2, v7
	v_ashrrev_i32_e32 v5, 31, v5
	v_xor_b32_e32 v4, s10, v4
	v_and_b32_e32 v0, v0, v3
	v_lshlrev_b32_e32 v3, 25, v1
	v_cmp_gt_i32_e64 s10, 0, v7
	v_ashrrev_i32_e32 v2, 31, v2
	v_xor_b32_e32 v5, vcc_lo, v5
	v_and_b32_e32 v0, v0, v4
	v_not_b32_e32 v6, v3
	v_lshlrev_b32_e32 v1, 24, v1
	v_bfe_u32 v4, v30, s14, 8
	v_xor_b32_e32 v2, s10, v2
	v_and_b32_e32 v0, v0, v5
	v_cmp_gt_i32_e32 vcc_lo, 0, v3
	v_ashrrev_i32_e32 v3, 31, v6
	v_not_b32_e32 v5, v1
	v_mul_u32_u24_e32 v4, 10, v4
	v_and_b32_e32 v0, v0, v2
	s_delay_alu instid0(VALU_DEP_4) | instskip(SKIP_3) | instid1(VALU_DEP_4)
	v_xor_b32_e32 v2, vcc_lo, v3
	v_cmp_gt_i32_e32 vcc_lo, 0, v1
	v_ashrrev_i32_e32 v1, 31, v5
	v_add_lshl_u32 v3, v4, v29, 2
	v_and_b32_e32 v0, v0, v2
	s_delay_alu instid0(VALU_DEP_3) | instskip(SKIP_3) | instid1(VALU_DEP_1)
	v_xor_b32_e32 v1, vcc_lo, v1
	ds_load_b32 v66, v3 offset:40
	v_add_nc_u32_e32 v68, 40, v3
	; wave barrier
	v_and_b32_e32 v0, v0, v1
	v_mbcnt_lo_u32_b32 v67, v0, 0
	v_cmp_ne_u32_e64 s10, 0, v0
	s_delay_alu instid0(VALU_DEP_2) | instskip(NEXT) | instid1(VALU_DEP_2)
	v_cmp_eq_u32_e32 vcc_lo, 0, v67
	s_and_b32 s15, s10, vcc_lo
	s_delay_alu instid0(SALU_CYCLE_1)
	s_and_saveexec_b32 s10, s15
	s_cbranch_execz .LBB39_20
; %bb.19:                               ;   in Loop: Header=BB39_4 Depth=2
	s_waitcnt lgkmcnt(0)
	v_bcnt_u32_b32 v0, v0, v66
	ds_store_b32 v68, v0
.LBB39_20:                              ;   in Loop: Header=BB39_4 Depth=2
	s_or_b32 exec_lo, exec_lo, s10
	; wave barrier
	s_waitcnt lgkmcnt(0)
	s_barrier
	buffer_gl0_inv
	ds_load_2addr_b64 v[4:7], v13 offset0:5 offset1:6
	ds_load_2addr_b64 v[0:3], v14 offset0:2 offset1:3
	s_waitcnt lgkmcnt(1)
	v_add_nc_u32_e32 v69, v5, v4
	s_delay_alu instid0(VALU_DEP_1) | instskip(SKIP_1) | instid1(VALU_DEP_1)
	v_add3_u32 v69, v69, v6, v7
	s_waitcnt lgkmcnt(0)
	v_add3_u32 v69, v69, v0, v1
	s_delay_alu instid0(VALU_DEP_1) | instskip(NEXT) | instid1(VALU_DEP_1)
	v_add3_u32 v3, v69, v2, v3
	v_mov_b32_dpp v69, v3 row_shr:1 row_mask:0xf bank_mask:0xf
	s_delay_alu instid0(VALU_DEP_1) | instskip(NEXT) | instid1(VALU_DEP_1)
	v_cndmask_b32_e64 v69, v69, 0, s1
	v_add_nc_u32_e32 v3, v69, v3
	s_delay_alu instid0(VALU_DEP_1) | instskip(NEXT) | instid1(VALU_DEP_1)
	v_mov_b32_dpp v69, v3 row_shr:2 row_mask:0xf bank_mask:0xf
	v_cndmask_b32_e64 v69, 0, v69, s2
	s_delay_alu instid0(VALU_DEP_1) | instskip(NEXT) | instid1(VALU_DEP_1)
	v_add_nc_u32_e32 v3, v3, v69
	v_mov_b32_dpp v69, v3 row_shr:4 row_mask:0xf bank_mask:0xf
	s_delay_alu instid0(VALU_DEP_1) | instskip(NEXT) | instid1(VALU_DEP_1)
	v_cndmask_b32_e64 v69, 0, v69, s3
	v_add_nc_u32_e32 v3, v3, v69
	s_delay_alu instid0(VALU_DEP_1) | instskip(NEXT) | instid1(VALU_DEP_1)
	v_mov_b32_dpp v69, v3 row_shr:8 row_mask:0xf bank_mask:0xf
	v_cndmask_b32_e64 v69, 0, v69, s4
	s_delay_alu instid0(VALU_DEP_1) | instskip(SKIP_3) | instid1(VALU_DEP_1)
	v_add_nc_u32_e32 v3, v3, v69
	ds_swizzle_b32 v69, v3 offset:swizzle(BROADCAST,32,15)
	s_waitcnt lgkmcnt(0)
	v_cndmask_b32_e64 v69, v69, 0, s5
	v_add_nc_u32_e32 v3, v3, v69
	s_and_saveexec_b32 s10, s9
	s_cbranch_execz .LBB39_22
; %bb.21:                               ;   in Loop: Header=BB39_4 Depth=2
	ds_store_b32 v16, v3
.LBB39_22:                              ;   in Loop: Header=BB39_4 Depth=2
	s_or_b32 exec_lo, exec_lo, s10
	s_waitcnt lgkmcnt(0)
	s_barrier
	buffer_gl0_inv
	s_and_saveexec_b32 s10, s6
	s_cbranch_execz .LBB39_24
; %bb.23:                               ;   in Loop: Header=BB39_4 Depth=2
	ds_load_b32 v69, v18
	s_waitcnt lgkmcnt(0)
	v_mov_b32_dpp v70, v69 row_shr:1 row_mask:0xf bank_mask:0xf
	s_delay_alu instid0(VALU_DEP_1) | instskip(NEXT) | instid1(VALU_DEP_1)
	v_cndmask_b32_e64 v70, v70, 0, s1
	v_add_nc_u32_e32 v69, v70, v69
	s_delay_alu instid0(VALU_DEP_1) | instskip(NEXT) | instid1(VALU_DEP_1)
	v_mov_b32_dpp v70, v69 row_shr:2 row_mask:0xf bank_mask:0xf
	v_cndmask_b32_e64 v70, 0, v70, s2
	s_delay_alu instid0(VALU_DEP_1) | instskip(NEXT) | instid1(VALU_DEP_1)
	v_add_nc_u32_e32 v69, v69, v70
	v_mov_b32_dpp v70, v69 row_shr:4 row_mask:0xf bank_mask:0xf
	s_delay_alu instid0(VALU_DEP_1) | instskip(NEXT) | instid1(VALU_DEP_1)
	v_cndmask_b32_e64 v70, 0, v70, s3
	v_add_nc_u32_e32 v69, v69, v70
	s_delay_alu instid0(VALU_DEP_1) | instskip(NEXT) | instid1(VALU_DEP_1)
	v_mov_b32_dpp v70, v69 row_shr:8 row_mask:0xf bank_mask:0xf
	v_cndmask_b32_e64 v70, 0, v70, s4
	s_delay_alu instid0(VALU_DEP_1)
	v_add_nc_u32_e32 v69, v69, v70
	ds_store_b32 v18, v69
.LBB39_24:                              ;   in Loop: Header=BB39_4 Depth=2
	s_or_b32 exec_lo, exec_lo, s10
	v_mov_b32_e32 v69, 0
	s_waitcnt lgkmcnt(0)
	s_barrier
	buffer_gl0_inv
	s_and_saveexec_b32 s10, s7
	s_cbranch_execz .LBB39_26
; %bb.25:                               ;   in Loop: Header=BB39_4 Depth=2
	ds_load_b32 v69, v19
.LBB39_26:                              ;   in Loop: Header=BB39_4 Depth=2
	s_or_b32 exec_lo, exec_lo, s10
	s_waitcnt lgkmcnt(0)
	v_add_nc_u32_e32 v3, v69, v3
	s_cmp_gt_u32 s14, 23
	ds_bpermute_b32 v3, v15, v3
	s_waitcnt lgkmcnt(0)
	v_cndmask_b32_e64 v3, v3, v69, s0
	s_delay_alu instid0(VALU_DEP_1) | instskip(NEXT) | instid1(VALU_DEP_1)
	v_cndmask_b32_e64 v3, v3, 0, s8
	v_add_nc_u32_e32 v4, v3, v4
	s_delay_alu instid0(VALU_DEP_1) | instskip(NEXT) | instid1(VALU_DEP_1)
	v_add_nc_u32_e32 v5, v4, v5
	v_add_nc_u32_e32 v6, v5, v6
	s_delay_alu instid0(VALU_DEP_1) | instskip(NEXT) | instid1(VALU_DEP_1)
	v_add_nc_u32_e32 v69, v6, v7
	v_add_nc_u32_e32 v70, v69, v0
	s_delay_alu instid0(VALU_DEP_1) | instskip(NEXT) | instid1(VALU_DEP_1)
	v_add_nc_u32_e32 v0, v70, v1
	v_add_nc_u32_e32 v1, v0, v2
	ds_store_2addr_b64 v13, v[3:4], v[5:6] offset0:5 offset1:6
	ds_store_2addr_b64 v14, v[69:70], v[0:1] offset0:2 offset1:3
	s_waitcnt lgkmcnt(0)
	s_barrier
	buffer_gl0_inv
	ds_load_b32 v0, v47
	ds_load_b32 v1, v50
	;; [unrolled: 1-line block ×8, first 2 shown]
	s_waitcnt lgkmcnt(7)
	v_add_nc_u32_e32 v56, v0, v46
	s_waitcnt lgkmcnt(6)
	v_add3_u32 v59, v49, v48, v1
	s_waitcnt lgkmcnt(5)
	v_add3_u32 v62, v52, v51, v2
	;; [unrolled: 2-line block ×7, first 2 shown]
	s_cbranch_scc0 .LBB39_3
; %bb.27:                               ;   in Loop: Header=BB39_2 Depth=1
                                        ; implicit-def: $vgpr60
                                        ; implicit-def: $vgpr58
                                        ; implicit-def: $vgpr55
                                        ; implicit-def: $vgpr54
                                        ; implicit-def: $vgpr48
                                        ; implicit-def: $vgpr47
                                        ; implicit-def: $vgpr46
                                        ; implicit-def: $vgpr57
                                        ; implicit-def: $vgpr53
                                        ; implicit-def: $vgpr52
                                        ; implicit-def: $vgpr51
                                        ; implicit-def: $vgpr50
                                        ; implicit-def: $vgpr49
                                        ; implicit-def: $vgpr7
                                        ; implicit-def: $vgpr6
                                        ; implicit-def: $vgpr5
                                        ; implicit-def: $sgpr14
	s_branch .LBB39_1
.LBB39_28:
	v_lshlrev_b32_e32 v8, 2, v8
	s_add_u32 s0, s18, s12
	s_waitcnt lgkmcnt(3)
	v_add_nc_u32_e32 v9, v32, v2
	s_addc_u32 s1, s19, s13
	v_add_nc_u32_e32 v10, v33, v3
	v_add_co_u32 v2, s2, s0, v8
	s_delay_alu instid0(VALU_DEP_1) | instskip(SKIP_2) | instid1(VALU_DEP_3)
	v_add_co_ci_u32_e64 v3, null, s1, 0, s2
	s_waitcnt lgkmcnt(0)
	v_add_nc_u32_e32 v11, v31, v0
	v_add_co_u32 v0, vcc_lo, 0x1000, v2
	v_add_nc_u32_e32 v4, v34, v4
	v_add_nc_u32_e32 v12, v30, v1
	v_add_co_ci_u32_e32 v1, vcc_lo, 0, v3, vcc_lo
	v_add_nc_u32_e32 v5, v35, v5
	v_add_co_u32 v2, vcc_lo, 0x2000, v2
	v_add_nc_u32_e32 v6, v36, v6
	v_add_nc_u32_e32 v7, v37, v7
	v_add_co_ci_u32_e32 v3, vcc_lo, 0, v3, vcc_lo
	s_clause 0x7
	global_store_b32 v8, v9, s[0:1]
	global_store_b32 v8, v10, s[0:1] offset:1280
	global_store_b32 v8, v4, s[0:1] offset:2560
	;; [unrolled: 1-line block ×3, first 2 shown]
	global_store_b32 v[0:1], v6, off offset:1024
	global_store_b32 v[0:1], v7, off offset:2304
	;; [unrolled: 1-line block ×4, first 2 shown]
	s_nop 0
	s_sendmsg sendmsg(MSG_DEALLOC_VGPRS)
	s_endpgm
	.section	.rodata,"a",@progbits
	.p2align	6, 0x0
	.amdhsa_kernel _Z17sort_pairs_kernelI22helper_blocked_blockediLj320ELj8ELj10EEvPKT0_PS1_
		.amdhsa_group_segment_fixed_size 10560
		.amdhsa_private_segment_fixed_size 0
		.amdhsa_kernarg_size 272
		.amdhsa_user_sgpr_count 15
		.amdhsa_user_sgpr_dispatch_ptr 0
		.amdhsa_user_sgpr_queue_ptr 0
		.amdhsa_user_sgpr_kernarg_segment_ptr 1
		.amdhsa_user_sgpr_dispatch_id 0
		.amdhsa_user_sgpr_private_segment_size 0
		.amdhsa_wavefront_size32 1
		.amdhsa_uses_dynamic_stack 0
		.amdhsa_enable_private_segment 0
		.amdhsa_system_sgpr_workgroup_id_x 1
		.amdhsa_system_sgpr_workgroup_id_y 0
		.amdhsa_system_sgpr_workgroup_id_z 0
		.amdhsa_system_sgpr_workgroup_info 0
		.amdhsa_system_vgpr_workitem_id 2
		.amdhsa_next_free_vgpr 71
		.amdhsa_next_free_sgpr 20
		.amdhsa_reserve_vcc 1
		.amdhsa_float_round_mode_32 0
		.amdhsa_float_round_mode_16_64 0
		.amdhsa_float_denorm_mode_32 3
		.amdhsa_float_denorm_mode_16_64 3
		.amdhsa_dx10_clamp 1
		.amdhsa_ieee_mode 1
		.amdhsa_fp16_overflow 0
		.amdhsa_workgroup_processor_mode 1
		.amdhsa_memory_ordered 1
		.amdhsa_forward_progress 0
		.amdhsa_shared_vgpr_count 0
		.amdhsa_exception_fp_ieee_invalid_op 0
		.amdhsa_exception_fp_denorm_src 0
		.amdhsa_exception_fp_ieee_div_zero 0
		.amdhsa_exception_fp_ieee_overflow 0
		.amdhsa_exception_fp_ieee_underflow 0
		.amdhsa_exception_fp_ieee_inexact 0
		.amdhsa_exception_int_div_zero 0
	.end_amdhsa_kernel
	.section	.text._Z17sort_pairs_kernelI22helper_blocked_blockediLj320ELj8ELj10EEvPKT0_PS1_,"axG",@progbits,_Z17sort_pairs_kernelI22helper_blocked_blockediLj320ELj8ELj10EEvPKT0_PS1_,comdat
.Lfunc_end39:
	.size	_Z17sort_pairs_kernelI22helper_blocked_blockediLj320ELj8ELj10EEvPKT0_PS1_, .Lfunc_end39-_Z17sort_pairs_kernelI22helper_blocked_blockediLj320ELj8ELj10EEvPKT0_PS1_
                                        ; -- End function
	.section	.AMDGPU.csdata,"",@progbits
; Kernel info:
; codeLenInByte = 5596
; NumSgprs: 22
; NumVgprs: 71
; ScratchSize: 0
; MemoryBound: 0
; FloatMode: 240
; IeeeMode: 1
; LDSByteSize: 10560 bytes/workgroup (compile time only)
; SGPRBlocks: 2
; VGPRBlocks: 8
; NumSGPRsForWavesPerEU: 22
; NumVGPRsForWavesPerEU: 71
; Occupancy: 15
; WaveLimiterHint : 1
; COMPUTE_PGM_RSRC2:SCRATCH_EN: 0
; COMPUTE_PGM_RSRC2:USER_SGPR: 15
; COMPUTE_PGM_RSRC2:TRAP_HANDLER: 0
; COMPUTE_PGM_RSRC2:TGID_X_EN: 1
; COMPUTE_PGM_RSRC2:TGID_Y_EN: 0
; COMPUTE_PGM_RSRC2:TGID_Z_EN: 0
; COMPUTE_PGM_RSRC2:TIDIG_COMP_CNT: 2
	.section	.text._Z16sort_keys_kernelI22helper_blocked_blockediLj512ELj1ELj10EEvPKT0_PS1_,"axG",@progbits,_Z16sort_keys_kernelI22helper_blocked_blockediLj512ELj1ELj10EEvPKT0_PS1_,comdat
	.protected	_Z16sort_keys_kernelI22helper_blocked_blockediLj512ELj1ELj10EEvPKT0_PS1_ ; -- Begin function _Z16sort_keys_kernelI22helper_blocked_blockediLj512ELj1ELj10EEvPKT0_PS1_
	.globl	_Z16sort_keys_kernelI22helper_blocked_blockediLj512ELj1ELj10EEvPKT0_PS1_
	.p2align	8
	.type	_Z16sort_keys_kernelI22helper_blocked_blockediLj512ELj1ELj10EEvPKT0_PS1_,@function
_Z16sort_keys_kernelI22helper_blocked_blockediLj512ELj1ELj10EEvPKT0_PS1_: ; @_Z16sort_keys_kernelI22helper_blocked_blockediLj512ELj1ELj10EEvPKT0_PS1_
; %bb.0:
	s_clause 0x1
	s_load_b128 s[16:19], s[0:1], 0x0
	s_load_b32 s8, s[0:1], 0x1c
	s_mov_b32 s21, 0
	s_lshl_b32 s20, s15, 9
	s_mov_b32 s14, s21
	s_mov_b32 s15, s21
	v_dual_mov_b32 v9, s14 :: v_dual_and_b32 v8, 0x3ff, v0
	s_lshl_b64 s[12:13], s[20:21], 2
	v_mov_b32_e32 v10, s15
	v_mbcnt_lo_u32_b32 v3, -1, 0
	s_delay_alu instid0(VALU_DEP_3) | instskip(SKIP_2) | instid1(VALU_DEP_3)
	v_lshlrev_b32_e32 v1, 2, v8
	s_mov_b32 s20, s21
	v_lshlrev_b32_e32 v13, 5, v8
	v_dual_mov_b32 v11, s20 :: v_dual_add_nc_u32 v6, -1, v3
	v_and_b32_e32 v4, 15, v3
	v_dual_mov_b32 v12, s21 :: v_dual_and_b32 v5, 16, v3
	v_mul_i32_i24_e32 v20, 0xffffffe4, v8
	s_waitcnt lgkmcnt(0)
	s_add_u32 s0, s16, s12
	s_addc_u32 s1, s17, s13
	v_cmp_gt_i32_e64 s7, 0, v6
	global_load_b32 v2, v1, s[0:1]
	v_bfe_u32 v1, v0, 10, 10
	v_bfe_u32 v0, v0, 20, 10
	s_lshr_b32 s9, s8, 16
	v_cmp_eq_u32_e64 s0, 0, v4
	v_cmp_lt_u32_e64 s1, 1, v4
	v_cmp_lt_u32_e64 s2, 3, v4
	v_mad_u32_u24 v7, v0, s9, v1
	v_cmp_lt_u32_e64 s3, 7, v4
	v_cmp_eq_u32_e64 s4, 0, v5
	v_and_b32_e32 v4, 0x1e0, v8
	v_cndmask_b32_e64 v5, v6, v3, s7
	v_lshrrev_b32_e32 v6, 3, v8
	s_and_b32 s8, s8, 0xffff
	v_cmp_eq_u32_e32 vcc_lo, 0, v3
	v_mad_u64_u32 v[0:1], null, v7, s8, v[8:9]
	v_or_b32_e32 v17, 31, v4
	v_and_b32_e32 v14, 60, v6
	v_or_b32_e32 v1, v3, v4
	v_cmp_gt_u32_e64 s5, 16, v8
	v_cmp_lt_u32_e64 s6, 31, v8
	v_cmp_eq_u32_e64 s7, 0, v8
	v_add_nc_u32_e32 v15, 64, v13
	v_lshlrev_b32_e32 v16, 2, v5
	v_cmp_eq_u32_e64 s8, v17, v8
	v_add_nc_u32_e32 v17, -4, v14
	v_lshlrev_b32_e32 v18, 2, v1
	v_lshrrev_b32_e32 v19, 5, v0
	v_add_nc_u32_e32 v20, v13, v20
	s_mov_b32 s16, 10
	s_waitcnt vmcnt(0)
	v_xor_b32_e32 v21, 0x80000000, v2
	s_branch .LBB40_2
.LBB40_1:                               ;   in Loop: Header=BB40_2 Depth=1
	s_or_b32 exec_lo, exec_lo, s9
	s_waitcnt lgkmcnt(0)
	v_add_nc_u32_e32 v3, v24, v3
	s_add_i32 s16, s16, -1
	s_delay_alu instid0(SALU_CYCLE_1) | instskip(SKIP_3) | instid1(VALU_DEP_1)
	s_cmp_eq_u32 s16, 0
	ds_bpermute_b32 v3, v16, v3
	s_waitcnt lgkmcnt(0)
	v_cndmask_b32_e32 v3, v3, v24, vcc_lo
	v_cndmask_b32_e64 v3, v3, 0, s7
	s_delay_alu instid0(VALU_DEP_1) | instskip(NEXT) | instid1(VALU_DEP_1)
	v_add_nc_u32_e32 v4, v3, v4
	v_add_nc_u32_e32 v5, v4, v5
	s_delay_alu instid0(VALU_DEP_1) | instskip(NEXT) | instid1(VALU_DEP_1)
	v_add_nc_u32_e32 v6, v5, v6
	v_add_nc_u32_e32 v24, v6, v7
	;; [unrolled: 3-line block ×3, first 2 shown]
	s_delay_alu instid0(VALU_DEP_1)
	v_add_nc_u32_e32 v1, v0, v2
	ds_store_2addr_b64 v13, v[3:4], v[5:6] offset0:8 offset1:9
	ds_store_2addr_b64 v15, v[24:25], v[0:1] offset0:2 offset1:3
	s_waitcnt lgkmcnt(0)
	s_barrier
	buffer_gl0_inv
	ds_load_b32 v0, v23
	v_lshlrev_b32_e32 v1, 2, v22
	s_waitcnt lgkmcnt(0)
	s_barrier
	buffer_gl0_inv
	v_lshl_add_u32 v0, v0, 2, v1
	ds_store_b32 v0, v21
	s_waitcnt lgkmcnt(0)
	s_barrier
	buffer_gl0_inv
	ds_load_b32 v21, v20
	s_cbranch_scc1 .LBB40_34
.LBB40_2:                               ; =>This Inner Loop Header: Depth=1
	s_waitcnt lgkmcnt(0)
	s_delay_alu instid0(VALU_DEP_1)
	v_and_b32_e32 v0, 1, v21
	v_lshlrev_b32_e32 v1, 30, v21
	v_lshlrev_b32_e32 v2, 29, v21
	;; [unrolled: 1-line block ×4, first 2 shown]
	v_add_co_u32 v0, s9, v0, -1
	s_delay_alu instid0(VALU_DEP_1)
	v_cndmask_b32_e64 v3, 0, 1, s9
	v_not_b32_e32 v7, v1
	v_cmp_gt_i32_e64 s10, 0, v1
	v_not_b32_e32 v1, v2
	v_lshlrev_b32_e32 v6, 26, v21
	v_cmp_ne_u32_e64 s9, 0, v3
	v_ashrrev_i32_e32 v7, 31, v7
	v_lshlrev_b32_e32 v3, 25, v21
	v_ashrrev_i32_e32 v1, 31, v1
	v_cmp_gt_i32_e64 s11, 0, v5
	v_xor_b32_e32 v0, s9, v0
	v_cmp_gt_i32_e64 s9, 0, v2
	v_not_b32_e32 v2, v4
	v_xor_b32_e32 v7, s10, v7
	v_cmp_gt_i32_e64 s10, 0, v4
	v_and_b32_e32 v0, exec_lo, v0
	v_xor_b32_e32 v1, s9, v1
	v_ashrrev_i32_e32 v2, 31, v2
	v_not_b32_e32 v4, v5
	v_not_b32_e32 v5, v6
	v_and_b32_e32 v0, v0, v7
	v_cmp_gt_i32_e64 s9, 0, v6
	v_xor_b32_e32 v2, s10, v2
	v_not_b32_e32 v6, v3
	ds_store_2addr_b64 v13, v[11:12], v[9:10] offset0:8 offset1:9
	ds_store_2addr_b64 v15, v[11:12], v[9:10] offset0:2 offset1:3
	v_and_b32_e32 v0, v0, v1
	v_ashrrev_i32_e32 v1, 31, v4
	v_ashrrev_i32_e32 v4, 31, v5
	v_lshlrev_b32_e32 v5, 24, v21
	s_waitcnt lgkmcnt(0)
	v_and_b32_e32 v0, v0, v2
	v_xor_b32_e32 v1, s11, v1
	v_xor_b32_e32 v2, s9, v4
	v_cmp_gt_i32_e64 s9, 0, v3
	v_not_b32_e32 v3, v5
	v_ashrrev_i32_e32 v4, 31, v6
	v_and_b32_e32 v0, v0, v1
	v_cmp_gt_i32_e64 s10, 0, v5
	s_barrier
	v_ashrrev_i32_e32 v1, 31, v3
	v_xor_b32_e32 v3, s9, v4
	v_and_b32_e32 v0, v0, v2
	buffer_gl0_inv
	v_xor_b32_e32 v1, s10, v1
	; wave barrier
	v_and_b32_e32 v0, v0, v3
	s_delay_alu instid0(VALU_DEP_1) | instskip(SKIP_1) | instid1(VALU_DEP_2)
	v_and_b32_e32 v0, v0, v1
	v_and_b32_e32 v1, 0xff, v21
	v_mbcnt_lo_u32_b32 v22, v0, 0
	s_delay_alu instid0(VALU_DEP_2) | instskip(SKIP_1) | instid1(VALU_DEP_3)
	v_lshl_add_u32 v1, v1, 4, v19
	v_cmp_ne_u32_e64 s10, 0, v0
	v_cmp_eq_u32_e64 s9, 0, v22
	s_delay_alu instid0(VALU_DEP_3) | instskip(NEXT) | instid1(VALU_DEP_2)
	v_lshl_add_u32 v23, v1, 2, 64
	s_and_b32 s10, s10, s9
	s_delay_alu instid0(SALU_CYCLE_1)
	s_and_saveexec_b32 s9, s10
	s_cbranch_execz .LBB40_4
; %bb.3:                                ;   in Loop: Header=BB40_2 Depth=1
	v_bcnt_u32_b32 v0, v0, 0
	ds_store_b32 v23, v0
.LBB40_4:                               ;   in Loop: Header=BB40_2 Depth=1
	s_or_b32 exec_lo, exec_lo, s9
	; wave barrier
	s_waitcnt lgkmcnt(0)
	s_barrier
	buffer_gl0_inv
	ds_load_2addr_b64 v[4:7], v13 offset0:8 offset1:9
	ds_load_2addr_b64 v[0:3], v15 offset0:2 offset1:3
	s_waitcnt lgkmcnt(1)
	v_add_nc_u32_e32 v24, v5, v4
	s_delay_alu instid0(VALU_DEP_1) | instskip(SKIP_1) | instid1(VALU_DEP_1)
	v_add3_u32 v24, v24, v6, v7
	s_waitcnt lgkmcnt(0)
	v_add3_u32 v24, v24, v0, v1
	s_delay_alu instid0(VALU_DEP_1) | instskip(NEXT) | instid1(VALU_DEP_1)
	v_add3_u32 v3, v24, v2, v3
	v_mov_b32_dpp v24, v3 row_shr:1 row_mask:0xf bank_mask:0xf
	s_delay_alu instid0(VALU_DEP_1) | instskip(NEXT) | instid1(VALU_DEP_1)
	v_cndmask_b32_e64 v24, v24, 0, s0
	v_add_nc_u32_e32 v3, v24, v3
	s_delay_alu instid0(VALU_DEP_1) | instskip(NEXT) | instid1(VALU_DEP_1)
	v_mov_b32_dpp v24, v3 row_shr:2 row_mask:0xf bank_mask:0xf
	v_cndmask_b32_e64 v24, 0, v24, s1
	s_delay_alu instid0(VALU_DEP_1) | instskip(NEXT) | instid1(VALU_DEP_1)
	v_add_nc_u32_e32 v3, v3, v24
	v_mov_b32_dpp v24, v3 row_shr:4 row_mask:0xf bank_mask:0xf
	s_delay_alu instid0(VALU_DEP_1) | instskip(NEXT) | instid1(VALU_DEP_1)
	v_cndmask_b32_e64 v24, 0, v24, s2
	v_add_nc_u32_e32 v3, v3, v24
	s_delay_alu instid0(VALU_DEP_1) | instskip(NEXT) | instid1(VALU_DEP_1)
	v_mov_b32_dpp v24, v3 row_shr:8 row_mask:0xf bank_mask:0xf
	v_cndmask_b32_e64 v24, 0, v24, s3
	s_delay_alu instid0(VALU_DEP_1) | instskip(SKIP_3) | instid1(VALU_DEP_1)
	v_add_nc_u32_e32 v3, v3, v24
	ds_swizzle_b32 v24, v3 offset:swizzle(BROADCAST,32,15)
	s_waitcnt lgkmcnt(0)
	v_cndmask_b32_e64 v24, v24, 0, s4
	v_add_nc_u32_e32 v3, v3, v24
	s_and_saveexec_b32 s9, s8
	s_cbranch_execz .LBB40_6
; %bb.5:                                ;   in Loop: Header=BB40_2 Depth=1
	ds_store_b32 v14, v3
.LBB40_6:                               ;   in Loop: Header=BB40_2 Depth=1
	s_or_b32 exec_lo, exec_lo, s9
	s_waitcnt lgkmcnt(0)
	s_barrier
	buffer_gl0_inv
	s_and_saveexec_b32 s9, s5
	s_cbranch_execz .LBB40_8
; %bb.7:                                ;   in Loop: Header=BB40_2 Depth=1
	ds_load_b32 v24, v20
	s_waitcnt lgkmcnt(0)
	v_mov_b32_dpp v25, v24 row_shr:1 row_mask:0xf bank_mask:0xf
	s_delay_alu instid0(VALU_DEP_1) | instskip(NEXT) | instid1(VALU_DEP_1)
	v_cndmask_b32_e64 v25, v25, 0, s0
	v_add_nc_u32_e32 v24, v25, v24
	s_delay_alu instid0(VALU_DEP_1) | instskip(NEXT) | instid1(VALU_DEP_1)
	v_mov_b32_dpp v25, v24 row_shr:2 row_mask:0xf bank_mask:0xf
	v_cndmask_b32_e64 v25, 0, v25, s1
	s_delay_alu instid0(VALU_DEP_1) | instskip(NEXT) | instid1(VALU_DEP_1)
	v_add_nc_u32_e32 v24, v24, v25
	v_mov_b32_dpp v25, v24 row_shr:4 row_mask:0xf bank_mask:0xf
	s_delay_alu instid0(VALU_DEP_1) | instskip(NEXT) | instid1(VALU_DEP_1)
	v_cndmask_b32_e64 v25, 0, v25, s2
	v_add_nc_u32_e32 v24, v24, v25
	s_delay_alu instid0(VALU_DEP_1) | instskip(NEXT) | instid1(VALU_DEP_1)
	v_mov_b32_dpp v25, v24 row_shr:8 row_mask:0xf bank_mask:0xf
	v_cndmask_b32_e64 v25, 0, v25, s3
	s_delay_alu instid0(VALU_DEP_1)
	v_add_nc_u32_e32 v24, v24, v25
	ds_store_b32 v20, v24
.LBB40_8:                               ;   in Loop: Header=BB40_2 Depth=1
	s_or_b32 exec_lo, exec_lo, s9
	v_mov_b32_e32 v24, 0
	s_waitcnt lgkmcnt(0)
	s_barrier
	buffer_gl0_inv
	s_and_saveexec_b32 s9, s6
	s_cbranch_execz .LBB40_10
; %bb.9:                                ;   in Loop: Header=BB40_2 Depth=1
	ds_load_b32 v24, v17
.LBB40_10:                              ;   in Loop: Header=BB40_2 Depth=1
	s_or_b32 exec_lo, exec_lo, s9
	s_waitcnt lgkmcnt(0)
	v_add_nc_u32_e32 v3, v24, v3
	ds_bpermute_b32 v3, v16, v3
	s_waitcnt lgkmcnt(0)
	v_cndmask_b32_e32 v3, v3, v24, vcc_lo
	s_delay_alu instid0(VALU_DEP_1) | instskip(NEXT) | instid1(VALU_DEP_1)
	v_cndmask_b32_e64 v3, v3, 0, s7
	v_add_nc_u32_e32 v4, v3, v4
	s_delay_alu instid0(VALU_DEP_1) | instskip(NEXT) | instid1(VALU_DEP_1)
	v_add_nc_u32_e32 v5, v4, v5
	v_add_nc_u32_e32 v6, v5, v6
	s_delay_alu instid0(VALU_DEP_1) | instskip(NEXT) | instid1(VALU_DEP_1)
	v_add_nc_u32_e32 v24, v6, v7
	;; [unrolled: 3-line block ×3, first 2 shown]
	v_add_nc_u32_e32 v1, v0, v2
	ds_store_2addr_b64 v13, v[3:4], v[5:6] offset0:8 offset1:9
	ds_store_2addr_b64 v15, v[24:25], v[0:1] offset0:2 offset1:3
	s_waitcnt lgkmcnt(0)
	s_barrier
	buffer_gl0_inv
	ds_load_b32 v0, v23
	v_lshlrev_b32_e32 v1, 2, v22
	s_waitcnt lgkmcnt(0)
	s_barrier
	buffer_gl0_inv
	v_lshl_add_u32 v0, v0, 2, v1
	ds_store_b32 v0, v21
	s_waitcnt lgkmcnt(0)
	s_barrier
	buffer_gl0_inv
	ds_load_b32 v21, v18
	s_waitcnt lgkmcnt(0)
	s_barrier
	buffer_gl0_inv
	ds_store_2addr_b64 v13, v[11:12], v[9:10] offset0:8 offset1:9
	ds_store_2addr_b64 v15, v[11:12], v[9:10] offset0:2 offset1:3
	s_waitcnt lgkmcnt(0)
	s_barrier
	buffer_gl0_inv
	; wave barrier
	v_bfe_u32 v0, v21, 8, 1
	v_lshrrev_b32_e32 v1, 8, v21
	s_delay_alu instid0(VALU_DEP_2) | instskip(NEXT) | instid1(VALU_DEP_1)
	v_add_co_u32 v0, s9, v0, -1
	v_cndmask_b32_e64 v2, 0, 1, s9
	s_delay_alu instid0(VALU_DEP_3)
	v_lshlrev_b32_e32 v3, 30, v1
	v_lshlrev_b32_e32 v4, 29, v1
	;; [unrolled: 1-line block ×4, first 2 shown]
	v_cmp_ne_u32_e64 s9, 0, v2
	v_not_b32_e32 v2, v3
	v_cmp_gt_i32_e64 s10, 0, v3
	v_not_b32_e32 v3, v4
	v_lshlrev_b32_e32 v7, 26, v1
	v_xor_b32_e32 v0, s9, v0
	v_ashrrev_i32_e32 v2, 31, v2
	v_cmp_gt_i32_e64 s9, 0, v4
	v_not_b32_e32 v4, v5
	v_ashrrev_i32_e32 v3, 31, v3
	v_and_b32_e32 v0, exec_lo, v0
	v_xor_b32_e32 v2, s10, v2
	v_cmp_gt_i32_e64 s10, 0, v5
	v_not_b32_e32 v5, v6
	v_ashrrev_i32_e32 v4, 31, v4
	v_xor_b32_e32 v3, s9, v3
	v_and_b32_e32 v0, v0, v2
	v_lshlrev_b32_e32 v22, 25, v1
	v_cmp_gt_i32_e64 s9, 0, v6
	v_not_b32_e32 v2, v7
	v_ashrrev_i32_e32 v5, 31, v5
	v_xor_b32_e32 v4, s10, v4
	v_and_b32_e32 v0, v0, v3
	v_lshlrev_b32_e32 v1, 24, v1
	v_cmp_gt_i32_e64 s10, 0, v7
	v_not_b32_e32 v3, v22
	v_ashrrev_i32_e32 v2, 31, v2
	v_xor_b32_e32 v5, s9, v5
	v_and_b32_e32 v0, v0, v4
	v_cmp_gt_i32_e64 s9, 0, v22
	v_not_b32_e32 v4, v1
	v_ashrrev_i32_e32 v3, 31, v3
	v_xor_b32_e32 v2, s10, v2
	v_and_b32_e32 v0, v0, v5
	v_cmp_gt_i32_e64 s10, 0, v1
	v_ashrrev_i32_e32 v1, 31, v4
	v_xor_b32_e32 v3, s9, v3
	s_delay_alu instid0(VALU_DEP_4) | instskip(SKIP_1) | instid1(VALU_DEP_4)
	v_and_b32_e32 v0, v0, v2
	v_lshrrev_b32_e32 v2, 4, v21
	v_xor_b32_e32 v1, s10, v1
	s_delay_alu instid0(VALU_DEP_3) | instskip(NEXT) | instid1(VALU_DEP_1)
	v_and_b32_e32 v0, v0, v3
	v_and_b32_e32 v0, v0, v1
	s_delay_alu instid0(VALU_DEP_4) | instskip(NEXT) | instid1(VALU_DEP_2)
	v_and_b32_e32 v1, 0xff0, v2
	v_mbcnt_lo_u32_b32 v22, v0, 0
	s_delay_alu instid0(VALU_DEP_2) | instskip(SKIP_1) | instid1(VALU_DEP_3)
	v_add_nc_u32_e32 v1, v1, v19
	v_cmp_ne_u32_e64 s10, 0, v0
	v_cmp_eq_u32_e64 s9, 0, v22
	s_delay_alu instid0(VALU_DEP_3) | instskip(NEXT) | instid1(VALU_DEP_2)
	v_lshl_add_u32 v23, v1, 2, 64
	s_and_b32 s10, s10, s9
	s_delay_alu instid0(SALU_CYCLE_1)
	s_and_saveexec_b32 s9, s10
	s_cbranch_execz .LBB40_12
; %bb.11:                               ;   in Loop: Header=BB40_2 Depth=1
	v_bcnt_u32_b32 v0, v0, 0
	ds_store_b32 v23, v0
.LBB40_12:                              ;   in Loop: Header=BB40_2 Depth=1
	s_or_b32 exec_lo, exec_lo, s9
	; wave barrier
	s_waitcnt lgkmcnt(0)
	s_barrier
	buffer_gl0_inv
	ds_load_2addr_b64 v[4:7], v13 offset0:8 offset1:9
	ds_load_2addr_b64 v[0:3], v15 offset0:2 offset1:3
	s_waitcnt lgkmcnt(1)
	v_add_nc_u32_e32 v24, v5, v4
	s_delay_alu instid0(VALU_DEP_1) | instskip(SKIP_1) | instid1(VALU_DEP_1)
	v_add3_u32 v24, v24, v6, v7
	s_waitcnt lgkmcnt(0)
	v_add3_u32 v24, v24, v0, v1
	s_delay_alu instid0(VALU_DEP_1) | instskip(NEXT) | instid1(VALU_DEP_1)
	v_add3_u32 v3, v24, v2, v3
	v_mov_b32_dpp v24, v3 row_shr:1 row_mask:0xf bank_mask:0xf
	s_delay_alu instid0(VALU_DEP_1) | instskip(NEXT) | instid1(VALU_DEP_1)
	v_cndmask_b32_e64 v24, v24, 0, s0
	v_add_nc_u32_e32 v3, v24, v3
	s_delay_alu instid0(VALU_DEP_1) | instskip(NEXT) | instid1(VALU_DEP_1)
	v_mov_b32_dpp v24, v3 row_shr:2 row_mask:0xf bank_mask:0xf
	v_cndmask_b32_e64 v24, 0, v24, s1
	s_delay_alu instid0(VALU_DEP_1) | instskip(NEXT) | instid1(VALU_DEP_1)
	v_add_nc_u32_e32 v3, v3, v24
	v_mov_b32_dpp v24, v3 row_shr:4 row_mask:0xf bank_mask:0xf
	s_delay_alu instid0(VALU_DEP_1) | instskip(NEXT) | instid1(VALU_DEP_1)
	v_cndmask_b32_e64 v24, 0, v24, s2
	v_add_nc_u32_e32 v3, v3, v24
	s_delay_alu instid0(VALU_DEP_1) | instskip(NEXT) | instid1(VALU_DEP_1)
	v_mov_b32_dpp v24, v3 row_shr:8 row_mask:0xf bank_mask:0xf
	v_cndmask_b32_e64 v24, 0, v24, s3
	s_delay_alu instid0(VALU_DEP_1) | instskip(SKIP_3) | instid1(VALU_DEP_1)
	v_add_nc_u32_e32 v3, v3, v24
	ds_swizzle_b32 v24, v3 offset:swizzle(BROADCAST,32,15)
	s_waitcnt lgkmcnt(0)
	v_cndmask_b32_e64 v24, v24, 0, s4
	v_add_nc_u32_e32 v3, v3, v24
	s_and_saveexec_b32 s9, s8
	s_cbranch_execz .LBB40_14
; %bb.13:                               ;   in Loop: Header=BB40_2 Depth=1
	ds_store_b32 v14, v3
.LBB40_14:                              ;   in Loop: Header=BB40_2 Depth=1
	s_or_b32 exec_lo, exec_lo, s9
	s_waitcnt lgkmcnt(0)
	s_barrier
	buffer_gl0_inv
	s_and_saveexec_b32 s9, s5
	s_cbranch_execz .LBB40_16
; %bb.15:                               ;   in Loop: Header=BB40_2 Depth=1
	ds_load_b32 v24, v20
	s_waitcnt lgkmcnt(0)
	v_mov_b32_dpp v25, v24 row_shr:1 row_mask:0xf bank_mask:0xf
	s_delay_alu instid0(VALU_DEP_1) | instskip(NEXT) | instid1(VALU_DEP_1)
	v_cndmask_b32_e64 v25, v25, 0, s0
	v_add_nc_u32_e32 v24, v25, v24
	s_delay_alu instid0(VALU_DEP_1) | instskip(NEXT) | instid1(VALU_DEP_1)
	v_mov_b32_dpp v25, v24 row_shr:2 row_mask:0xf bank_mask:0xf
	v_cndmask_b32_e64 v25, 0, v25, s1
	s_delay_alu instid0(VALU_DEP_1) | instskip(NEXT) | instid1(VALU_DEP_1)
	v_add_nc_u32_e32 v24, v24, v25
	v_mov_b32_dpp v25, v24 row_shr:4 row_mask:0xf bank_mask:0xf
	s_delay_alu instid0(VALU_DEP_1) | instskip(NEXT) | instid1(VALU_DEP_1)
	v_cndmask_b32_e64 v25, 0, v25, s2
	v_add_nc_u32_e32 v24, v24, v25
	s_delay_alu instid0(VALU_DEP_1) | instskip(NEXT) | instid1(VALU_DEP_1)
	v_mov_b32_dpp v25, v24 row_shr:8 row_mask:0xf bank_mask:0xf
	v_cndmask_b32_e64 v25, 0, v25, s3
	s_delay_alu instid0(VALU_DEP_1)
	v_add_nc_u32_e32 v24, v24, v25
	ds_store_b32 v20, v24
.LBB40_16:                              ;   in Loop: Header=BB40_2 Depth=1
	s_or_b32 exec_lo, exec_lo, s9
	v_mov_b32_e32 v24, 0
	s_waitcnt lgkmcnt(0)
	s_barrier
	buffer_gl0_inv
	s_and_saveexec_b32 s9, s6
	s_cbranch_execz .LBB40_18
; %bb.17:                               ;   in Loop: Header=BB40_2 Depth=1
	ds_load_b32 v24, v17
.LBB40_18:                              ;   in Loop: Header=BB40_2 Depth=1
	s_or_b32 exec_lo, exec_lo, s9
	s_waitcnt lgkmcnt(0)
	v_add_nc_u32_e32 v3, v24, v3
	ds_bpermute_b32 v3, v16, v3
	s_waitcnt lgkmcnt(0)
	v_cndmask_b32_e32 v3, v3, v24, vcc_lo
	s_delay_alu instid0(VALU_DEP_1) | instskip(NEXT) | instid1(VALU_DEP_1)
	v_cndmask_b32_e64 v3, v3, 0, s7
	v_add_nc_u32_e32 v4, v3, v4
	s_delay_alu instid0(VALU_DEP_1) | instskip(NEXT) | instid1(VALU_DEP_1)
	v_add_nc_u32_e32 v5, v4, v5
	v_add_nc_u32_e32 v6, v5, v6
	s_delay_alu instid0(VALU_DEP_1) | instskip(NEXT) | instid1(VALU_DEP_1)
	v_add_nc_u32_e32 v24, v6, v7
	v_add_nc_u32_e32 v25, v24, v0
	s_delay_alu instid0(VALU_DEP_1) | instskip(NEXT) | instid1(VALU_DEP_1)
	v_add_nc_u32_e32 v0, v25, v1
	v_add_nc_u32_e32 v1, v0, v2
	ds_store_2addr_b64 v13, v[3:4], v[5:6] offset0:8 offset1:9
	ds_store_2addr_b64 v15, v[24:25], v[0:1] offset0:2 offset1:3
	s_waitcnt lgkmcnt(0)
	s_barrier
	buffer_gl0_inv
	ds_load_b32 v0, v23
	v_lshlrev_b32_e32 v1, 2, v22
	s_waitcnt lgkmcnt(0)
	s_barrier
	buffer_gl0_inv
	v_lshl_add_u32 v0, v0, 2, v1
	ds_store_b32 v0, v21
	s_waitcnt lgkmcnt(0)
	s_barrier
	buffer_gl0_inv
	ds_load_b32 v21, v18
	s_waitcnt lgkmcnt(0)
	s_barrier
	buffer_gl0_inv
	v_bfe_u32 v0, v21, 16, 1
	v_lshrrev_b32_e32 v1, 16, v21
	s_delay_alu instid0(VALU_DEP_2) | instskip(NEXT) | instid1(VALU_DEP_1)
	v_add_co_u32 v0, s9, v0, -1
	v_cndmask_b32_e64 v2, 0, 1, s9
	s_delay_alu instid0(VALU_DEP_3)
	v_lshlrev_b32_e32 v3, 30, v1
	v_lshlrev_b32_e32 v4, 29, v1
	;; [unrolled: 1-line block ×4, first 2 shown]
	v_cmp_ne_u32_e64 s9, 0, v2
	v_not_b32_e32 v2, v3
	v_cmp_gt_i32_e64 s10, 0, v3
	v_not_b32_e32 v3, v4
	v_lshlrev_b32_e32 v7, 26, v1
	v_xor_b32_e32 v0, s9, v0
	v_ashrrev_i32_e32 v2, 31, v2
	v_cmp_gt_i32_e64 s9, 0, v4
	v_not_b32_e32 v4, v5
	v_ashrrev_i32_e32 v3, 31, v3
	v_and_b32_e32 v0, exec_lo, v0
	v_xor_b32_e32 v2, s10, v2
	v_cmp_gt_i32_e64 s10, 0, v5
	v_not_b32_e32 v5, v6
	v_ashrrev_i32_e32 v4, 31, v4
	v_xor_b32_e32 v3, s9, v3
	v_and_b32_e32 v0, v0, v2
	v_lshlrev_b32_e32 v22, 25, v1
	v_cmp_gt_i32_e64 s9, 0, v6
	v_not_b32_e32 v2, v7
	v_ashrrev_i32_e32 v5, 31, v5
	v_xor_b32_e32 v4, s10, v4
	v_and_b32_e32 v0, v0, v3
	v_lshlrev_b32_e32 v1, 24, v1
	v_cmp_gt_i32_e64 s10, 0, v7
	v_not_b32_e32 v3, v22
	v_ashrrev_i32_e32 v2, 31, v2
	v_xor_b32_e32 v5, s9, v5
	v_and_b32_e32 v0, v0, v4
	v_cmp_gt_i32_e64 s9, 0, v22
	v_not_b32_e32 v4, v1
	v_ashrrev_i32_e32 v3, 31, v3
	v_xor_b32_e32 v2, s10, v2
	v_and_b32_e32 v0, v0, v5
	v_cmp_gt_i32_e64 s10, 0, v1
	v_ashrrev_i32_e32 v1, 31, v4
	v_xor_b32_e32 v3, s9, v3
	v_lshrrev_b32_e32 v6, 12, v21
	v_and_b32_e32 v0, v0, v2
	s_delay_alu instid0(VALU_DEP_4) | instskip(SKIP_1) | instid1(VALU_DEP_3)
	v_xor_b32_e32 v5, s10, v1
	v_dual_mov_b32 v1, s20 :: v_dual_mov_b32 v2, s21
	v_dual_mov_b32 v3, s14 :: v_dual_and_b32 v0, v0, v3
	v_mov_b32_e32 v4, s15
	ds_store_2addr_b64 v13, v[1:2], v[3:4] offset0:8 offset1:9
	ds_store_2addr_b64 v15, v[1:2], v[3:4] offset0:2 offset1:3
	v_and_b32_e32 v0, v0, v5
	v_and_b32_e32 v5, 0xff0, v6
	s_waitcnt lgkmcnt(0)
	s_barrier
	buffer_gl0_inv
	v_mbcnt_lo_u32_b32 v22, v0, 0
	v_add_nc_u32_e32 v1, v5, v19
	v_cmp_ne_u32_e64 s10, 0, v0
	; wave barrier
	s_delay_alu instid0(VALU_DEP_3) | instskip(NEXT) | instid1(VALU_DEP_3)
	v_cmp_eq_u32_e64 s9, 0, v22
	v_lshl_add_u32 v23, v1, 2, 64
	s_delay_alu instid0(VALU_DEP_2) | instskip(NEXT) | instid1(SALU_CYCLE_1)
	s_and_b32 s10, s10, s9
	s_and_saveexec_b32 s9, s10
	s_cbranch_execz .LBB40_20
; %bb.19:                               ;   in Loop: Header=BB40_2 Depth=1
	v_bcnt_u32_b32 v0, v0, 0
	ds_store_b32 v23, v0
.LBB40_20:                              ;   in Loop: Header=BB40_2 Depth=1
	s_or_b32 exec_lo, exec_lo, s9
	; wave barrier
	s_waitcnt lgkmcnt(0)
	s_barrier
	buffer_gl0_inv
	ds_load_2addr_b64 v[4:7], v13 offset0:8 offset1:9
	ds_load_2addr_b64 v[0:3], v15 offset0:2 offset1:3
	s_waitcnt lgkmcnt(1)
	v_add_nc_u32_e32 v24, v5, v4
	s_delay_alu instid0(VALU_DEP_1) | instskip(SKIP_1) | instid1(VALU_DEP_1)
	v_add3_u32 v24, v24, v6, v7
	s_waitcnt lgkmcnt(0)
	v_add3_u32 v24, v24, v0, v1
	s_delay_alu instid0(VALU_DEP_1) | instskip(NEXT) | instid1(VALU_DEP_1)
	v_add3_u32 v3, v24, v2, v3
	v_mov_b32_dpp v24, v3 row_shr:1 row_mask:0xf bank_mask:0xf
	s_delay_alu instid0(VALU_DEP_1) | instskip(NEXT) | instid1(VALU_DEP_1)
	v_cndmask_b32_e64 v24, v24, 0, s0
	v_add_nc_u32_e32 v3, v24, v3
	s_delay_alu instid0(VALU_DEP_1) | instskip(NEXT) | instid1(VALU_DEP_1)
	v_mov_b32_dpp v24, v3 row_shr:2 row_mask:0xf bank_mask:0xf
	v_cndmask_b32_e64 v24, 0, v24, s1
	s_delay_alu instid0(VALU_DEP_1) | instskip(NEXT) | instid1(VALU_DEP_1)
	v_add_nc_u32_e32 v3, v3, v24
	v_mov_b32_dpp v24, v3 row_shr:4 row_mask:0xf bank_mask:0xf
	s_delay_alu instid0(VALU_DEP_1) | instskip(NEXT) | instid1(VALU_DEP_1)
	v_cndmask_b32_e64 v24, 0, v24, s2
	v_add_nc_u32_e32 v3, v3, v24
	s_delay_alu instid0(VALU_DEP_1) | instskip(NEXT) | instid1(VALU_DEP_1)
	v_mov_b32_dpp v24, v3 row_shr:8 row_mask:0xf bank_mask:0xf
	v_cndmask_b32_e64 v24, 0, v24, s3
	s_delay_alu instid0(VALU_DEP_1) | instskip(SKIP_3) | instid1(VALU_DEP_1)
	v_add_nc_u32_e32 v3, v3, v24
	ds_swizzle_b32 v24, v3 offset:swizzle(BROADCAST,32,15)
	s_waitcnt lgkmcnt(0)
	v_cndmask_b32_e64 v24, v24, 0, s4
	v_add_nc_u32_e32 v3, v3, v24
	s_and_saveexec_b32 s9, s8
	s_cbranch_execz .LBB40_22
; %bb.21:                               ;   in Loop: Header=BB40_2 Depth=1
	ds_store_b32 v14, v3
.LBB40_22:                              ;   in Loop: Header=BB40_2 Depth=1
	s_or_b32 exec_lo, exec_lo, s9
	s_waitcnt lgkmcnt(0)
	s_barrier
	buffer_gl0_inv
	s_and_saveexec_b32 s9, s5
	s_cbranch_execz .LBB40_24
; %bb.23:                               ;   in Loop: Header=BB40_2 Depth=1
	ds_load_b32 v24, v20
	s_waitcnt lgkmcnt(0)
	v_mov_b32_dpp v25, v24 row_shr:1 row_mask:0xf bank_mask:0xf
	s_delay_alu instid0(VALU_DEP_1) | instskip(NEXT) | instid1(VALU_DEP_1)
	v_cndmask_b32_e64 v25, v25, 0, s0
	v_add_nc_u32_e32 v24, v25, v24
	s_delay_alu instid0(VALU_DEP_1) | instskip(NEXT) | instid1(VALU_DEP_1)
	v_mov_b32_dpp v25, v24 row_shr:2 row_mask:0xf bank_mask:0xf
	v_cndmask_b32_e64 v25, 0, v25, s1
	s_delay_alu instid0(VALU_DEP_1) | instskip(NEXT) | instid1(VALU_DEP_1)
	v_add_nc_u32_e32 v24, v24, v25
	v_mov_b32_dpp v25, v24 row_shr:4 row_mask:0xf bank_mask:0xf
	s_delay_alu instid0(VALU_DEP_1) | instskip(NEXT) | instid1(VALU_DEP_1)
	v_cndmask_b32_e64 v25, 0, v25, s2
	v_add_nc_u32_e32 v24, v24, v25
	s_delay_alu instid0(VALU_DEP_1) | instskip(NEXT) | instid1(VALU_DEP_1)
	v_mov_b32_dpp v25, v24 row_shr:8 row_mask:0xf bank_mask:0xf
	v_cndmask_b32_e64 v25, 0, v25, s3
	s_delay_alu instid0(VALU_DEP_1)
	v_add_nc_u32_e32 v24, v24, v25
	ds_store_b32 v20, v24
.LBB40_24:                              ;   in Loop: Header=BB40_2 Depth=1
	s_or_b32 exec_lo, exec_lo, s9
	v_mov_b32_e32 v24, 0
	s_waitcnt lgkmcnt(0)
	s_barrier
	buffer_gl0_inv
	s_and_saveexec_b32 s9, s6
	s_cbranch_execz .LBB40_26
; %bb.25:                               ;   in Loop: Header=BB40_2 Depth=1
	ds_load_b32 v24, v17
.LBB40_26:                              ;   in Loop: Header=BB40_2 Depth=1
	s_or_b32 exec_lo, exec_lo, s9
	s_waitcnt lgkmcnt(0)
	v_add_nc_u32_e32 v3, v24, v3
	ds_bpermute_b32 v3, v16, v3
	s_waitcnt lgkmcnt(0)
	v_cndmask_b32_e32 v3, v3, v24, vcc_lo
	s_delay_alu instid0(VALU_DEP_1) | instskip(NEXT) | instid1(VALU_DEP_1)
	v_cndmask_b32_e64 v3, v3, 0, s7
	v_add_nc_u32_e32 v4, v3, v4
	s_delay_alu instid0(VALU_DEP_1) | instskip(NEXT) | instid1(VALU_DEP_1)
	v_add_nc_u32_e32 v5, v4, v5
	v_add_nc_u32_e32 v6, v5, v6
	s_delay_alu instid0(VALU_DEP_1) | instskip(NEXT) | instid1(VALU_DEP_1)
	v_add_nc_u32_e32 v24, v6, v7
	;; [unrolled: 3-line block ×3, first 2 shown]
	v_add_nc_u32_e32 v1, v0, v2
	ds_store_2addr_b64 v13, v[3:4], v[5:6] offset0:8 offset1:9
	ds_store_2addr_b64 v15, v[24:25], v[0:1] offset0:2 offset1:3
	s_waitcnt lgkmcnt(0)
	s_barrier
	buffer_gl0_inv
	ds_load_b32 v0, v23
	v_lshlrev_b32_e32 v1, 2, v22
	s_waitcnt lgkmcnt(0)
	s_barrier
	buffer_gl0_inv
	v_lshl_add_u32 v0, v0, 2, v1
	ds_store_b32 v0, v21
	s_waitcnt lgkmcnt(0)
	s_barrier
	buffer_gl0_inv
	ds_load_b32 v21, v18
	s_waitcnt lgkmcnt(0)
	s_barrier
	buffer_gl0_inv
	v_bfe_u32 v0, v21, 24, 1
	v_lshrrev_b32_e32 v5, 24, v21
	s_delay_alu instid0(VALU_DEP_2) | instskip(NEXT) | instid1(VALU_DEP_1)
	v_add_co_u32 v0, s9, v0, -1
	v_cndmask_b32_e64 v1, 0, 1, s9
	s_delay_alu instid0(VALU_DEP_3)
	v_lshlrev_b32_e32 v2, 30, v5
	v_lshlrev_b32_e32 v3, 29, v5
	;; [unrolled: 1-line block ×4, first 2 shown]
	v_cmp_ne_u32_e64 s9, 0, v1
	v_not_b32_e32 v1, v2
	v_cmp_gt_i32_e64 s10, 0, v2
	v_not_b32_e32 v2, v3
	v_lshlrev_b32_e32 v7, 26, v5
	v_xor_b32_e32 v0, s9, v0
	v_ashrrev_i32_e32 v1, 31, v1
	v_cmp_gt_i32_e64 s9, 0, v3
	v_not_b32_e32 v3, v4
	v_ashrrev_i32_e32 v2, 31, v2
	v_and_b32_e32 v0, exec_lo, v0
	v_xor_b32_e32 v1, s10, v1
	v_cmp_gt_i32_e64 s10, 0, v4
	v_not_b32_e32 v4, v6
	v_ashrrev_i32_e32 v3, 31, v3
	v_xor_b32_e32 v2, s9, v2
	v_and_b32_e32 v0, v0, v1
	v_lshlrev_b32_e32 v22, 25, v5
	v_cmp_gt_i32_e64 s9, 0, v6
	v_not_b32_e32 v1, v7
	v_ashrrev_i32_e32 v4, 31, v4
	v_xor_b32_e32 v3, s10, v3
	v_and_b32_e32 v0, v0, v2
	v_cmp_gt_i32_e64 s10, 0, v7
	v_not_b32_e32 v2, v22
	v_ashrrev_i32_e32 v1, 31, v1
	v_xor_b32_e32 v4, s9, v4
	v_and_b32_e32 v0, v0, v3
	v_not_b32_e32 v3, v21
	v_cmp_gt_i32_e64 s9, 0, v22
	v_ashrrev_i32_e32 v2, 31, v2
	v_xor_b32_e32 v1, s10, v1
	v_and_b32_e32 v0, v0, v4
	v_cmp_gt_i32_e64 s10, 0, v21
	v_ashrrev_i32_e32 v3, 31, v3
	v_xor_b32_e32 v2, s9, v2
	s_delay_alu instid0(VALU_DEP_4) | instskip(NEXT) | instid1(VALU_DEP_3)
	v_and_b32_e32 v0, v0, v1
	v_xor_b32_e32 v3, s10, v3
	s_delay_alu instid0(VALU_DEP_2) | instskip(SKIP_1) | instid1(VALU_DEP_2)
	v_dual_mov_b32 v1, s20 :: v_dual_and_b32 v0, v0, v2
	v_mov_b32_e32 v2, s21
	v_dual_mov_b32 v3, s14 :: v_dual_and_b32 v0, v0, v3
	v_mov_b32_e32 v4, s15
	ds_store_2addr_b64 v13, v[1:2], v[3:4] offset0:8 offset1:9
	ds_store_2addr_b64 v15, v[1:2], v[3:4] offset0:2 offset1:3
	v_mbcnt_lo_u32_b32 v22, v0, 0
	v_lshl_add_u32 v1, v5, 4, v19
	v_cmp_ne_u32_e64 s10, 0, v0
	s_waitcnt lgkmcnt(0)
	s_barrier
	v_cmp_eq_u32_e64 s9, 0, v22
	v_lshl_add_u32 v23, v1, 2, 64
	buffer_gl0_inv
	; wave barrier
	s_and_b32 s10, s10, s9
	s_delay_alu instid0(SALU_CYCLE_1)
	s_and_saveexec_b32 s9, s10
	s_cbranch_execz .LBB40_28
; %bb.27:                               ;   in Loop: Header=BB40_2 Depth=1
	v_bcnt_u32_b32 v0, v0, 0
	ds_store_b32 v23, v0
.LBB40_28:                              ;   in Loop: Header=BB40_2 Depth=1
	s_or_b32 exec_lo, exec_lo, s9
	; wave barrier
	s_waitcnt lgkmcnt(0)
	s_barrier
	buffer_gl0_inv
	ds_load_2addr_b64 v[4:7], v13 offset0:8 offset1:9
	ds_load_2addr_b64 v[0:3], v15 offset0:2 offset1:3
	s_waitcnt lgkmcnt(1)
	v_add_nc_u32_e32 v24, v5, v4
	s_delay_alu instid0(VALU_DEP_1) | instskip(SKIP_1) | instid1(VALU_DEP_1)
	v_add3_u32 v24, v24, v6, v7
	s_waitcnt lgkmcnt(0)
	v_add3_u32 v24, v24, v0, v1
	s_delay_alu instid0(VALU_DEP_1) | instskip(NEXT) | instid1(VALU_DEP_1)
	v_add3_u32 v3, v24, v2, v3
	v_mov_b32_dpp v24, v3 row_shr:1 row_mask:0xf bank_mask:0xf
	s_delay_alu instid0(VALU_DEP_1) | instskip(NEXT) | instid1(VALU_DEP_1)
	v_cndmask_b32_e64 v24, v24, 0, s0
	v_add_nc_u32_e32 v3, v24, v3
	s_delay_alu instid0(VALU_DEP_1) | instskip(NEXT) | instid1(VALU_DEP_1)
	v_mov_b32_dpp v24, v3 row_shr:2 row_mask:0xf bank_mask:0xf
	v_cndmask_b32_e64 v24, 0, v24, s1
	s_delay_alu instid0(VALU_DEP_1) | instskip(NEXT) | instid1(VALU_DEP_1)
	v_add_nc_u32_e32 v3, v3, v24
	v_mov_b32_dpp v24, v3 row_shr:4 row_mask:0xf bank_mask:0xf
	s_delay_alu instid0(VALU_DEP_1) | instskip(NEXT) | instid1(VALU_DEP_1)
	v_cndmask_b32_e64 v24, 0, v24, s2
	v_add_nc_u32_e32 v3, v3, v24
	s_delay_alu instid0(VALU_DEP_1) | instskip(NEXT) | instid1(VALU_DEP_1)
	v_mov_b32_dpp v24, v3 row_shr:8 row_mask:0xf bank_mask:0xf
	v_cndmask_b32_e64 v24, 0, v24, s3
	s_delay_alu instid0(VALU_DEP_1) | instskip(SKIP_3) | instid1(VALU_DEP_1)
	v_add_nc_u32_e32 v3, v3, v24
	ds_swizzle_b32 v24, v3 offset:swizzle(BROADCAST,32,15)
	s_waitcnt lgkmcnt(0)
	v_cndmask_b32_e64 v24, v24, 0, s4
	v_add_nc_u32_e32 v3, v3, v24
	s_and_saveexec_b32 s9, s8
	s_cbranch_execz .LBB40_30
; %bb.29:                               ;   in Loop: Header=BB40_2 Depth=1
	ds_store_b32 v14, v3
.LBB40_30:                              ;   in Loop: Header=BB40_2 Depth=1
	s_or_b32 exec_lo, exec_lo, s9
	s_waitcnt lgkmcnt(0)
	s_barrier
	buffer_gl0_inv
	s_and_saveexec_b32 s9, s5
	s_cbranch_execz .LBB40_32
; %bb.31:                               ;   in Loop: Header=BB40_2 Depth=1
	ds_load_b32 v24, v20
	s_waitcnt lgkmcnt(0)
	v_mov_b32_dpp v25, v24 row_shr:1 row_mask:0xf bank_mask:0xf
	s_delay_alu instid0(VALU_DEP_1) | instskip(NEXT) | instid1(VALU_DEP_1)
	v_cndmask_b32_e64 v25, v25, 0, s0
	v_add_nc_u32_e32 v24, v25, v24
	s_delay_alu instid0(VALU_DEP_1) | instskip(NEXT) | instid1(VALU_DEP_1)
	v_mov_b32_dpp v25, v24 row_shr:2 row_mask:0xf bank_mask:0xf
	v_cndmask_b32_e64 v25, 0, v25, s1
	s_delay_alu instid0(VALU_DEP_1) | instskip(NEXT) | instid1(VALU_DEP_1)
	v_add_nc_u32_e32 v24, v24, v25
	v_mov_b32_dpp v25, v24 row_shr:4 row_mask:0xf bank_mask:0xf
	s_delay_alu instid0(VALU_DEP_1) | instskip(NEXT) | instid1(VALU_DEP_1)
	v_cndmask_b32_e64 v25, 0, v25, s2
	v_add_nc_u32_e32 v24, v24, v25
	s_delay_alu instid0(VALU_DEP_1) | instskip(NEXT) | instid1(VALU_DEP_1)
	v_mov_b32_dpp v25, v24 row_shr:8 row_mask:0xf bank_mask:0xf
	v_cndmask_b32_e64 v25, 0, v25, s3
	s_delay_alu instid0(VALU_DEP_1)
	v_add_nc_u32_e32 v24, v24, v25
	ds_store_b32 v20, v24
.LBB40_32:                              ;   in Loop: Header=BB40_2 Depth=1
	s_or_b32 exec_lo, exec_lo, s9
	v_mov_b32_e32 v24, 0
	s_waitcnt lgkmcnt(0)
	s_barrier
	buffer_gl0_inv
	s_and_saveexec_b32 s9, s6
	s_cbranch_execz .LBB40_1
; %bb.33:                               ;   in Loop: Header=BB40_2 Depth=1
	ds_load_b32 v24, v17
	s_branch .LBB40_1
.LBB40_34:
	s_waitcnt lgkmcnt(0)
	v_xor_b32_e32 v0, 0x80000000, v21
	v_lshlrev_b32_e32 v1, 2, v8
	s_add_u32 s0, s18, s12
	s_addc_u32 s1, s19, s13
	global_store_b32 v1, v0, s[0:1]
	s_nop 0
	s_sendmsg sendmsg(MSG_DEALLOC_VGPRS)
	s_endpgm
	.section	.rodata,"a",@progbits
	.p2align	6, 0x0
	.amdhsa_kernel _Z16sort_keys_kernelI22helper_blocked_blockediLj512ELj1ELj10EEvPKT0_PS1_
		.amdhsa_group_segment_fixed_size 16448
		.amdhsa_private_segment_fixed_size 0
		.amdhsa_kernarg_size 272
		.amdhsa_user_sgpr_count 15
		.amdhsa_user_sgpr_dispatch_ptr 0
		.amdhsa_user_sgpr_queue_ptr 0
		.amdhsa_user_sgpr_kernarg_segment_ptr 1
		.amdhsa_user_sgpr_dispatch_id 0
		.amdhsa_user_sgpr_private_segment_size 0
		.amdhsa_wavefront_size32 1
		.amdhsa_uses_dynamic_stack 0
		.amdhsa_enable_private_segment 0
		.amdhsa_system_sgpr_workgroup_id_x 1
		.amdhsa_system_sgpr_workgroup_id_y 0
		.amdhsa_system_sgpr_workgroup_id_z 0
		.amdhsa_system_sgpr_workgroup_info 0
		.amdhsa_system_vgpr_workitem_id 2
		.amdhsa_next_free_vgpr 26
		.amdhsa_next_free_sgpr 22
		.amdhsa_reserve_vcc 1
		.amdhsa_float_round_mode_32 0
		.amdhsa_float_round_mode_16_64 0
		.amdhsa_float_denorm_mode_32 3
		.amdhsa_float_denorm_mode_16_64 3
		.amdhsa_dx10_clamp 1
		.amdhsa_ieee_mode 1
		.amdhsa_fp16_overflow 0
		.amdhsa_workgroup_processor_mode 1
		.amdhsa_memory_ordered 1
		.amdhsa_forward_progress 0
		.amdhsa_shared_vgpr_count 0
		.amdhsa_exception_fp_ieee_invalid_op 0
		.amdhsa_exception_fp_denorm_src 0
		.amdhsa_exception_fp_ieee_div_zero 0
		.amdhsa_exception_fp_ieee_overflow 0
		.amdhsa_exception_fp_ieee_underflow 0
		.amdhsa_exception_fp_ieee_inexact 0
		.amdhsa_exception_int_div_zero 0
	.end_amdhsa_kernel
	.section	.text._Z16sort_keys_kernelI22helper_blocked_blockediLj512ELj1ELj10EEvPKT0_PS1_,"axG",@progbits,_Z16sort_keys_kernelI22helper_blocked_blockediLj512ELj1ELj10EEvPKT0_PS1_,comdat
.Lfunc_end40:
	.size	_Z16sort_keys_kernelI22helper_blocked_blockediLj512ELj1ELj10EEvPKT0_PS1_, .Lfunc_end40-_Z16sort_keys_kernelI22helper_blocked_blockediLj512ELj1ELj10EEvPKT0_PS1_
                                        ; -- End function
	.section	.AMDGPU.csdata,"",@progbits
; Kernel info:
; codeLenInByte = 4332
; NumSgprs: 24
; NumVgprs: 26
; ScratchSize: 0
; MemoryBound: 0
; FloatMode: 240
; IeeeMode: 1
; LDSByteSize: 16448 bytes/workgroup (compile time only)
; SGPRBlocks: 2
; VGPRBlocks: 3
; NumSGPRsForWavesPerEU: 24
; NumVGPRsForWavesPerEU: 26
; Occupancy: 16
; WaveLimiterHint : 0
; COMPUTE_PGM_RSRC2:SCRATCH_EN: 0
; COMPUTE_PGM_RSRC2:USER_SGPR: 15
; COMPUTE_PGM_RSRC2:TRAP_HANDLER: 0
; COMPUTE_PGM_RSRC2:TGID_X_EN: 1
; COMPUTE_PGM_RSRC2:TGID_Y_EN: 0
; COMPUTE_PGM_RSRC2:TGID_Z_EN: 0
; COMPUTE_PGM_RSRC2:TIDIG_COMP_CNT: 2
	.section	.text._Z17sort_pairs_kernelI22helper_blocked_blockediLj512ELj1ELj10EEvPKT0_PS1_,"axG",@progbits,_Z17sort_pairs_kernelI22helper_blocked_blockediLj512ELj1ELj10EEvPKT0_PS1_,comdat
	.protected	_Z17sort_pairs_kernelI22helper_blocked_blockediLj512ELj1ELj10EEvPKT0_PS1_ ; -- Begin function _Z17sort_pairs_kernelI22helper_blocked_blockediLj512ELj1ELj10EEvPKT0_PS1_
	.globl	_Z17sort_pairs_kernelI22helper_blocked_blockediLj512ELj1ELj10EEvPKT0_PS1_
	.p2align	8
	.type	_Z17sort_pairs_kernelI22helper_blocked_blockediLj512ELj1ELj10EEvPKT0_PS1_,@function
_Z17sort_pairs_kernelI22helper_blocked_blockediLj512ELj1ELj10EEvPKT0_PS1_: ; @_Z17sort_pairs_kernelI22helper_blocked_blockediLj512ELj1ELj10EEvPKT0_PS1_
; %bb.0:
	s_clause 0x1
	s_load_b128 s[16:19], s[0:1], 0x0
	s_load_b32 s8, s[0:1], 0x1c
	s_mov_b32 s21, 0
	s_lshl_b32 s20, s15, 9
	s_mov_b32 s14, s21
	s_mov_b32 s15, s21
	v_dual_mov_b32 v9, s14 :: v_dual_and_b32 v8, 0x3ff, v0
	s_lshl_b64 s[12:13], s[20:21], 2
	v_mov_b32_e32 v10, s15
	v_mbcnt_lo_u32_b32 v3, -1, 0
	s_delay_alu instid0(VALU_DEP_3) | instskip(SKIP_2) | instid1(VALU_DEP_3)
	v_lshlrev_b32_e32 v1, 2, v8
	s_mov_b32 s20, s21
	v_lshlrev_b32_e32 v13, 5, v8
	v_dual_mov_b32 v11, s20 :: v_dual_add_nc_u32 v6, -1, v3
	v_and_b32_e32 v4, 15, v3
	v_dual_mov_b32 v12, s21 :: v_dual_and_b32 v5, 16, v3
	v_mul_i32_i24_e32 v20, 0xffffffe4, v8
	s_waitcnt lgkmcnt(0)
	s_add_u32 s0, s16, s12
	s_addc_u32 s1, s17, s13
	v_cmp_gt_i32_e64 s7, 0, v6
	global_load_b32 v2, v1, s[0:1]
	v_bfe_u32 v1, v0, 10, 10
	v_bfe_u32 v0, v0, 20, 10
	s_lshr_b32 s9, s8, 16
	v_cmp_eq_u32_e64 s0, 0, v4
	v_cmp_lt_u32_e64 s1, 1, v4
	v_cmp_lt_u32_e64 s2, 3, v4
	v_mad_u32_u24 v7, v0, s9, v1
	v_cmp_lt_u32_e64 s3, 7, v4
	v_cmp_eq_u32_e64 s4, 0, v5
	v_and_b32_e32 v4, 0x1e0, v8
	v_cndmask_b32_e64 v5, v6, v3, s7
	v_lshrrev_b32_e32 v6, 3, v8
	s_and_b32 s8, s8, 0xffff
	v_cmp_eq_u32_e32 vcc_lo, 0, v3
	v_mad_u64_u32 v[0:1], null, v7, s8, v[8:9]
	v_or_b32_e32 v17, 31, v4
	v_and_b32_e32 v14, 60, v6
	v_or_b32_e32 v1, v3, v4
	v_cmp_gt_u32_e64 s5, 16, v8
	v_cmp_lt_u32_e64 s6, 31, v8
	v_cmp_eq_u32_e64 s7, 0, v8
	v_add_nc_u32_e32 v15, 64, v13
	v_lshlrev_b32_e32 v16, 2, v5
	v_cmp_eq_u32_e64 s8, v17, v8
	v_add_nc_u32_e32 v17, -4, v14
	v_lshlrev_b32_e32 v18, 2, v1
	v_lshrrev_b32_e32 v19, 5, v0
	v_add_nc_u32_e32 v20, v13, v20
	s_mov_b32 s16, 10
	s_waitcnt vmcnt(0)
	v_add_nc_u32_e32 v21, 1, v2
	v_xor_b32_e32 v22, 0x80000000, v2
	s_branch .LBB41_2
.LBB41_1:                               ;   in Loop: Header=BB41_2 Depth=1
	s_or_b32 exec_lo, exec_lo, s9
	s_waitcnt lgkmcnt(0)
	v_add_nc_u32_e32 v3, v25, v3
	s_add_i32 s16, s16, -1
	s_delay_alu instid0(SALU_CYCLE_1) | instskip(SKIP_3) | instid1(VALU_DEP_1)
	s_cmp_lg_u32 s16, 0
	ds_bpermute_b32 v3, v16, v3
	s_waitcnt lgkmcnt(0)
	v_cndmask_b32_e32 v3, v3, v25, vcc_lo
	v_cndmask_b32_e64 v3, v3, 0, s7
	s_delay_alu instid0(VALU_DEP_1) | instskip(NEXT) | instid1(VALU_DEP_1)
	v_add_nc_u32_e32 v4, v3, v4
	v_add_nc_u32_e32 v5, v4, v5
	s_delay_alu instid0(VALU_DEP_1) | instskip(NEXT) | instid1(VALU_DEP_1)
	v_add_nc_u32_e32 v6, v5, v6
	v_add_nc_u32_e32 v25, v6, v7
	s_delay_alu instid0(VALU_DEP_1) | instskip(NEXT) | instid1(VALU_DEP_1)
	v_add_nc_u32_e32 v26, v25, v0
	v_add_nc_u32_e32 v0, v26, v1
	s_delay_alu instid0(VALU_DEP_1)
	v_add_nc_u32_e32 v1, v0, v2
	ds_store_2addr_b64 v13, v[3:4], v[5:6] offset0:8 offset1:9
	ds_store_2addr_b64 v15, v[25:26], v[0:1] offset0:2 offset1:3
	s_waitcnt lgkmcnt(0)
	s_barrier
	buffer_gl0_inv
	ds_load_b32 v0, v24
	v_lshlrev_b32_e32 v1, 2, v22
	s_waitcnt lgkmcnt(0)
	s_barrier
	buffer_gl0_inv
	v_lshl_add_u32 v0, v0, 2, v1
	ds_store_b32 v0, v21
	s_waitcnt lgkmcnt(0)
	s_barrier
	buffer_gl0_inv
	ds_load_b32 v22, v20
	s_waitcnt lgkmcnt(0)
	s_barrier
	buffer_gl0_inv
	ds_store_b32 v0, v23
	s_waitcnt lgkmcnt(0)
	s_barrier
	buffer_gl0_inv
	ds_load_b32 v21, v20
	s_cbranch_scc0 .LBB41_34
.LBB41_2:                               ; =>This Inner Loop Header: Depth=1
	s_delay_alu instid0(VALU_DEP_1)
	v_and_b32_e32 v0, 1, v22
	v_lshlrev_b32_e32 v1, 30, v22
	v_lshlrev_b32_e32 v2, 29, v22
	;; [unrolled: 1-line block ×4, first 2 shown]
	v_add_co_u32 v0, s9, v0, -1
	s_delay_alu instid0(VALU_DEP_1)
	v_cndmask_b32_e64 v3, 0, 1, s9
	v_not_b32_e32 v7, v1
	v_cmp_gt_i32_e64 s10, 0, v1
	v_not_b32_e32 v1, v2
	v_lshlrev_b32_e32 v6, 26, v22
	v_cmp_ne_u32_e64 s9, 0, v3
	v_ashrrev_i32_e32 v7, 31, v7
	v_lshlrev_b32_e32 v3, 25, v22
	v_ashrrev_i32_e32 v1, 31, v1
	v_cmp_gt_i32_e64 s11, 0, v5
	v_xor_b32_e32 v0, s9, v0
	v_cmp_gt_i32_e64 s9, 0, v2
	v_not_b32_e32 v2, v4
	v_xor_b32_e32 v7, s10, v7
	v_cmp_gt_i32_e64 s10, 0, v4
	v_and_b32_e32 v0, exec_lo, v0
	v_xor_b32_e32 v1, s9, v1
	v_ashrrev_i32_e32 v2, 31, v2
	v_not_b32_e32 v4, v5
	v_not_b32_e32 v5, v6
	v_and_b32_e32 v0, v0, v7
	v_cmp_gt_i32_e64 s9, 0, v6
	v_xor_b32_e32 v2, s10, v2
	v_not_b32_e32 v6, v3
	ds_store_2addr_b64 v13, v[11:12], v[9:10] offset0:8 offset1:9
	ds_store_2addr_b64 v15, v[11:12], v[9:10] offset0:2 offset1:3
	v_and_b32_e32 v0, v0, v1
	v_ashrrev_i32_e32 v1, 31, v4
	v_ashrrev_i32_e32 v4, 31, v5
	v_lshlrev_b32_e32 v5, 24, v22
	s_waitcnt lgkmcnt(0)
	v_and_b32_e32 v0, v0, v2
	v_xor_b32_e32 v1, s11, v1
	v_xor_b32_e32 v2, s9, v4
	v_cmp_gt_i32_e64 s9, 0, v3
	v_not_b32_e32 v3, v5
	v_ashrrev_i32_e32 v4, 31, v6
	v_and_b32_e32 v0, v0, v1
	v_cmp_gt_i32_e64 s10, 0, v5
	s_barrier
	v_ashrrev_i32_e32 v1, 31, v3
	v_xor_b32_e32 v3, s9, v4
	v_and_b32_e32 v0, v0, v2
	buffer_gl0_inv
	v_xor_b32_e32 v1, s10, v1
	; wave barrier
	v_and_b32_e32 v0, v0, v3
	s_delay_alu instid0(VALU_DEP_1) | instskip(SKIP_1) | instid1(VALU_DEP_2)
	v_and_b32_e32 v0, v0, v1
	v_and_b32_e32 v1, 0xff, v22
	v_mbcnt_lo_u32_b32 v23, v0, 0
	s_delay_alu instid0(VALU_DEP_2) | instskip(SKIP_1) | instid1(VALU_DEP_3)
	v_lshl_add_u32 v1, v1, 4, v19
	v_cmp_ne_u32_e64 s10, 0, v0
	v_cmp_eq_u32_e64 s9, 0, v23
	s_delay_alu instid0(VALU_DEP_3) | instskip(NEXT) | instid1(VALU_DEP_2)
	v_lshl_add_u32 v24, v1, 2, 64
	s_and_b32 s10, s10, s9
	s_delay_alu instid0(SALU_CYCLE_1)
	s_and_saveexec_b32 s9, s10
	s_cbranch_execz .LBB41_4
; %bb.3:                                ;   in Loop: Header=BB41_2 Depth=1
	v_bcnt_u32_b32 v0, v0, 0
	ds_store_b32 v24, v0
.LBB41_4:                               ;   in Loop: Header=BB41_2 Depth=1
	s_or_b32 exec_lo, exec_lo, s9
	; wave barrier
	s_waitcnt lgkmcnt(0)
	s_barrier
	buffer_gl0_inv
	ds_load_2addr_b64 v[4:7], v13 offset0:8 offset1:9
	ds_load_2addr_b64 v[0:3], v15 offset0:2 offset1:3
	s_waitcnt lgkmcnt(1)
	v_add_nc_u32_e32 v25, v5, v4
	s_delay_alu instid0(VALU_DEP_1) | instskip(SKIP_1) | instid1(VALU_DEP_1)
	v_add3_u32 v25, v25, v6, v7
	s_waitcnt lgkmcnt(0)
	v_add3_u32 v25, v25, v0, v1
	s_delay_alu instid0(VALU_DEP_1) | instskip(NEXT) | instid1(VALU_DEP_1)
	v_add3_u32 v3, v25, v2, v3
	v_mov_b32_dpp v25, v3 row_shr:1 row_mask:0xf bank_mask:0xf
	s_delay_alu instid0(VALU_DEP_1) | instskip(NEXT) | instid1(VALU_DEP_1)
	v_cndmask_b32_e64 v25, v25, 0, s0
	v_add_nc_u32_e32 v3, v25, v3
	s_delay_alu instid0(VALU_DEP_1) | instskip(NEXT) | instid1(VALU_DEP_1)
	v_mov_b32_dpp v25, v3 row_shr:2 row_mask:0xf bank_mask:0xf
	v_cndmask_b32_e64 v25, 0, v25, s1
	s_delay_alu instid0(VALU_DEP_1) | instskip(NEXT) | instid1(VALU_DEP_1)
	v_add_nc_u32_e32 v3, v3, v25
	v_mov_b32_dpp v25, v3 row_shr:4 row_mask:0xf bank_mask:0xf
	s_delay_alu instid0(VALU_DEP_1) | instskip(NEXT) | instid1(VALU_DEP_1)
	v_cndmask_b32_e64 v25, 0, v25, s2
	v_add_nc_u32_e32 v3, v3, v25
	s_delay_alu instid0(VALU_DEP_1) | instskip(NEXT) | instid1(VALU_DEP_1)
	v_mov_b32_dpp v25, v3 row_shr:8 row_mask:0xf bank_mask:0xf
	v_cndmask_b32_e64 v25, 0, v25, s3
	s_delay_alu instid0(VALU_DEP_1) | instskip(SKIP_3) | instid1(VALU_DEP_1)
	v_add_nc_u32_e32 v3, v3, v25
	ds_swizzle_b32 v25, v3 offset:swizzle(BROADCAST,32,15)
	s_waitcnt lgkmcnt(0)
	v_cndmask_b32_e64 v25, v25, 0, s4
	v_add_nc_u32_e32 v3, v3, v25
	s_and_saveexec_b32 s9, s8
	s_cbranch_execz .LBB41_6
; %bb.5:                                ;   in Loop: Header=BB41_2 Depth=1
	ds_store_b32 v14, v3
.LBB41_6:                               ;   in Loop: Header=BB41_2 Depth=1
	s_or_b32 exec_lo, exec_lo, s9
	s_waitcnt lgkmcnt(0)
	s_barrier
	buffer_gl0_inv
	s_and_saveexec_b32 s9, s5
	s_cbranch_execz .LBB41_8
; %bb.7:                                ;   in Loop: Header=BB41_2 Depth=1
	ds_load_b32 v25, v20
	s_waitcnt lgkmcnt(0)
	v_mov_b32_dpp v26, v25 row_shr:1 row_mask:0xf bank_mask:0xf
	s_delay_alu instid0(VALU_DEP_1) | instskip(NEXT) | instid1(VALU_DEP_1)
	v_cndmask_b32_e64 v26, v26, 0, s0
	v_add_nc_u32_e32 v25, v26, v25
	s_delay_alu instid0(VALU_DEP_1) | instskip(NEXT) | instid1(VALU_DEP_1)
	v_mov_b32_dpp v26, v25 row_shr:2 row_mask:0xf bank_mask:0xf
	v_cndmask_b32_e64 v26, 0, v26, s1
	s_delay_alu instid0(VALU_DEP_1) | instskip(NEXT) | instid1(VALU_DEP_1)
	v_add_nc_u32_e32 v25, v25, v26
	v_mov_b32_dpp v26, v25 row_shr:4 row_mask:0xf bank_mask:0xf
	s_delay_alu instid0(VALU_DEP_1) | instskip(NEXT) | instid1(VALU_DEP_1)
	v_cndmask_b32_e64 v26, 0, v26, s2
	v_add_nc_u32_e32 v25, v25, v26
	s_delay_alu instid0(VALU_DEP_1) | instskip(NEXT) | instid1(VALU_DEP_1)
	v_mov_b32_dpp v26, v25 row_shr:8 row_mask:0xf bank_mask:0xf
	v_cndmask_b32_e64 v26, 0, v26, s3
	s_delay_alu instid0(VALU_DEP_1)
	v_add_nc_u32_e32 v25, v25, v26
	ds_store_b32 v20, v25
.LBB41_8:                               ;   in Loop: Header=BB41_2 Depth=1
	s_or_b32 exec_lo, exec_lo, s9
	v_mov_b32_e32 v25, 0
	s_waitcnt lgkmcnt(0)
	s_barrier
	buffer_gl0_inv
	s_and_saveexec_b32 s9, s6
	s_cbranch_execz .LBB41_10
; %bb.9:                                ;   in Loop: Header=BB41_2 Depth=1
	ds_load_b32 v25, v17
.LBB41_10:                              ;   in Loop: Header=BB41_2 Depth=1
	s_or_b32 exec_lo, exec_lo, s9
	s_waitcnt lgkmcnt(0)
	v_add_nc_u32_e32 v3, v25, v3
	ds_bpermute_b32 v3, v16, v3
	s_waitcnt lgkmcnt(0)
	v_cndmask_b32_e32 v3, v3, v25, vcc_lo
	s_delay_alu instid0(VALU_DEP_1) | instskip(NEXT) | instid1(VALU_DEP_1)
	v_cndmask_b32_e64 v3, v3, 0, s7
	v_add_nc_u32_e32 v4, v3, v4
	s_delay_alu instid0(VALU_DEP_1) | instskip(NEXT) | instid1(VALU_DEP_1)
	v_add_nc_u32_e32 v5, v4, v5
	v_add_nc_u32_e32 v6, v5, v6
	s_delay_alu instid0(VALU_DEP_1) | instskip(NEXT) | instid1(VALU_DEP_1)
	v_add_nc_u32_e32 v25, v6, v7
	v_add_nc_u32_e32 v26, v25, v0
	s_delay_alu instid0(VALU_DEP_1) | instskip(NEXT) | instid1(VALU_DEP_1)
	v_add_nc_u32_e32 v0, v26, v1
	v_add_nc_u32_e32 v1, v0, v2
	ds_store_2addr_b64 v13, v[3:4], v[5:6] offset0:8 offset1:9
	ds_store_2addr_b64 v15, v[25:26], v[0:1] offset0:2 offset1:3
	s_waitcnt lgkmcnt(0)
	s_barrier
	buffer_gl0_inv
	ds_load_b32 v0, v24
	v_lshlrev_b32_e32 v1, 2, v23
	s_waitcnt lgkmcnt(0)
	s_barrier
	buffer_gl0_inv
	v_lshl_add_u32 v0, v0, 2, v1
	ds_store_b32 v0, v22
	s_waitcnt lgkmcnt(0)
	s_barrier
	buffer_gl0_inv
	ds_load_b32 v22, v18
	s_waitcnt lgkmcnt(0)
	s_barrier
	buffer_gl0_inv
	ds_store_b32 v0, v21
	s_waitcnt lgkmcnt(0)
	s_barrier
	buffer_gl0_inv
	v_bfe_u32 v1, v22, 8, 1
	v_lshrrev_b32_e32 v2, 8, v22
	s_delay_alu instid0(VALU_DEP_2) | instskip(NEXT) | instid1(VALU_DEP_1)
	v_add_co_u32 v1, s9, v1, -1
	v_cndmask_b32_e64 v3, 0, 1, s9
	s_delay_alu instid0(VALU_DEP_3)
	v_lshlrev_b32_e32 v4, 30, v2
	v_lshlrev_b32_e32 v5, 29, v2
	;; [unrolled: 1-line block ×4, first 2 shown]
	v_cmp_ne_u32_e64 s9, 0, v3
	v_not_b32_e32 v3, v4
	v_cmp_gt_i32_e64 s10, 0, v4
	v_not_b32_e32 v4, v5
	v_lshlrev_b32_e32 v23, 26, v2
	v_xor_b32_e32 v1, s9, v1
	v_ashrrev_i32_e32 v3, 31, v3
	v_cmp_gt_i32_e64 s9, 0, v5
	v_not_b32_e32 v5, v6
	v_ashrrev_i32_e32 v4, 31, v4
	v_and_b32_e32 v1, exec_lo, v1
	v_xor_b32_e32 v3, s10, v3
	v_cmp_gt_i32_e64 s10, 0, v6
	v_not_b32_e32 v6, v7
	v_ashrrev_i32_e32 v5, 31, v5
	v_xor_b32_e32 v4, s9, v4
	v_and_b32_e32 v1, v1, v3
	v_lshlrev_b32_e32 v24, 25, v2
	v_cmp_gt_i32_e64 s9, 0, v7
	v_not_b32_e32 v3, v23
	v_ashrrev_i32_e32 v6, 31, v6
	v_xor_b32_e32 v5, s10, v5
	v_and_b32_e32 v1, v1, v4
	v_lshlrev_b32_e32 v2, 24, v2
	v_cmp_gt_i32_e64 s10, 0, v23
	v_not_b32_e32 v4, v24
	v_ashrrev_i32_e32 v3, 31, v3
	v_xor_b32_e32 v6, s9, v6
	v_and_b32_e32 v1, v1, v5
	v_cmp_gt_i32_e64 s9, 0, v24
	v_not_b32_e32 v5, v2
	v_ashrrev_i32_e32 v4, 31, v4
	v_xor_b32_e32 v3, s10, v3
	v_and_b32_e32 v1, v1, v6
	v_cmp_gt_i32_e64 s10, 0, v2
	v_ashrrev_i32_e32 v2, 31, v5
	v_xor_b32_e32 v4, s9, v4
	ds_load_b32 v23, v18
	v_and_b32_e32 v1, v1, v3
	s_waitcnt lgkmcnt(0)
	v_xor_b32_e32 v0, s10, v2
	v_lshrrev_b32_e32 v2, 4, v22
	s_barrier
	v_and_b32_e32 v1, v1, v4
	buffer_gl0_inv
	ds_store_2addr_b64 v13, v[11:12], v[9:10] offset0:8 offset1:9
	ds_store_2addr_b64 v15, v[11:12], v[9:10] offset0:2 offset1:3
	s_waitcnt lgkmcnt(0)
	s_barrier
	v_and_b32_e32 v0, v1, v0
	v_and_b32_e32 v1, 0xff0, v2
	buffer_gl0_inv
	; wave barrier
	v_mbcnt_lo_u32_b32 v21, v0, 0
	v_add_nc_u32_e32 v1, v1, v19
	v_cmp_ne_u32_e64 s10, 0, v0
	s_delay_alu instid0(VALU_DEP_3) | instskip(NEXT) | instid1(VALU_DEP_3)
	v_cmp_eq_u32_e64 s9, 0, v21
	v_lshl_add_u32 v24, v1, 2, 64
	s_delay_alu instid0(VALU_DEP_2) | instskip(NEXT) | instid1(SALU_CYCLE_1)
	s_and_b32 s10, s10, s9
	s_and_saveexec_b32 s9, s10
	s_cbranch_execz .LBB41_12
; %bb.11:                               ;   in Loop: Header=BB41_2 Depth=1
	v_bcnt_u32_b32 v0, v0, 0
	ds_store_b32 v24, v0
.LBB41_12:                              ;   in Loop: Header=BB41_2 Depth=1
	s_or_b32 exec_lo, exec_lo, s9
	; wave barrier
	s_waitcnt lgkmcnt(0)
	s_barrier
	buffer_gl0_inv
	ds_load_2addr_b64 v[4:7], v13 offset0:8 offset1:9
	ds_load_2addr_b64 v[0:3], v15 offset0:2 offset1:3
	s_waitcnt lgkmcnt(1)
	v_add_nc_u32_e32 v25, v5, v4
	s_delay_alu instid0(VALU_DEP_1) | instskip(SKIP_1) | instid1(VALU_DEP_1)
	v_add3_u32 v25, v25, v6, v7
	s_waitcnt lgkmcnt(0)
	v_add3_u32 v25, v25, v0, v1
	s_delay_alu instid0(VALU_DEP_1) | instskip(NEXT) | instid1(VALU_DEP_1)
	v_add3_u32 v3, v25, v2, v3
	v_mov_b32_dpp v25, v3 row_shr:1 row_mask:0xf bank_mask:0xf
	s_delay_alu instid0(VALU_DEP_1) | instskip(NEXT) | instid1(VALU_DEP_1)
	v_cndmask_b32_e64 v25, v25, 0, s0
	v_add_nc_u32_e32 v3, v25, v3
	s_delay_alu instid0(VALU_DEP_1) | instskip(NEXT) | instid1(VALU_DEP_1)
	v_mov_b32_dpp v25, v3 row_shr:2 row_mask:0xf bank_mask:0xf
	v_cndmask_b32_e64 v25, 0, v25, s1
	s_delay_alu instid0(VALU_DEP_1) | instskip(NEXT) | instid1(VALU_DEP_1)
	v_add_nc_u32_e32 v3, v3, v25
	v_mov_b32_dpp v25, v3 row_shr:4 row_mask:0xf bank_mask:0xf
	s_delay_alu instid0(VALU_DEP_1) | instskip(NEXT) | instid1(VALU_DEP_1)
	v_cndmask_b32_e64 v25, 0, v25, s2
	v_add_nc_u32_e32 v3, v3, v25
	s_delay_alu instid0(VALU_DEP_1) | instskip(NEXT) | instid1(VALU_DEP_1)
	v_mov_b32_dpp v25, v3 row_shr:8 row_mask:0xf bank_mask:0xf
	v_cndmask_b32_e64 v25, 0, v25, s3
	s_delay_alu instid0(VALU_DEP_1) | instskip(SKIP_3) | instid1(VALU_DEP_1)
	v_add_nc_u32_e32 v3, v3, v25
	ds_swizzle_b32 v25, v3 offset:swizzle(BROADCAST,32,15)
	s_waitcnt lgkmcnt(0)
	v_cndmask_b32_e64 v25, v25, 0, s4
	v_add_nc_u32_e32 v3, v3, v25
	s_and_saveexec_b32 s9, s8
	s_cbranch_execz .LBB41_14
; %bb.13:                               ;   in Loop: Header=BB41_2 Depth=1
	ds_store_b32 v14, v3
.LBB41_14:                              ;   in Loop: Header=BB41_2 Depth=1
	s_or_b32 exec_lo, exec_lo, s9
	s_waitcnt lgkmcnt(0)
	s_barrier
	buffer_gl0_inv
	s_and_saveexec_b32 s9, s5
	s_cbranch_execz .LBB41_16
; %bb.15:                               ;   in Loop: Header=BB41_2 Depth=1
	ds_load_b32 v25, v20
	s_waitcnt lgkmcnt(0)
	v_mov_b32_dpp v26, v25 row_shr:1 row_mask:0xf bank_mask:0xf
	s_delay_alu instid0(VALU_DEP_1) | instskip(NEXT) | instid1(VALU_DEP_1)
	v_cndmask_b32_e64 v26, v26, 0, s0
	v_add_nc_u32_e32 v25, v26, v25
	s_delay_alu instid0(VALU_DEP_1) | instskip(NEXT) | instid1(VALU_DEP_1)
	v_mov_b32_dpp v26, v25 row_shr:2 row_mask:0xf bank_mask:0xf
	v_cndmask_b32_e64 v26, 0, v26, s1
	s_delay_alu instid0(VALU_DEP_1) | instskip(NEXT) | instid1(VALU_DEP_1)
	v_add_nc_u32_e32 v25, v25, v26
	v_mov_b32_dpp v26, v25 row_shr:4 row_mask:0xf bank_mask:0xf
	s_delay_alu instid0(VALU_DEP_1) | instskip(NEXT) | instid1(VALU_DEP_1)
	v_cndmask_b32_e64 v26, 0, v26, s2
	v_add_nc_u32_e32 v25, v25, v26
	s_delay_alu instid0(VALU_DEP_1) | instskip(NEXT) | instid1(VALU_DEP_1)
	v_mov_b32_dpp v26, v25 row_shr:8 row_mask:0xf bank_mask:0xf
	v_cndmask_b32_e64 v26, 0, v26, s3
	s_delay_alu instid0(VALU_DEP_1)
	v_add_nc_u32_e32 v25, v25, v26
	ds_store_b32 v20, v25
.LBB41_16:                              ;   in Loop: Header=BB41_2 Depth=1
	s_or_b32 exec_lo, exec_lo, s9
	v_mov_b32_e32 v25, 0
	s_waitcnt lgkmcnt(0)
	s_barrier
	buffer_gl0_inv
	s_and_saveexec_b32 s9, s6
	s_cbranch_execz .LBB41_18
; %bb.17:                               ;   in Loop: Header=BB41_2 Depth=1
	ds_load_b32 v25, v17
.LBB41_18:                              ;   in Loop: Header=BB41_2 Depth=1
	s_or_b32 exec_lo, exec_lo, s9
	s_waitcnt lgkmcnt(0)
	v_add_nc_u32_e32 v3, v25, v3
	ds_bpermute_b32 v3, v16, v3
	s_waitcnt lgkmcnt(0)
	v_cndmask_b32_e32 v3, v3, v25, vcc_lo
	s_delay_alu instid0(VALU_DEP_1) | instskip(NEXT) | instid1(VALU_DEP_1)
	v_cndmask_b32_e64 v3, v3, 0, s7
	v_add_nc_u32_e32 v4, v3, v4
	s_delay_alu instid0(VALU_DEP_1) | instskip(NEXT) | instid1(VALU_DEP_1)
	v_add_nc_u32_e32 v5, v4, v5
	v_add_nc_u32_e32 v6, v5, v6
	s_delay_alu instid0(VALU_DEP_1) | instskip(NEXT) | instid1(VALU_DEP_1)
	v_add_nc_u32_e32 v25, v6, v7
	;; [unrolled: 3-line block ×3, first 2 shown]
	v_add_nc_u32_e32 v1, v0, v2
	ds_store_2addr_b64 v13, v[3:4], v[5:6] offset0:8 offset1:9
	ds_store_2addr_b64 v15, v[25:26], v[0:1] offset0:2 offset1:3
	s_waitcnt lgkmcnt(0)
	s_barrier
	buffer_gl0_inv
	ds_load_b32 v0, v24
	v_lshlrev_b32_e32 v1, 2, v21
	s_waitcnt lgkmcnt(0)
	s_barrier
	buffer_gl0_inv
	v_lshl_add_u32 v0, v0, 2, v1
	v_dual_mov_b32 v1, s20 :: v_dual_mov_b32 v2, s21
	ds_store_b32 v0, v22
	s_waitcnt lgkmcnt(0)
	s_barrier
	buffer_gl0_inv
	ds_load_b32 v21, v18
	s_waitcnt lgkmcnt(0)
	s_barrier
	buffer_gl0_inv
	ds_store_b32 v0, v23
	s_waitcnt lgkmcnt(0)
	s_barrier
	buffer_gl0_inv
	v_bfe_u32 v3, v21, 16, 1
	v_lshrrev_b32_e32 v4, 16, v21
	s_delay_alu instid0(VALU_DEP_2) | instskip(NEXT) | instid1(VALU_DEP_1)
	v_add_co_u32 v3, s9, v3, -1
	v_cndmask_b32_e64 v5, 0, 1, s9
	s_delay_alu instid0(VALU_DEP_3)
	v_lshlrev_b32_e32 v6, 30, v4
	v_lshlrev_b32_e32 v7, 29, v4
	;; [unrolled: 1-line block ×4, first 2 shown]
	v_cmp_ne_u32_e64 s9, 0, v5
	v_not_b32_e32 v5, v6
	v_cmp_gt_i32_e64 s10, 0, v6
	v_not_b32_e32 v6, v7
	v_lshlrev_b32_e32 v25, 26, v4
	v_xor_b32_e32 v3, s9, v3
	v_ashrrev_i32_e32 v5, 31, v5
	v_cmp_gt_i32_e64 s9, 0, v7
	v_not_b32_e32 v7, v22
	v_ashrrev_i32_e32 v6, 31, v6
	v_and_b32_e32 v3, exec_lo, v3
	v_xor_b32_e32 v5, s10, v5
	v_cmp_gt_i32_e64 s10, 0, v22
	v_not_b32_e32 v22, v24
	v_ashrrev_i32_e32 v7, 31, v7
	v_xor_b32_e32 v6, s9, v6
	v_and_b32_e32 v3, v3, v5
	v_lshlrev_b32_e32 v26, 25, v4
	v_cmp_gt_i32_e64 s9, 0, v24
	v_not_b32_e32 v5, v25
	v_ashrrev_i32_e32 v22, 31, v22
	v_xor_b32_e32 v7, s10, v7
	v_and_b32_e32 v3, v3, v6
	v_lshlrev_b32_e32 v4, 24, v4
	v_cmp_gt_i32_e64 s10, 0, v25
	v_not_b32_e32 v6, v26
	v_ashrrev_i32_e32 v5, 31, v5
	v_xor_b32_e32 v22, s9, v22
	v_and_b32_e32 v3, v3, v7
	v_cmp_gt_i32_e64 s9, 0, v26
	v_not_b32_e32 v7, v4
	v_ashrrev_i32_e32 v6, 31, v6
	v_xor_b32_e32 v5, s10, v5
	v_and_b32_e32 v3, v3, v22
	v_cmp_gt_i32_e64 s10, 0, v4
	v_ashrrev_i32_e32 v4, 31, v7
	v_xor_b32_e32 v6, s9, v6
	ds_load_b32 v22, v18
	v_and_b32_e32 v3, v3, v5
	s_waitcnt lgkmcnt(0)
	v_xor_b32_e32 v0, s10, v4
	s_barrier
	buffer_gl0_inv
	v_and_b32_e32 v5, v3, v6
	v_mov_b32_e32 v3, s14
	v_lshrrev_b32_e32 v6, 12, v21
	v_mov_b32_e32 v4, s15
	ds_store_2addr_b64 v13, v[1:2], v[3:4] offset0:8 offset1:9
	ds_store_2addr_b64 v15, v[1:2], v[3:4] offset0:2 offset1:3
	v_and_b32_e32 v0, v5, v0
	v_and_b32_e32 v5, 0xff0, v6
	s_waitcnt lgkmcnt(0)
	s_barrier
	buffer_gl0_inv
	v_mbcnt_lo_u32_b32 v23, v0, 0
	v_add_nc_u32_e32 v1, v5, v19
	v_cmp_ne_u32_e64 s10, 0, v0
	; wave barrier
	s_delay_alu instid0(VALU_DEP_3) | instskip(NEXT) | instid1(VALU_DEP_3)
	v_cmp_eq_u32_e64 s9, 0, v23
	v_lshl_add_u32 v24, v1, 2, 64
	s_delay_alu instid0(VALU_DEP_2) | instskip(NEXT) | instid1(SALU_CYCLE_1)
	s_and_b32 s10, s10, s9
	s_and_saveexec_b32 s9, s10
	s_cbranch_execz .LBB41_20
; %bb.19:                               ;   in Loop: Header=BB41_2 Depth=1
	v_bcnt_u32_b32 v0, v0, 0
	ds_store_b32 v24, v0
.LBB41_20:                              ;   in Loop: Header=BB41_2 Depth=1
	s_or_b32 exec_lo, exec_lo, s9
	; wave barrier
	s_waitcnt lgkmcnt(0)
	s_barrier
	buffer_gl0_inv
	ds_load_2addr_b64 v[4:7], v13 offset0:8 offset1:9
	ds_load_2addr_b64 v[0:3], v15 offset0:2 offset1:3
	s_waitcnt lgkmcnt(1)
	v_add_nc_u32_e32 v25, v5, v4
	s_delay_alu instid0(VALU_DEP_1) | instskip(SKIP_1) | instid1(VALU_DEP_1)
	v_add3_u32 v25, v25, v6, v7
	s_waitcnt lgkmcnt(0)
	v_add3_u32 v25, v25, v0, v1
	s_delay_alu instid0(VALU_DEP_1) | instskip(NEXT) | instid1(VALU_DEP_1)
	v_add3_u32 v3, v25, v2, v3
	v_mov_b32_dpp v25, v3 row_shr:1 row_mask:0xf bank_mask:0xf
	s_delay_alu instid0(VALU_DEP_1) | instskip(NEXT) | instid1(VALU_DEP_1)
	v_cndmask_b32_e64 v25, v25, 0, s0
	v_add_nc_u32_e32 v3, v25, v3
	s_delay_alu instid0(VALU_DEP_1) | instskip(NEXT) | instid1(VALU_DEP_1)
	v_mov_b32_dpp v25, v3 row_shr:2 row_mask:0xf bank_mask:0xf
	v_cndmask_b32_e64 v25, 0, v25, s1
	s_delay_alu instid0(VALU_DEP_1) | instskip(NEXT) | instid1(VALU_DEP_1)
	v_add_nc_u32_e32 v3, v3, v25
	v_mov_b32_dpp v25, v3 row_shr:4 row_mask:0xf bank_mask:0xf
	s_delay_alu instid0(VALU_DEP_1) | instskip(NEXT) | instid1(VALU_DEP_1)
	v_cndmask_b32_e64 v25, 0, v25, s2
	v_add_nc_u32_e32 v3, v3, v25
	s_delay_alu instid0(VALU_DEP_1) | instskip(NEXT) | instid1(VALU_DEP_1)
	v_mov_b32_dpp v25, v3 row_shr:8 row_mask:0xf bank_mask:0xf
	v_cndmask_b32_e64 v25, 0, v25, s3
	s_delay_alu instid0(VALU_DEP_1) | instskip(SKIP_3) | instid1(VALU_DEP_1)
	v_add_nc_u32_e32 v3, v3, v25
	ds_swizzle_b32 v25, v3 offset:swizzle(BROADCAST,32,15)
	s_waitcnt lgkmcnt(0)
	v_cndmask_b32_e64 v25, v25, 0, s4
	v_add_nc_u32_e32 v3, v3, v25
	s_and_saveexec_b32 s9, s8
	s_cbranch_execz .LBB41_22
; %bb.21:                               ;   in Loop: Header=BB41_2 Depth=1
	ds_store_b32 v14, v3
.LBB41_22:                              ;   in Loop: Header=BB41_2 Depth=1
	s_or_b32 exec_lo, exec_lo, s9
	s_waitcnt lgkmcnt(0)
	s_barrier
	buffer_gl0_inv
	s_and_saveexec_b32 s9, s5
	s_cbranch_execz .LBB41_24
; %bb.23:                               ;   in Loop: Header=BB41_2 Depth=1
	ds_load_b32 v25, v20
	s_waitcnt lgkmcnt(0)
	v_mov_b32_dpp v26, v25 row_shr:1 row_mask:0xf bank_mask:0xf
	s_delay_alu instid0(VALU_DEP_1) | instskip(NEXT) | instid1(VALU_DEP_1)
	v_cndmask_b32_e64 v26, v26, 0, s0
	v_add_nc_u32_e32 v25, v26, v25
	s_delay_alu instid0(VALU_DEP_1) | instskip(NEXT) | instid1(VALU_DEP_1)
	v_mov_b32_dpp v26, v25 row_shr:2 row_mask:0xf bank_mask:0xf
	v_cndmask_b32_e64 v26, 0, v26, s1
	s_delay_alu instid0(VALU_DEP_1) | instskip(NEXT) | instid1(VALU_DEP_1)
	v_add_nc_u32_e32 v25, v25, v26
	v_mov_b32_dpp v26, v25 row_shr:4 row_mask:0xf bank_mask:0xf
	s_delay_alu instid0(VALU_DEP_1) | instskip(NEXT) | instid1(VALU_DEP_1)
	v_cndmask_b32_e64 v26, 0, v26, s2
	v_add_nc_u32_e32 v25, v25, v26
	s_delay_alu instid0(VALU_DEP_1) | instskip(NEXT) | instid1(VALU_DEP_1)
	v_mov_b32_dpp v26, v25 row_shr:8 row_mask:0xf bank_mask:0xf
	v_cndmask_b32_e64 v26, 0, v26, s3
	s_delay_alu instid0(VALU_DEP_1)
	v_add_nc_u32_e32 v25, v25, v26
	ds_store_b32 v20, v25
.LBB41_24:                              ;   in Loop: Header=BB41_2 Depth=1
	s_or_b32 exec_lo, exec_lo, s9
	v_mov_b32_e32 v25, 0
	s_waitcnt lgkmcnt(0)
	s_barrier
	buffer_gl0_inv
	s_and_saveexec_b32 s9, s6
	s_cbranch_execz .LBB41_26
; %bb.25:                               ;   in Loop: Header=BB41_2 Depth=1
	ds_load_b32 v25, v17
.LBB41_26:                              ;   in Loop: Header=BB41_2 Depth=1
	s_or_b32 exec_lo, exec_lo, s9
	s_waitcnt lgkmcnt(0)
	v_add_nc_u32_e32 v3, v25, v3
	ds_bpermute_b32 v3, v16, v3
	s_waitcnt lgkmcnt(0)
	v_cndmask_b32_e32 v3, v3, v25, vcc_lo
	s_delay_alu instid0(VALU_DEP_1) | instskip(NEXT) | instid1(VALU_DEP_1)
	v_cndmask_b32_e64 v3, v3, 0, s7
	v_add_nc_u32_e32 v4, v3, v4
	s_delay_alu instid0(VALU_DEP_1) | instskip(NEXT) | instid1(VALU_DEP_1)
	v_add_nc_u32_e32 v5, v4, v5
	v_add_nc_u32_e32 v6, v5, v6
	s_delay_alu instid0(VALU_DEP_1) | instskip(NEXT) | instid1(VALU_DEP_1)
	v_add_nc_u32_e32 v25, v6, v7
	;; [unrolled: 3-line block ×3, first 2 shown]
	v_add_nc_u32_e32 v1, v0, v2
	ds_store_2addr_b64 v13, v[3:4], v[5:6] offset0:8 offset1:9
	ds_store_2addr_b64 v15, v[25:26], v[0:1] offset0:2 offset1:3
	s_waitcnt lgkmcnt(0)
	s_barrier
	buffer_gl0_inv
	ds_load_b32 v0, v24
	v_lshlrev_b32_e32 v1, 2, v23
	s_waitcnt lgkmcnt(0)
	s_barrier
	buffer_gl0_inv
	v_lshl_add_u32 v0, v0, 2, v1
	ds_store_b32 v0, v21
	s_waitcnt lgkmcnt(0)
	s_barrier
	buffer_gl0_inv
	ds_load_b32 v21, v18
	s_waitcnt lgkmcnt(0)
	s_barrier
	buffer_gl0_inv
	ds_store_b32 v0, v22
	s_waitcnt lgkmcnt(0)
	s_barrier
	buffer_gl0_inv
	v_bfe_u32 v1, v21, 24, 1
	v_lshrrev_b32_e32 v5, 24, v21
	s_delay_alu instid0(VALU_DEP_2) | instskip(NEXT) | instid1(VALU_DEP_1)
	v_add_co_u32 v1, s9, v1, -1
	v_cndmask_b32_e64 v2, 0, 1, s9
	s_delay_alu instid0(VALU_DEP_3)
	v_lshlrev_b32_e32 v3, 30, v5
	v_lshlrev_b32_e32 v4, 29, v5
	;; [unrolled: 1-line block ×4, first 2 shown]
	v_cmp_ne_u32_e64 s9, 0, v2
	v_not_b32_e32 v2, v3
	v_cmp_gt_i32_e64 s10, 0, v3
	v_not_b32_e32 v3, v4
	v_lshlrev_b32_e32 v23, 26, v5
	v_xor_b32_e32 v1, s9, v1
	v_ashrrev_i32_e32 v2, 31, v2
	v_cmp_gt_i32_e64 s9, 0, v4
	v_not_b32_e32 v4, v6
	v_ashrrev_i32_e32 v3, 31, v3
	v_and_b32_e32 v1, exec_lo, v1
	v_xor_b32_e32 v2, s10, v2
	v_cmp_gt_i32_e64 s10, 0, v6
	v_not_b32_e32 v6, v7
	v_ashrrev_i32_e32 v4, 31, v4
	v_xor_b32_e32 v3, s9, v3
	v_and_b32_e32 v1, v1, v2
	v_lshlrev_b32_e32 v24, 25, v5
	v_cmp_gt_i32_e64 s9, 0, v7
	v_not_b32_e32 v2, v23
	v_ashrrev_i32_e32 v6, 31, v6
	v_xor_b32_e32 v4, s10, v4
	v_and_b32_e32 v1, v1, v3
	v_cmp_gt_i32_e64 s10, 0, v23
	v_not_b32_e32 v3, v24
	v_ashrrev_i32_e32 v2, 31, v2
	v_xor_b32_e32 v6, s9, v6
	v_and_b32_e32 v1, v1, v4
	v_not_b32_e32 v4, v21
	v_cmp_gt_i32_e64 s9, 0, v24
	v_ashrrev_i32_e32 v3, 31, v3
	v_xor_b32_e32 v2, s10, v2
	v_and_b32_e32 v1, v1, v6
	v_cmp_gt_i32_e64 s10, 0, v21
	v_ashrrev_i32_e32 v4, 31, v4
	v_xor_b32_e32 v3, s9, v3
	ds_load_b32 v23, v18
	v_and_b32_e32 v1, v1, v2
	s_waitcnt lgkmcnt(0)
	v_xor_b32_e32 v0, s10, v4
	s_barrier
	buffer_gl0_inv
	v_and_b32_e32 v3, v1, v3
	v_dual_mov_b32 v1, s20 :: v_dual_mov_b32 v2, s21
	s_delay_alu instid0(VALU_DEP_2)
	v_dual_mov_b32 v3, s14 :: v_dual_and_b32 v0, v3, v0
	v_mov_b32_e32 v4, s15
	ds_store_2addr_b64 v13, v[1:2], v[3:4] offset0:8 offset1:9
	ds_store_2addr_b64 v15, v[1:2], v[3:4] offset0:2 offset1:3
	v_mbcnt_lo_u32_b32 v22, v0, 0
	v_lshl_add_u32 v1, v5, 4, v19
	v_cmp_ne_u32_e64 s10, 0, v0
	s_waitcnt lgkmcnt(0)
	s_barrier
	v_cmp_eq_u32_e64 s9, 0, v22
	v_lshl_add_u32 v24, v1, 2, 64
	buffer_gl0_inv
	; wave barrier
	s_and_b32 s10, s10, s9
	s_delay_alu instid0(SALU_CYCLE_1)
	s_and_saveexec_b32 s9, s10
	s_cbranch_execz .LBB41_28
; %bb.27:                               ;   in Loop: Header=BB41_2 Depth=1
	v_bcnt_u32_b32 v0, v0, 0
	ds_store_b32 v24, v0
.LBB41_28:                              ;   in Loop: Header=BB41_2 Depth=1
	s_or_b32 exec_lo, exec_lo, s9
	; wave barrier
	s_waitcnt lgkmcnt(0)
	s_barrier
	buffer_gl0_inv
	ds_load_2addr_b64 v[4:7], v13 offset0:8 offset1:9
	ds_load_2addr_b64 v[0:3], v15 offset0:2 offset1:3
	s_waitcnt lgkmcnt(1)
	v_add_nc_u32_e32 v25, v5, v4
	s_delay_alu instid0(VALU_DEP_1) | instskip(SKIP_1) | instid1(VALU_DEP_1)
	v_add3_u32 v25, v25, v6, v7
	s_waitcnt lgkmcnt(0)
	v_add3_u32 v25, v25, v0, v1
	s_delay_alu instid0(VALU_DEP_1) | instskip(NEXT) | instid1(VALU_DEP_1)
	v_add3_u32 v3, v25, v2, v3
	v_mov_b32_dpp v25, v3 row_shr:1 row_mask:0xf bank_mask:0xf
	s_delay_alu instid0(VALU_DEP_1) | instskip(NEXT) | instid1(VALU_DEP_1)
	v_cndmask_b32_e64 v25, v25, 0, s0
	v_add_nc_u32_e32 v3, v25, v3
	s_delay_alu instid0(VALU_DEP_1) | instskip(NEXT) | instid1(VALU_DEP_1)
	v_mov_b32_dpp v25, v3 row_shr:2 row_mask:0xf bank_mask:0xf
	v_cndmask_b32_e64 v25, 0, v25, s1
	s_delay_alu instid0(VALU_DEP_1) | instskip(NEXT) | instid1(VALU_DEP_1)
	v_add_nc_u32_e32 v3, v3, v25
	v_mov_b32_dpp v25, v3 row_shr:4 row_mask:0xf bank_mask:0xf
	s_delay_alu instid0(VALU_DEP_1) | instskip(NEXT) | instid1(VALU_DEP_1)
	v_cndmask_b32_e64 v25, 0, v25, s2
	v_add_nc_u32_e32 v3, v3, v25
	s_delay_alu instid0(VALU_DEP_1) | instskip(NEXT) | instid1(VALU_DEP_1)
	v_mov_b32_dpp v25, v3 row_shr:8 row_mask:0xf bank_mask:0xf
	v_cndmask_b32_e64 v25, 0, v25, s3
	s_delay_alu instid0(VALU_DEP_1) | instskip(SKIP_3) | instid1(VALU_DEP_1)
	v_add_nc_u32_e32 v3, v3, v25
	ds_swizzle_b32 v25, v3 offset:swizzle(BROADCAST,32,15)
	s_waitcnt lgkmcnt(0)
	v_cndmask_b32_e64 v25, v25, 0, s4
	v_add_nc_u32_e32 v3, v3, v25
	s_and_saveexec_b32 s9, s8
	s_cbranch_execz .LBB41_30
; %bb.29:                               ;   in Loop: Header=BB41_2 Depth=1
	ds_store_b32 v14, v3
.LBB41_30:                              ;   in Loop: Header=BB41_2 Depth=1
	s_or_b32 exec_lo, exec_lo, s9
	s_waitcnt lgkmcnt(0)
	s_barrier
	buffer_gl0_inv
	s_and_saveexec_b32 s9, s5
	s_cbranch_execz .LBB41_32
; %bb.31:                               ;   in Loop: Header=BB41_2 Depth=1
	ds_load_b32 v25, v20
	s_waitcnt lgkmcnt(0)
	v_mov_b32_dpp v26, v25 row_shr:1 row_mask:0xf bank_mask:0xf
	s_delay_alu instid0(VALU_DEP_1) | instskip(NEXT) | instid1(VALU_DEP_1)
	v_cndmask_b32_e64 v26, v26, 0, s0
	v_add_nc_u32_e32 v25, v26, v25
	s_delay_alu instid0(VALU_DEP_1) | instskip(NEXT) | instid1(VALU_DEP_1)
	v_mov_b32_dpp v26, v25 row_shr:2 row_mask:0xf bank_mask:0xf
	v_cndmask_b32_e64 v26, 0, v26, s1
	s_delay_alu instid0(VALU_DEP_1) | instskip(NEXT) | instid1(VALU_DEP_1)
	v_add_nc_u32_e32 v25, v25, v26
	v_mov_b32_dpp v26, v25 row_shr:4 row_mask:0xf bank_mask:0xf
	s_delay_alu instid0(VALU_DEP_1) | instskip(NEXT) | instid1(VALU_DEP_1)
	v_cndmask_b32_e64 v26, 0, v26, s2
	v_add_nc_u32_e32 v25, v25, v26
	s_delay_alu instid0(VALU_DEP_1) | instskip(NEXT) | instid1(VALU_DEP_1)
	v_mov_b32_dpp v26, v25 row_shr:8 row_mask:0xf bank_mask:0xf
	v_cndmask_b32_e64 v26, 0, v26, s3
	s_delay_alu instid0(VALU_DEP_1)
	v_add_nc_u32_e32 v25, v25, v26
	ds_store_b32 v20, v25
.LBB41_32:                              ;   in Loop: Header=BB41_2 Depth=1
	s_or_b32 exec_lo, exec_lo, s9
	v_mov_b32_e32 v25, 0
	s_waitcnt lgkmcnt(0)
	s_barrier
	buffer_gl0_inv
	s_and_saveexec_b32 s9, s6
	s_cbranch_execz .LBB41_1
; %bb.33:                               ;   in Loop: Header=BB41_2 Depth=1
	ds_load_b32 v25, v17
	s_branch .LBB41_1
.LBB41_34:
	s_waitcnt lgkmcnt(0)
	v_add3_u32 v0, v21, v22, 0x80000000
	v_lshlrev_b32_e32 v1, 2, v8
	s_add_u32 s0, s18, s12
	s_addc_u32 s1, s19, s13
	global_store_b32 v1, v0, s[0:1]
	s_nop 0
	s_sendmsg sendmsg(MSG_DEALLOC_VGPRS)
	s_endpgm
	.section	.rodata,"a",@progbits
	.p2align	6, 0x0
	.amdhsa_kernel _Z17sort_pairs_kernelI22helper_blocked_blockediLj512ELj1ELj10EEvPKT0_PS1_
		.amdhsa_group_segment_fixed_size 16448
		.amdhsa_private_segment_fixed_size 0
		.amdhsa_kernarg_size 272
		.amdhsa_user_sgpr_count 15
		.amdhsa_user_sgpr_dispatch_ptr 0
		.amdhsa_user_sgpr_queue_ptr 0
		.amdhsa_user_sgpr_kernarg_segment_ptr 1
		.amdhsa_user_sgpr_dispatch_id 0
		.amdhsa_user_sgpr_private_segment_size 0
		.amdhsa_wavefront_size32 1
		.amdhsa_uses_dynamic_stack 0
		.amdhsa_enable_private_segment 0
		.amdhsa_system_sgpr_workgroup_id_x 1
		.amdhsa_system_sgpr_workgroup_id_y 0
		.amdhsa_system_sgpr_workgroup_id_z 0
		.amdhsa_system_sgpr_workgroup_info 0
		.amdhsa_system_vgpr_workitem_id 2
		.amdhsa_next_free_vgpr 27
		.amdhsa_next_free_sgpr 22
		.amdhsa_reserve_vcc 1
		.amdhsa_float_round_mode_32 0
		.amdhsa_float_round_mode_16_64 0
		.amdhsa_float_denorm_mode_32 3
		.amdhsa_float_denorm_mode_16_64 3
		.amdhsa_dx10_clamp 1
		.amdhsa_ieee_mode 1
		.amdhsa_fp16_overflow 0
		.amdhsa_workgroup_processor_mode 1
		.amdhsa_memory_ordered 1
		.amdhsa_forward_progress 0
		.amdhsa_shared_vgpr_count 0
		.amdhsa_exception_fp_ieee_invalid_op 0
		.amdhsa_exception_fp_denorm_src 0
		.amdhsa_exception_fp_ieee_div_zero 0
		.amdhsa_exception_fp_ieee_overflow 0
		.amdhsa_exception_fp_ieee_underflow 0
		.amdhsa_exception_fp_ieee_inexact 0
		.amdhsa_exception_int_div_zero 0
	.end_amdhsa_kernel
	.section	.text._Z17sort_pairs_kernelI22helper_blocked_blockediLj512ELj1ELj10EEvPKT0_PS1_,"axG",@progbits,_Z17sort_pairs_kernelI22helper_blocked_blockediLj512ELj1ELj10EEvPKT0_PS1_,comdat
.Lfunc_end41:
	.size	_Z17sort_pairs_kernelI22helper_blocked_blockediLj512ELj1ELj10EEvPKT0_PS1_, .Lfunc_end41-_Z17sort_pairs_kernelI22helper_blocked_blockediLj512ELj1ELj10EEvPKT0_PS1_
                                        ; -- End function
	.section	.AMDGPU.csdata,"",@progbits
; Kernel info:
; codeLenInByte = 4504
; NumSgprs: 24
; NumVgprs: 27
; ScratchSize: 0
; MemoryBound: 0
; FloatMode: 240
; IeeeMode: 1
; LDSByteSize: 16448 bytes/workgroup (compile time only)
; SGPRBlocks: 2
; VGPRBlocks: 3
; NumSGPRsForWavesPerEU: 24
; NumVGPRsForWavesPerEU: 27
; Occupancy: 16
; WaveLimiterHint : 0
; COMPUTE_PGM_RSRC2:SCRATCH_EN: 0
; COMPUTE_PGM_RSRC2:USER_SGPR: 15
; COMPUTE_PGM_RSRC2:TRAP_HANDLER: 0
; COMPUTE_PGM_RSRC2:TGID_X_EN: 1
; COMPUTE_PGM_RSRC2:TGID_Y_EN: 0
; COMPUTE_PGM_RSRC2:TGID_Z_EN: 0
; COMPUTE_PGM_RSRC2:TIDIG_COMP_CNT: 2
	.section	.text._Z16sort_keys_kernelI22helper_blocked_blockediLj512ELj3ELj10EEvPKT0_PS1_,"axG",@progbits,_Z16sort_keys_kernelI22helper_blocked_blockediLj512ELj3ELj10EEvPKT0_PS1_,comdat
	.protected	_Z16sort_keys_kernelI22helper_blocked_blockediLj512ELj3ELj10EEvPKT0_PS1_ ; -- Begin function _Z16sort_keys_kernelI22helper_blocked_blockediLj512ELj3ELj10EEvPKT0_PS1_
	.globl	_Z16sort_keys_kernelI22helper_blocked_blockediLj512ELj3ELj10EEvPKT0_PS1_
	.p2align	8
	.type	_Z16sort_keys_kernelI22helper_blocked_blockediLj512ELj3ELj10EEvPKT0_PS1_,@function
_Z16sort_keys_kernelI22helper_blocked_blockediLj512ELj3ELj10EEvPKT0_PS1_: ; @_Z16sort_keys_kernelI22helper_blocked_blockediLj512ELj3ELj10EEvPKT0_PS1_
; %bb.0:
	s_clause 0x1
	s_load_b128 s[16:19], s[0:1], 0x0
	s_load_b32 s2, s[0:1], 0x1c
	s_mov_b32 s11, 0
	s_mul_i32 s10, s15, 0x600
	v_mbcnt_lo_u32_b32 v7, -1, 0
	s_lshl_b64 s[12:13], s[10:11], 2
	s_mov_b32 s10, s11
	v_and_b32_e32 v8, 0x3ff, v0
	s_mov_b32 s14, s11
	s_mov_b32 s15, s11
	v_cmp_eq_u32_e64 s8, 0, v7
	s_delay_alu instid0(VALU_DEP_2) | instskip(SKIP_1) | instid1(VALU_DEP_1)
	v_lshlrev_b32_e32 v1, 2, v8
	v_lshrrev_b32_e32 v6, 5, v8
	v_lshlrev_b32_e32 v19, 2, v6
	s_waitcnt lgkmcnt(0)
	s_add_u32 s0, s16, s12
	s_addc_u32 s1, s17, s13
	v_add_co_u32 v2, s3, s0, v1
	s_delay_alu instid0(VALU_DEP_1) | instskip(SKIP_1) | instid1(VALU_DEP_3)
	v_add_co_ci_u32_e64 v3, null, s1, 0, s3
	v_add_nc_u32_e32 v21, -4, v19
	v_add_co_u32 v4, vcc_lo, 0x1000, v2
	s_delay_alu instid0(VALU_DEP_3)
	v_add_co_ci_u32_e32 v5, vcc_lo, 0, v3, vcc_lo
	s_clause 0x2
	global_load_b32 v2, v1, s[0:1]
	global_load_b32 v3, v1, s[0:1] offset:2048
	global_load_b32 v1, v[4:5], off
	v_mul_u32_u24_e32 v5, 0x60, v6
	v_bfe_u32 v4, v0, 10, 10
	v_bfe_u32 v0, v0, 20, 10
	s_lshr_b32 s0, s2, 16
	s_delay_alu instid0(VALU_DEP_3) | instskip(SKIP_1) | instid1(VALU_DEP_3)
	v_or_b32_e32 v10, v7, v5
	v_lshlrev_b32_e32 v9, 2, v5
	v_mad_u32_u24 v0, v0, s0, v4
	s_and_b32 s0, s2, 0xffff
	s_delay_alu instid0(VALU_DEP_3) | instskip(SKIP_1) | instid1(VALU_DEP_3)
	v_lshlrev_b32_e32 v15, 2, v10
	v_add_nc_u32_e32 v10, -1, v7
	v_mad_u64_u32 v[4:5], null, v0, s0, v[8:9]
	v_mad_u32_u24 v14, v7, 12, v9
	v_and_b32_e32 v0, 15, v7
	v_and_b32_e32 v9, 16, v7
	v_cmp_gt_i32_e32 vcc_lo, 0, v10
	v_lshrrev_b32_e32 v17, 5, v4
	s_delay_alu instid0(VALU_DEP_4)
	v_cmp_eq_u32_e64 s0, 0, v0
	v_cmp_lt_u32_e64 s1, 1, v0
	v_cmp_lt_u32_e64 s2, 3, v0
	;; [unrolled: 1-line block ×3, first 2 shown]
	v_cmp_eq_u32_e64 s4, 0, v9
	v_dual_cndmask_b32 v0, v10, v7 :: v_dual_mov_b32 v9, s10
	v_and_b32_e32 v4, 0x1e0, v8
	v_lshlrev_b32_e32 v13, 5, v8
	v_lshlrev_b32_e32 v5, 3, v8
	s_delay_alu instid0(VALU_DEP_4)
	v_lshlrev_b32_e32 v18, 2, v0
	v_cmp_gt_u32_e64 s6, 16, v8
	v_or_b32_e32 v11, 31, v4
	v_mul_u32_u24_e32 v4, 3, v4
	v_cmp_lt_u32_e64 s7, 31, v8
	v_cmp_eq_u32_e64 s9, 0, v8
	v_mov_b32_e32 v10, s11
	v_cmp_eq_u32_e64 s5, v11, v8
	v_dual_mov_b32 v11, s14 :: v_dual_mov_b32 v12, s15
	v_or_b32_e32 v0, v7, v4
	v_mad_i32_i24 v20, 0xffffffe4, v8, v13
	v_add_nc_u32_e32 v16, 64, v13
	s_delay_alu instid0(VALU_DEP_3) | instskip(NEXT) | instid1(VALU_DEP_3)
	v_lshlrev_b32_e32 v22, 2, v0
	v_add_nc_u32_e32 v23, v20, v5
	s_branch .LBB42_2
.LBB42_1:                               ;   in Loop: Header=BB42_2 Depth=1
	v_lshlrev_b32_e32 v0, 2, v5
	v_lshlrev_b32_e32 v1, 2, v4
	;; [unrolled: 1-line block ×3, first 2 shown]
	s_barrier
	buffer_gl0_inv
	ds_store_b32 v0, v24
	ds_store_b32 v1, v26
	;; [unrolled: 1-line block ×3, first 2 shown]
	s_waitcnt lgkmcnt(0)
	s_barrier
	buffer_gl0_inv
	ds_load_2addr_b32 v[0:1], v23 offset1:1
	ds_load_b32 v4, v23 offset:8
	s_add_i32 s11, s11, 1
	s_delay_alu instid0(SALU_CYCLE_1)
	s_cmp_eq_u32 s11, 10
	s_waitcnt lgkmcnt(1)
	v_xor_b32_e32 v2, 0x80000000, v0
	v_xor_b32_e32 v3, 0x80000000, v1
	s_waitcnt lgkmcnt(0)
	v_xor_b32_e32 v1, 0x80000000, v4
	s_cbranch_scc1 .LBB42_18
.LBB42_2:                               ; =>This Loop Header: Depth=1
                                        ;     Child Loop BB42_4 Depth 2
	s_waitcnt vmcnt(2)
	v_xor_b32_e32 v0, 0x80000000, v2
	s_waitcnt vmcnt(1)
	v_xor_b32_e32 v2, 0x80000000, v3
	;; [unrolled: 2-line block ×3, first 2 shown]
	s_mov_b32 s14, 0
	ds_store_2addr_b32 v14, v0, v2 offset1:1
	ds_store_b32 v14, v1 offset:8
	; wave barrier
	ds_load_2addr_b32 v[0:1], v15 offset1:32
	ds_load_b32 v2, v15 offset:256
	s_waitcnt lgkmcnt(0)
	s_barrier
	buffer_gl0_inv
	; wave barrier
	s_barrier
	s_branch .LBB42_4
.LBB42_3:                               ;   in Loop: Header=BB42_4 Depth=2
	v_lshlrev_b32_e32 v0, 2, v5
	v_lshlrev_b32_e32 v1, 2, v4
	s_delay_alu instid0(VALU_DEP_3)
	v_lshlrev_b32_e32 v2, 2, v3
	s_barrier
	buffer_gl0_inv
	ds_store_b32 v0, v24
	ds_store_b32 v1, v26
	;; [unrolled: 1-line block ×3, first 2 shown]
	s_waitcnt lgkmcnt(0)
	s_barrier
	buffer_gl0_inv
	ds_load_2addr_b32 v[0:1], v22 offset1:32
	ds_load_b32 v2, v22 offset:256
	s_add_i32 s14, s14, 8
	s_waitcnt lgkmcnt(0)
	s_barrier
	s_cbranch_execz .LBB42_1
.LBB42_4:                               ;   Parent Loop BB42_2 Depth=1
                                        ; =>  This Inner Loop Header: Depth=2
	v_mov_b32_e32 v24, v0
	buffer_gl0_inv
	ds_store_2addr_b64 v13, v[9:10], v[11:12] offset0:8 offset1:9
	ds_store_2addr_b64 v16, v[9:10], v[11:12] offset0:2 offset1:3
	s_waitcnt lgkmcnt(0)
	s_barrier
	v_lshrrev_b32_e32 v3, s14, v24
	buffer_gl0_inv
	; wave barrier
	v_lshlrev_b32_e32 v5, 30, v3
	v_bfe_u32 v0, v24, s14, 1
	v_lshlrev_b32_e32 v6, 29, v3
	v_lshlrev_b32_e32 v7, 28, v3
	;; [unrolled: 1-line block ×4, first 2 shown]
	v_add_co_u32 v0, s10, v0, -1
	s_delay_alu instid0(VALU_DEP_1) | instskip(SKIP_3) | instid1(VALU_DEP_4)
	v_cndmask_b32_e64 v4, 0, 1, s10
	v_cmp_gt_i32_e64 s10, 0, v5
	v_lshlrev_b32_e32 v27, 25, v3
	v_lshlrev_b32_e32 v3, 24, v3
	v_cmp_ne_u32_e32 vcc_lo, 0, v4
	v_not_b32_e32 v4, v5
	v_not_b32_e32 v5, v6
	v_xor_b32_e32 v0, vcc_lo, v0
	s_delay_alu instid0(VALU_DEP_3)
	v_ashrrev_i32_e32 v4, 31, v4
	v_cmp_gt_i32_e32 vcc_lo, 0, v6
	v_not_b32_e32 v6, v7
	v_ashrrev_i32_e32 v5, 31, v5
	v_and_b32_e32 v0, exec_lo, v0
	v_xor_b32_e32 v4, s10, v4
	v_cmp_gt_i32_e64 s10, 0, v7
	v_not_b32_e32 v7, v25
	v_ashrrev_i32_e32 v6, 31, v6
	v_xor_b32_e32 v5, vcc_lo, v5
	v_and_b32_e32 v0, v0, v4
	v_cmp_gt_i32_e32 vcc_lo, 0, v25
	v_not_b32_e32 v4, v26
	v_ashrrev_i32_e32 v7, 31, v7
	v_xor_b32_e32 v6, s10, v6
	v_and_b32_e32 v0, v0, v5
	v_cmp_gt_i32_e64 s10, 0, v26
	v_mov_b32_e32 v26, v1
	v_not_b32_e32 v5, v27
	v_ashrrev_i32_e32 v4, 31, v4
	v_xor_b32_e32 v7, vcc_lo, v7
	v_and_b32_e32 v0, v0, v6
	v_cmp_gt_i32_e32 vcc_lo, 0, v27
	v_not_b32_e32 v6, v3
	v_ashrrev_i32_e32 v5, 31, v5
	v_xor_b32_e32 v4, s10, v4
	v_and_b32_e32 v0, v0, v7
	v_cmp_gt_i32_e64 s10, 0, v3
	v_ashrrev_i32_e32 v3, 31, v6
	v_xor_b32_e32 v5, vcc_lo, v5
	v_bfe_u32 v1, v24, s14, 8
	v_dual_mov_b32 v25, v2 :: v_dual_and_b32 v0, v0, v4
	s_delay_alu instid0(VALU_DEP_4) | instskip(NEXT) | instid1(VALU_DEP_3)
	v_xor_b32_e32 v3, s10, v3
	v_lshl_add_u32 v1, v1, 4, v17
	s_delay_alu instid0(VALU_DEP_3) | instskip(NEXT) | instid1(VALU_DEP_2)
	v_and_b32_e32 v0, v0, v5
	v_lshl_add_u32 v28, v1, 2, 64
	s_delay_alu instid0(VALU_DEP_2) | instskip(NEXT) | instid1(VALU_DEP_1)
	v_and_b32_e32 v0, v0, v3
	v_mbcnt_lo_u32_b32 v27, v0, 0
	v_cmp_ne_u32_e64 s10, 0, v0
	s_delay_alu instid0(VALU_DEP_2) | instskip(NEXT) | instid1(VALU_DEP_2)
	v_cmp_eq_u32_e32 vcc_lo, 0, v27
	s_and_b32 s15, s10, vcc_lo
	s_delay_alu instid0(SALU_CYCLE_1)
	s_and_saveexec_b32 s10, s15
	s_cbranch_execz .LBB42_6
; %bb.5:                                ;   in Loop: Header=BB42_4 Depth=2
	v_bcnt_u32_b32 v0, v0, 0
	ds_store_b32 v28, v0
.LBB42_6:                               ;   in Loop: Header=BB42_4 Depth=2
	s_or_b32 exec_lo, exec_lo, s10
	v_bfe_u32 v0, v26, s14, 1
	v_lshrrev_b32_e32 v1, s14, v26
	; wave barrier
	s_delay_alu instid0(VALU_DEP_2) | instskip(NEXT) | instid1(VALU_DEP_1)
	v_add_co_u32 v0, s10, v0, -1
	v_cndmask_b32_e64 v2, 0, 1, s10
	s_delay_alu instid0(VALU_DEP_3)
	v_lshlrev_b32_e32 v3, 30, v1
	v_lshlrev_b32_e32 v4, 29, v1
	;; [unrolled: 1-line block ×4, first 2 shown]
	v_cmp_ne_u32_e32 vcc_lo, 0, v2
	v_not_b32_e32 v2, v3
	v_cmp_gt_i32_e64 s10, 0, v3
	v_not_b32_e32 v3, v4
	v_lshlrev_b32_e32 v7, 26, v1
	v_xor_b32_e32 v0, vcc_lo, v0
	v_ashrrev_i32_e32 v2, 31, v2
	v_cmp_gt_i32_e32 vcc_lo, 0, v4
	v_not_b32_e32 v4, v5
	v_ashrrev_i32_e32 v3, 31, v3
	v_and_b32_e32 v0, exec_lo, v0
	v_xor_b32_e32 v2, s10, v2
	v_cmp_gt_i32_e64 s10, 0, v5
	v_not_b32_e32 v5, v6
	v_ashrrev_i32_e32 v4, 31, v4
	v_xor_b32_e32 v3, vcc_lo, v3
	v_and_b32_e32 v0, v0, v2
	v_cmp_gt_i32_e32 vcc_lo, 0, v6
	v_not_b32_e32 v2, v7
	v_ashrrev_i32_e32 v5, 31, v5
	v_xor_b32_e32 v4, s10, v4
	v_and_b32_e32 v0, v0, v3
	v_lshlrev_b32_e32 v3, 25, v1
	v_cmp_gt_i32_e64 s10, 0, v7
	v_ashrrev_i32_e32 v2, 31, v2
	v_xor_b32_e32 v5, vcc_lo, v5
	v_and_b32_e32 v0, v0, v4
	v_not_b32_e32 v6, v3
	v_lshlrev_b32_e32 v1, 24, v1
	v_bfe_u32 v4, v26, s14, 8
	v_xor_b32_e32 v2, s10, v2
	v_and_b32_e32 v0, v0, v5
	v_cmp_gt_i32_e32 vcc_lo, 0, v3
	v_ashrrev_i32_e32 v3, 31, v6
	v_not_b32_e32 v5, v1
	v_lshlrev_b32_e32 v4, 4, v4
	v_and_b32_e32 v0, v0, v2
	s_delay_alu instid0(VALU_DEP_4) | instskip(SKIP_3) | instid1(VALU_DEP_4)
	v_xor_b32_e32 v2, vcc_lo, v3
	v_cmp_gt_i32_e32 vcc_lo, 0, v1
	v_ashrrev_i32_e32 v1, 31, v5
	v_add_lshl_u32 v3, v4, v17, 2
	v_and_b32_e32 v0, v0, v2
	s_delay_alu instid0(VALU_DEP_3) | instskip(SKIP_3) | instid1(VALU_DEP_1)
	v_xor_b32_e32 v1, vcc_lo, v1
	ds_load_b32 v29, v3 offset:64
	v_add_nc_u32_e32 v31, 64, v3
	; wave barrier
	v_and_b32_e32 v0, v0, v1
	v_mbcnt_lo_u32_b32 v30, v0, 0
	v_cmp_ne_u32_e64 s10, 0, v0
	s_delay_alu instid0(VALU_DEP_2) | instskip(NEXT) | instid1(VALU_DEP_2)
	v_cmp_eq_u32_e32 vcc_lo, 0, v30
	s_and_b32 s15, s10, vcc_lo
	s_delay_alu instid0(SALU_CYCLE_1)
	s_and_saveexec_b32 s10, s15
	s_cbranch_execz .LBB42_8
; %bb.7:                                ;   in Loop: Header=BB42_4 Depth=2
	s_waitcnt lgkmcnt(0)
	v_bcnt_u32_b32 v0, v0, v29
	ds_store_b32 v31, v0
.LBB42_8:                               ;   in Loop: Header=BB42_4 Depth=2
	s_or_b32 exec_lo, exec_lo, s10
	v_bfe_u32 v0, v25, s14, 1
	v_lshrrev_b32_e32 v1, s14, v25
	; wave barrier
	s_delay_alu instid0(VALU_DEP_2) | instskip(NEXT) | instid1(VALU_DEP_1)
	v_add_co_u32 v0, s10, v0, -1
	v_cndmask_b32_e64 v2, 0, 1, s10
	s_delay_alu instid0(VALU_DEP_3)
	v_lshlrev_b32_e32 v3, 30, v1
	v_lshlrev_b32_e32 v4, 29, v1
	;; [unrolled: 1-line block ×4, first 2 shown]
	v_cmp_ne_u32_e32 vcc_lo, 0, v2
	v_not_b32_e32 v2, v3
	v_cmp_gt_i32_e64 s10, 0, v3
	v_not_b32_e32 v3, v4
	v_lshlrev_b32_e32 v7, 26, v1
	v_xor_b32_e32 v0, vcc_lo, v0
	v_ashrrev_i32_e32 v2, 31, v2
	v_cmp_gt_i32_e32 vcc_lo, 0, v4
	v_not_b32_e32 v4, v5
	v_ashrrev_i32_e32 v3, 31, v3
	v_and_b32_e32 v0, exec_lo, v0
	v_xor_b32_e32 v2, s10, v2
	v_cmp_gt_i32_e64 s10, 0, v5
	v_not_b32_e32 v5, v6
	v_ashrrev_i32_e32 v4, 31, v4
	v_xor_b32_e32 v3, vcc_lo, v3
	v_and_b32_e32 v0, v0, v2
	v_cmp_gt_i32_e32 vcc_lo, 0, v6
	v_not_b32_e32 v2, v7
	v_ashrrev_i32_e32 v5, 31, v5
	v_xor_b32_e32 v4, s10, v4
	v_and_b32_e32 v0, v0, v3
	v_lshlrev_b32_e32 v3, 25, v1
	v_cmp_gt_i32_e64 s10, 0, v7
	v_ashrrev_i32_e32 v2, 31, v2
	v_xor_b32_e32 v5, vcc_lo, v5
	v_and_b32_e32 v0, v0, v4
	v_not_b32_e32 v6, v3
	v_lshlrev_b32_e32 v1, 24, v1
	v_bfe_u32 v4, v25, s14, 8
	v_xor_b32_e32 v2, s10, v2
	v_and_b32_e32 v0, v0, v5
	v_cmp_gt_i32_e32 vcc_lo, 0, v3
	v_ashrrev_i32_e32 v3, 31, v6
	v_not_b32_e32 v5, v1
	v_lshlrev_b32_e32 v4, 4, v4
	v_and_b32_e32 v0, v0, v2
	s_delay_alu instid0(VALU_DEP_4) | instskip(SKIP_3) | instid1(VALU_DEP_4)
	v_xor_b32_e32 v2, vcc_lo, v3
	v_cmp_gt_i32_e32 vcc_lo, 0, v1
	v_ashrrev_i32_e32 v1, 31, v5
	v_add_lshl_u32 v3, v4, v17, 2
	v_and_b32_e32 v0, v0, v2
	s_delay_alu instid0(VALU_DEP_3) | instskip(SKIP_3) | instid1(VALU_DEP_1)
	v_xor_b32_e32 v1, vcc_lo, v1
	ds_load_b32 v32, v3 offset:64
	v_add_nc_u32_e32 v34, 64, v3
	; wave barrier
	v_and_b32_e32 v0, v0, v1
	v_mbcnt_lo_u32_b32 v33, v0, 0
	v_cmp_ne_u32_e64 s10, 0, v0
	s_delay_alu instid0(VALU_DEP_2) | instskip(NEXT) | instid1(VALU_DEP_2)
	v_cmp_eq_u32_e32 vcc_lo, 0, v33
	s_and_b32 s15, s10, vcc_lo
	s_delay_alu instid0(SALU_CYCLE_1)
	s_and_saveexec_b32 s10, s15
	s_cbranch_execz .LBB42_10
; %bb.9:                                ;   in Loop: Header=BB42_4 Depth=2
	s_waitcnt lgkmcnt(0)
	v_bcnt_u32_b32 v0, v0, v32
	ds_store_b32 v34, v0
.LBB42_10:                              ;   in Loop: Header=BB42_4 Depth=2
	s_or_b32 exec_lo, exec_lo, s10
	; wave barrier
	s_waitcnt lgkmcnt(0)
	s_barrier
	buffer_gl0_inv
	ds_load_2addr_b64 v[4:7], v13 offset0:8 offset1:9
	ds_load_2addr_b64 v[0:3], v16 offset0:2 offset1:3
	s_waitcnt lgkmcnt(1)
	v_add_nc_u32_e32 v35, v5, v4
	s_delay_alu instid0(VALU_DEP_1) | instskip(SKIP_1) | instid1(VALU_DEP_1)
	v_add3_u32 v35, v35, v6, v7
	s_waitcnt lgkmcnt(0)
	v_add3_u32 v35, v35, v0, v1
	s_delay_alu instid0(VALU_DEP_1) | instskip(NEXT) | instid1(VALU_DEP_1)
	v_add3_u32 v3, v35, v2, v3
	v_mov_b32_dpp v35, v3 row_shr:1 row_mask:0xf bank_mask:0xf
	s_delay_alu instid0(VALU_DEP_1) | instskip(NEXT) | instid1(VALU_DEP_1)
	v_cndmask_b32_e64 v35, v35, 0, s0
	v_add_nc_u32_e32 v3, v35, v3
	s_delay_alu instid0(VALU_DEP_1) | instskip(NEXT) | instid1(VALU_DEP_1)
	v_mov_b32_dpp v35, v3 row_shr:2 row_mask:0xf bank_mask:0xf
	v_cndmask_b32_e64 v35, 0, v35, s1
	s_delay_alu instid0(VALU_DEP_1) | instskip(NEXT) | instid1(VALU_DEP_1)
	v_add_nc_u32_e32 v3, v3, v35
	v_mov_b32_dpp v35, v3 row_shr:4 row_mask:0xf bank_mask:0xf
	s_delay_alu instid0(VALU_DEP_1) | instskip(NEXT) | instid1(VALU_DEP_1)
	v_cndmask_b32_e64 v35, 0, v35, s2
	v_add_nc_u32_e32 v3, v3, v35
	s_delay_alu instid0(VALU_DEP_1) | instskip(NEXT) | instid1(VALU_DEP_1)
	v_mov_b32_dpp v35, v3 row_shr:8 row_mask:0xf bank_mask:0xf
	v_cndmask_b32_e64 v35, 0, v35, s3
	s_delay_alu instid0(VALU_DEP_1) | instskip(SKIP_3) | instid1(VALU_DEP_1)
	v_add_nc_u32_e32 v3, v3, v35
	ds_swizzle_b32 v35, v3 offset:swizzle(BROADCAST,32,15)
	s_waitcnt lgkmcnt(0)
	v_cndmask_b32_e64 v35, v35, 0, s4
	v_add_nc_u32_e32 v3, v3, v35
	s_and_saveexec_b32 s10, s5
	s_cbranch_execz .LBB42_12
; %bb.11:                               ;   in Loop: Header=BB42_4 Depth=2
	ds_store_b32 v19, v3
.LBB42_12:                              ;   in Loop: Header=BB42_4 Depth=2
	s_or_b32 exec_lo, exec_lo, s10
	s_waitcnt lgkmcnt(0)
	s_barrier
	buffer_gl0_inv
	s_and_saveexec_b32 s10, s6
	s_cbranch_execz .LBB42_14
; %bb.13:                               ;   in Loop: Header=BB42_4 Depth=2
	ds_load_b32 v35, v20
	s_waitcnt lgkmcnt(0)
	v_mov_b32_dpp v36, v35 row_shr:1 row_mask:0xf bank_mask:0xf
	s_delay_alu instid0(VALU_DEP_1) | instskip(NEXT) | instid1(VALU_DEP_1)
	v_cndmask_b32_e64 v36, v36, 0, s0
	v_add_nc_u32_e32 v35, v36, v35
	s_delay_alu instid0(VALU_DEP_1) | instskip(NEXT) | instid1(VALU_DEP_1)
	v_mov_b32_dpp v36, v35 row_shr:2 row_mask:0xf bank_mask:0xf
	v_cndmask_b32_e64 v36, 0, v36, s1
	s_delay_alu instid0(VALU_DEP_1) | instskip(NEXT) | instid1(VALU_DEP_1)
	v_add_nc_u32_e32 v35, v35, v36
	v_mov_b32_dpp v36, v35 row_shr:4 row_mask:0xf bank_mask:0xf
	s_delay_alu instid0(VALU_DEP_1) | instskip(NEXT) | instid1(VALU_DEP_1)
	v_cndmask_b32_e64 v36, 0, v36, s2
	v_add_nc_u32_e32 v35, v35, v36
	s_delay_alu instid0(VALU_DEP_1) | instskip(NEXT) | instid1(VALU_DEP_1)
	v_mov_b32_dpp v36, v35 row_shr:8 row_mask:0xf bank_mask:0xf
	v_cndmask_b32_e64 v36, 0, v36, s3
	s_delay_alu instid0(VALU_DEP_1)
	v_add_nc_u32_e32 v35, v35, v36
	ds_store_b32 v20, v35
.LBB42_14:                              ;   in Loop: Header=BB42_4 Depth=2
	s_or_b32 exec_lo, exec_lo, s10
	v_mov_b32_e32 v35, 0
	s_waitcnt lgkmcnt(0)
	s_barrier
	buffer_gl0_inv
	s_and_saveexec_b32 s10, s7
	s_cbranch_execz .LBB42_16
; %bb.15:                               ;   in Loop: Header=BB42_4 Depth=2
	ds_load_b32 v35, v21
.LBB42_16:                              ;   in Loop: Header=BB42_4 Depth=2
	s_or_b32 exec_lo, exec_lo, s10
	s_waitcnt lgkmcnt(0)
	v_add_nc_u32_e32 v3, v35, v3
	s_cmp_gt_u32 s14, 23
	ds_bpermute_b32 v3, v18, v3
	s_waitcnt lgkmcnt(0)
	v_cndmask_b32_e64 v3, v3, v35, s8
	s_delay_alu instid0(VALU_DEP_1) | instskip(NEXT) | instid1(VALU_DEP_1)
	v_cndmask_b32_e64 v3, v3, 0, s9
	v_add_nc_u32_e32 v4, v3, v4
	s_delay_alu instid0(VALU_DEP_1) | instskip(NEXT) | instid1(VALU_DEP_1)
	v_add_nc_u32_e32 v5, v4, v5
	v_add_nc_u32_e32 v6, v5, v6
	s_delay_alu instid0(VALU_DEP_1) | instskip(NEXT) | instid1(VALU_DEP_1)
	v_add_nc_u32_e32 v35, v6, v7
	;; [unrolled: 3-line block ×3, first 2 shown]
	v_add_nc_u32_e32 v1, v0, v2
	ds_store_2addr_b64 v13, v[3:4], v[5:6] offset0:8 offset1:9
	ds_store_2addr_b64 v16, v[35:36], v[0:1] offset0:2 offset1:3
	s_waitcnt lgkmcnt(0)
	s_barrier
	buffer_gl0_inv
	ds_load_b32 v0, v28
	ds_load_b32 v1, v31
	;; [unrolled: 1-line block ×3, first 2 shown]
	s_waitcnt lgkmcnt(2)
	v_add_nc_u32_e32 v5, v0, v27
	s_waitcnt lgkmcnt(1)
	v_add3_u32 v4, v30, v29, v1
	s_waitcnt lgkmcnt(0)
	v_add3_u32 v3, v33, v32, v2
	s_cbranch_scc0 .LBB42_3
; %bb.17:                               ;   in Loop: Header=BB42_2 Depth=1
                                        ; implicit-def: $vgpr2
                                        ; implicit-def: $vgpr1
                                        ; implicit-def: $sgpr14
	s_branch .LBB42_1
.LBB42_18:
	v_lshlrev_b32_e32 v0, 2, v8
	s_add_u32 s0, s18, s12
	s_addc_u32 s1, s19, s13
	s_delay_alu instid0(VALU_DEP_1) | instskip(NEXT) | instid1(VALU_DEP_1)
	v_add_co_u32 v4, s2, s0, v0
	v_add_co_ci_u32_e64 v5, null, s1, 0, s2
	s_delay_alu instid0(VALU_DEP_2) | instskip(NEXT) | instid1(VALU_DEP_2)
	v_add_co_u32 v4, vcc_lo, 0x1000, v4
	v_add_co_ci_u32_e32 v5, vcc_lo, 0, v5, vcc_lo
	s_clause 0x2
	global_store_b32 v0, v2, s[0:1]
	global_store_b32 v0, v3, s[0:1] offset:2048
	global_store_b32 v[4:5], v1, off
	s_nop 0
	s_sendmsg sendmsg(MSG_DEALLOC_VGPRS)
	s_endpgm
	.section	.rodata,"a",@progbits
	.p2align	6, 0x0
	.amdhsa_kernel _Z16sort_keys_kernelI22helper_blocked_blockediLj512ELj3ELj10EEvPKT0_PS1_
		.amdhsa_group_segment_fixed_size 16448
		.amdhsa_private_segment_fixed_size 0
		.amdhsa_kernarg_size 272
		.amdhsa_user_sgpr_count 15
		.amdhsa_user_sgpr_dispatch_ptr 0
		.amdhsa_user_sgpr_queue_ptr 0
		.amdhsa_user_sgpr_kernarg_segment_ptr 1
		.amdhsa_user_sgpr_dispatch_id 0
		.amdhsa_user_sgpr_private_segment_size 0
		.amdhsa_wavefront_size32 1
		.amdhsa_uses_dynamic_stack 0
		.amdhsa_enable_private_segment 0
		.amdhsa_system_sgpr_workgroup_id_x 1
		.amdhsa_system_sgpr_workgroup_id_y 0
		.amdhsa_system_sgpr_workgroup_id_z 0
		.amdhsa_system_sgpr_workgroup_info 0
		.amdhsa_system_vgpr_workitem_id 2
		.amdhsa_next_free_vgpr 37
		.amdhsa_next_free_sgpr 20
		.amdhsa_reserve_vcc 1
		.amdhsa_float_round_mode_32 0
		.amdhsa_float_round_mode_16_64 0
		.amdhsa_float_denorm_mode_32 3
		.amdhsa_float_denorm_mode_16_64 3
		.amdhsa_dx10_clamp 1
		.amdhsa_ieee_mode 1
		.amdhsa_fp16_overflow 0
		.amdhsa_workgroup_processor_mode 1
		.amdhsa_memory_ordered 1
		.amdhsa_forward_progress 0
		.amdhsa_shared_vgpr_count 0
		.amdhsa_exception_fp_ieee_invalid_op 0
		.amdhsa_exception_fp_denorm_src 0
		.amdhsa_exception_fp_ieee_div_zero 0
		.amdhsa_exception_fp_ieee_overflow 0
		.amdhsa_exception_fp_ieee_underflow 0
		.amdhsa_exception_fp_ieee_inexact 0
		.amdhsa_exception_int_div_zero 0
	.end_amdhsa_kernel
	.section	.text._Z16sort_keys_kernelI22helper_blocked_blockediLj512ELj3ELj10EEvPKT0_PS1_,"axG",@progbits,_Z16sort_keys_kernelI22helper_blocked_blockediLj512ELj3ELj10EEvPKT0_PS1_,comdat
.Lfunc_end42:
	.size	_Z16sort_keys_kernelI22helper_blocked_blockediLj512ELj3ELj10EEvPKT0_PS1_, .Lfunc_end42-_Z16sort_keys_kernelI22helper_blocked_blockediLj512ELj3ELj10EEvPKT0_PS1_
                                        ; -- End function
	.section	.AMDGPU.csdata,"",@progbits
; Kernel info:
; codeLenInByte = 2492
; NumSgprs: 22
; NumVgprs: 37
; ScratchSize: 0
; MemoryBound: 0
; FloatMode: 240
; IeeeMode: 1
; LDSByteSize: 16448 bytes/workgroup (compile time only)
; SGPRBlocks: 2
; VGPRBlocks: 4
; NumSGPRsForWavesPerEU: 22
; NumVGPRsForWavesPerEU: 37
; Occupancy: 16
; WaveLimiterHint : 1
; COMPUTE_PGM_RSRC2:SCRATCH_EN: 0
; COMPUTE_PGM_RSRC2:USER_SGPR: 15
; COMPUTE_PGM_RSRC2:TRAP_HANDLER: 0
; COMPUTE_PGM_RSRC2:TGID_X_EN: 1
; COMPUTE_PGM_RSRC2:TGID_Y_EN: 0
; COMPUTE_PGM_RSRC2:TGID_Z_EN: 0
; COMPUTE_PGM_RSRC2:TIDIG_COMP_CNT: 2
	.section	.text._Z17sort_pairs_kernelI22helper_blocked_blockediLj512ELj3ELj10EEvPKT0_PS1_,"axG",@progbits,_Z17sort_pairs_kernelI22helper_blocked_blockediLj512ELj3ELj10EEvPKT0_PS1_,comdat
	.protected	_Z17sort_pairs_kernelI22helper_blocked_blockediLj512ELj3ELj10EEvPKT0_PS1_ ; -- Begin function _Z17sort_pairs_kernelI22helper_blocked_blockediLj512ELj3ELj10EEvPKT0_PS1_
	.globl	_Z17sort_pairs_kernelI22helper_blocked_blockediLj512ELj3ELj10EEvPKT0_PS1_
	.p2align	8
	.type	_Z17sort_pairs_kernelI22helper_blocked_blockediLj512ELj3ELj10EEvPKT0_PS1_,@function
_Z17sort_pairs_kernelI22helper_blocked_blockediLj512ELj3ELj10EEvPKT0_PS1_: ; @_Z17sort_pairs_kernelI22helper_blocked_blockediLj512ELj3ELj10EEvPKT0_PS1_
; %bb.0:
	s_clause 0x1
	s_load_b128 s[16:19], s[0:1], 0x0
	s_load_b32 s9, s[0:1], 0x1c
	v_and_b32_e32 v8, 0x3ff, v0
	s_mov_b32 s11, 0
	s_mul_i32 s10, s15, 0x600
	v_mbcnt_lo_u32_b32 v6, -1, 0
	s_lshl_b64 s[12:13], s[10:11], 2
	v_lshlrev_b32_e32 v3, 2, v8
	s_mov_b32 s10, s11
	v_mov_b32_e32 v12, s11
	v_dual_mov_b32 v11, s10 :: v_dual_add_nc_u32 v14, -1, v6
	v_and_b32_e32 v7, 16, v6
	s_delay_alu instid0(VALU_DEP_1) | instskip(SKIP_4) | instid1(VALU_DEP_1)
	v_cmp_eq_u32_e64 s5, 0, v7
	s_waitcnt lgkmcnt(0)
	s_add_u32 s0, s16, s12
	s_addc_u32 s1, s17, s13
	v_add_co_u32 v1, s2, s0, v3
	v_add_co_ci_u32_e64 v2, null, s1, 0, s2
	s_lshr_b32 s10, s9, 16
	s_delay_alu instid0(VALU_DEP_2) | instskip(NEXT) | instid1(VALU_DEP_2)
	v_add_co_u32 v1, vcc_lo, 0x1000, v1
	v_add_co_ci_u32_e32 v2, vcc_lo, 0, v2, vcc_lo
	s_clause 0x2
	global_load_b32 v5, v3, s[0:1]
	global_load_b32 v4, v3, s[0:1] offset:2048
	global_load_b32 v1, v[1:2], off
	v_and_b32_e32 v3, 15, v6
	v_cmp_gt_i32_e32 vcc_lo, 0, v14
	s_mov_b32 s1, s11
	v_bfe_u32 v2, v0, 10, 10
	v_bfe_u32 v0, v0, 20, 10
	s_mov_b32 s0, s11
	s_delay_alu instid0(SALU_CYCLE_1)
	v_dual_mov_b32 v10, s1 :: v_dual_mov_b32 v9, s0
	v_lshrrev_b32_e32 v16, 5, v8
	v_lshlrev_b32_e32 v13, 5, v8
	v_cmp_eq_u32_e64 s1, 0, v3
	v_cmp_lt_u32_e64 s2, 1, v3
	v_cmp_lt_u32_e64 s3, 3, v3
	;; [unrolled: 1-line block ×3, first 2 shown]
	v_and_b32_e32 v3, 0x1e0, v8
	v_dual_cndmask_b32 v7, v14, v6 :: v_dual_add_nc_u32 v14, 64, v13
	v_mad_u32_u24 v0, v0, s10, v2
	v_mul_u32_u24_e32 v18, 0x60, v16
	s_and_b32 s9, s9, 0xffff
	s_delay_alu instid0(VALU_DEP_3)
	v_lshlrev_b32_e32 v15, 2, v7
	v_mul_u32_u24_e32 v7, 3, v3
	v_or_b32_e32 v19, 31, v3
	v_mad_u64_u32 v[2:3], null, v0, s9, v[8:9]
	v_lshlrev_b32_e32 v23, 3, v8
	v_lshlrev_b32_e32 v16, 2, v16
	v_mad_i32_i24 v17, 0xffffffe4, v8, v13
	v_lshlrev_b32_e32 v20, 2, v18
	v_or_b32_e32 v0, v6, v18
	v_or_b32_e32 v3, v6, v7
	v_cmp_eq_u32_e64 s0, 0, v6
	v_cmp_gt_u32_e64 s6, 16, v8
	v_cmp_lt_u32_e64 s7, 31, v8
	v_cmp_eq_u32_e64 s8, 0, v8
	v_cmp_eq_u32_e64 s9, v19, v8
	v_add_nc_u32_e32 v18, -4, v16
	v_mad_u32_u24 v19, v6, 12, v20
	v_lshlrev_b32_e32 v20, 2, v0
	v_lshlrev_b32_e32 v21, 2, v3
	v_lshrrev_b32_e32 v22, 5, v2
	v_add_nc_u32_e32 v23, v17, v23
	s_waitcnt vmcnt(2)
	v_add_nc_u32_e32 v2, 1, v5
	s_waitcnt vmcnt(1)
	;; [unrolled: 2-line block ×3, first 2 shown]
	v_add_nc_u32_e32 v6, 1, v1
	s_branch .LBB43_2
.LBB43_1:                               ;   in Loop: Header=BB43_2 Depth=1
	v_lshlrev_b32_e32 v2, 2, v30
	v_lshlrev_b32_e32 v3, 2, v7
	;; [unrolled: 1-line block ×3, first 2 shown]
	s_barrier
	buffer_gl0_inv
	ds_store_b32 v2, v24
	ds_store_b32 v3, v29
	;; [unrolled: 1-line block ×3, first 2 shown]
	s_waitcnt lgkmcnt(0)
	s_barrier
	buffer_gl0_inv
	ds_load_2addr_b32 v[0:1], v23 offset1:1
	ds_load_b32 v7, v23 offset:8
	s_waitcnt lgkmcnt(0)
	s_barrier
	buffer_gl0_inv
	ds_store_b32 v2, v27
	ds_store_b32 v3, v26
	;; [unrolled: 1-line block ×3, first 2 shown]
	s_waitcnt lgkmcnt(0)
	s_barrier
	buffer_gl0_inv
	ds_load_2addr_b32 v[2:3], v23 offset1:1
	ds_load_b32 v6, v23 offset:8
	s_add_i32 s11, s11, 1
	s_delay_alu instid0(SALU_CYCLE_1)
	s_cmp_eq_u32 s11, 10
	v_xor_b32_e32 v5, 0x80000000, v0
	v_xor_b32_e32 v4, 0x80000000, v1
	;; [unrolled: 1-line block ×3, first 2 shown]
	s_cbranch_scc1 .LBB43_18
.LBB43_2:                               ; =>This Loop Header: Depth=1
                                        ;     Child Loop BB43_4 Depth 2
	s_delay_alu instid0(VALU_DEP_3) | instskip(NEXT) | instid1(VALU_DEP_3)
	v_xor_b32_e32 v0, 0x80000000, v5
	v_xor_b32_e32 v4, 0x80000000, v4
	s_delay_alu instid0(VALU_DEP_3)
	v_xor_b32_e32 v1, 0x80000000, v1
	s_mov_b32 s14, 0
	ds_store_2addr_b32 v19, v0, v4 offset1:1
	ds_store_b32 v19, v1 offset:8
	; wave barrier
	ds_load_2addr_b32 v[0:1], v20 offset1:32
	ds_load_b32 v4, v20 offset:256
	; wave barrier
	s_waitcnt lgkmcnt(5)
	ds_store_2addr_b32 v19, v2, v3 offset1:1
	s_waitcnt lgkmcnt(5)
	ds_store_b32 v19, v6 offset:8
	; wave barrier
	ds_load_2addr_b32 v[2:3], v20 offset1:32
	ds_load_b32 v5, v20 offset:256
	s_waitcnt lgkmcnt(0)
	s_barrier
	s_branch .LBB43_4
.LBB43_3:                               ;   in Loop: Header=BB43_4 Depth=2
	v_lshlrev_b32_e32 v2, 2, v30
	v_lshlrev_b32_e32 v3, 2, v7
	s_delay_alu instid0(VALU_DEP_3)
	v_lshlrev_b32_e32 v5, 2, v6
	s_barrier
	buffer_gl0_inv
	ds_store_b32 v2, v24
	ds_store_b32 v3, v29
	;; [unrolled: 1-line block ×3, first 2 shown]
	s_waitcnt lgkmcnt(0)
	s_barrier
	buffer_gl0_inv
	ds_load_2addr_b32 v[0:1], v21 offset1:32
	ds_load_b32 v4, v21 offset:256
	s_waitcnt lgkmcnt(0)
	s_barrier
	buffer_gl0_inv
	ds_store_b32 v2, v27
	ds_store_b32 v3, v26
	;; [unrolled: 1-line block ×3, first 2 shown]
	s_waitcnt lgkmcnt(0)
	s_barrier
	buffer_gl0_inv
	ds_load_2addr_b32 v[2:3], v21 offset1:32
	ds_load_b32 v5, v21 offset:256
	s_add_i32 s14, s14, 8
	s_waitcnt lgkmcnt(0)
	s_barrier
	s_cbranch_execz .LBB43_1
.LBB43_4:                               ;   Parent Loop BB43_2 Depth=1
                                        ; =>  This Inner Loop Header: Depth=2
	v_mov_b32_e32 v24, v0
	buffer_gl0_inv
	ds_store_2addr_b64 v13, v[11:12], v[9:10] offset0:8 offset1:9
	ds_store_2addr_b64 v14, v[11:12], v[9:10] offset0:2 offset1:3
	s_waitcnt lgkmcnt(0)
	s_barrier
	v_lshrrev_b32_e32 v6, s14, v24
	buffer_gl0_inv
	; wave barrier
	v_lshlrev_b32_e32 v25, 30, v6
	v_bfe_u32 v0, v24, s14, 1
	v_lshlrev_b32_e32 v26, 29, v6
	v_lshlrev_b32_e32 v27, 28, v6
	;; [unrolled: 1-line block ×4, first 2 shown]
	v_add_co_u32 v0, s10, v0, -1
	s_delay_alu instid0(VALU_DEP_1) | instskip(SKIP_3) | instid1(VALU_DEP_4)
	v_cndmask_b32_e64 v7, 0, 1, s10
	v_cmp_gt_i32_e64 s10, 0, v25
	v_lshlrev_b32_e32 v30, 25, v6
	v_lshlrev_b32_e32 v6, 24, v6
	v_cmp_ne_u32_e32 vcc_lo, 0, v7
	v_not_b32_e32 v7, v25
	v_not_b32_e32 v25, v26
	v_xor_b32_e32 v0, vcc_lo, v0
	s_delay_alu instid0(VALU_DEP_3)
	v_ashrrev_i32_e32 v7, 31, v7
	v_cmp_gt_i32_e32 vcc_lo, 0, v26
	v_not_b32_e32 v26, v27
	v_ashrrev_i32_e32 v25, 31, v25
	v_and_b32_e32 v0, exec_lo, v0
	v_xor_b32_e32 v7, s10, v7
	v_cmp_gt_i32_e64 s10, 0, v27
	v_not_b32_e32 v27, v28
	v_ashrrev_i32_e32 v26, 31, v26
	v_xor_b32_e32 v25, vcc_lo, v25
	v_and_b32_e32 v0, v0, v7
	v_cmp_gt_i32_e32 vcc_lo, 0, v28
	v_ashrrev_i32_e32 v27, 31, v27
	v_xor_b32_e32 v26, s10, v26
	v_not_b32_e32 v7, v29
	v_and_b32_e32 v0, v0, v25
	v_cmp_gt_i32_e64 s10, 0, v29
	v_xor_b32_e32 v27, vcc_lo, v27
	v_mov_b32_e32 v29, v1
	v_ashrrev_i32_e32 v7, 31, v7
	v_and_b32_e32 v0, v0, v26
	v_not_b32_e32 v26, v6
	v_bfe_u32 v1, v24, s14, 8
	v_mov_b32_e32 v28, v4
	v_xor_b32_e32 v7, s10, v7
	v_dual_mov_b32 v27, v2 :: v_dual_and_b32 v0, v0, v27
	v_not_b32_e32 v25, v30
	v_cmp_gt_i32_e32 vcc_lo, 0, v30
	v_cmp_gt_i32_e64 s10, 0, v6
	v_ashrrev_i32_e32 v6, 31, v26
	v_and_b32_e32 v0, v0, v7
	v_ashrrev_i32_e32 v25, 31, v25
	v_lshl_add_u32 v1, v1, 4, v22
	v_mov_b32_e32 v26, v3
	v_xor_b32_e32 v6, s10, v6
	s_delay_alu instid0(VALU_DEP_4) | instskip(NEXT) | instid1(VALU_DEP_4)
	v_xor_b32_e32 v25, vcc_lo, v25
	v_lshl_add_u32 v31, v1, 2, 64
	s_delay_alu instid0(VALU_DEP_2) | instskip(NEXT) | instid1(VALU_DEP_1)
	v_dual_mov_b32 v25, v5 :: v_dual_and_b32 v0, v0, v25
	v_and_b32_e32 v0, v0, v6
	s_delay_alu instid0(VALU_DEP_1) | instskip(SKIP_1) | instid1(VALU_DEP_2)
	v_mbcnt_lo_u32_b32 v30, v0, 0
	v_cmp_ne_u32_e64 s10, 0, v0
	v_cmp_eq_u32_e32 vcc_lo, 0, v30
	s_delay_alu instid0(VALU_DEP_2) | instskip(NEXT) | instid1(SALU_CYCLE_1)
	s_and_b32 s15, s10, vcc_lo
	s_and_saveexec_b32 s10, s15
	s_cbranch_execz .LBB43_6
; %bb.5:                                ;   in Loop: Header=BB43_4 Depth=2
	v_bcnt_u32_b32 v0, v0, 0
	ds_store_b32 v31, v0
.LBB43_6:                               ;   in Loop: Header=BB43_4 Depth=2
	s_or_b32 exec_lo, exec_lo, s10
	v_bfe_u32 v0, v29, s14, 1
	v_lshrrev_b32_e32 v1, s14, v29
	; wave barrier
	s_delay_alu instid0(VALU_DEP_2) | instskip(NEXT) | instid1(VALU_DEP_1)
	v_add_co_u32 v0, s10, v0, -1
	v_cndmask_b32_e64 v2, 0, 1, s10
	s_delay_alu instid0(VALU_DEP_3)
	v_lshlrev_b32_e32 v3, 30, v1
	v_lshlrev_b32_e32 v4, 29, v1
	;; [unrolled: 1-line block ×4, first 2 shown]
	v_cmp_ne_u32_e32 vcc_lo, 0, v2
	v_not_b32_e32 v2, v3
	v_cmp_gt_i32_e64 s10, 0, v3
	v_not_b32_e32 v3, v4
	v_lshlrev_b32_e32 v7, 26, v1
	v_xor_b32_e32 v0, vcc_lo, v0
	v_ashrrev_i32_e32 v2, 31, v2
	v_cmp_gt_i32_e32 vcc_lo, 0, v4
	v_not_b32_e32 v4, v5
	v_ashrrev_i32_e32 v3, 31, v3
	v_and_b32_e32 v0, exec_lo, v0
	v_xor_b32_e32 v2, s10, v2
	v_cmp_gt_i32_e64 s10, 0, v5
	v_not_b32_e32 v5, v6
	v_ashrrev_i32_e32 v4, 31, v4
	v_xor_b32_e32 v3, vcc_lo, v3
	v_and_b32_e32 v0, v0, v2
	v_cmp_gt_i32_e32 vcc_lo, 0, v6
	v_not_b32_e32 v2, v7
	v_ashrrev_i32_e32 v5, 31, v5
	v_xor_b32_e32 v4, s10, v4
	v_and_b32_e32 v0, v0, v3
	v_lshlrev_b32_e32 v3, 25, v1
	v_cmp_gt_i32_e64 s10, 0, v7
	v_ashrrev_i32_e32 v2, 31, v2
	v_xor_b32_e32 v5, vcc_lo, v5
	v_and_b32_e32 v0, v0, v4
	v_not_b32_e32 v6, v3
	v_lshlrev_b32_e32 v1, 24, v1
	v_bfe_u32 v4, v29, s14, 8
	v_xor_b32_e32 v2, s10, v2
	v_and_b32_e32 v0, v0, v5
	v_cmp_gt_i32_e32 vcc_lo, 0, v3
	v_ashrrev_i32_e32 v3, 31, v6
	v_not_b32_e32 v5, v1
	v_lshlrev_b32_e32 v4, 4, v4
	v_and_b32_e32 v0, v0, v2
	s_delay_alu instid0(VALU_DEP_4) | instskip(SKIP_3) | instid1(VALU_DEP_4)
	v_xor_b32_e32 v2, vcc_lo, v3
	v_cmp_gt_i32_e32 vcc_lo, 0, v1
	v_ashrrev_i32_e32 v1, 31, v5
	v_add_lshl_u32 v3, v4, v22, 2
	v_and_b32_e32 v0, v0, v2
	s_delay_alu instid0(VALU_DEP_3) | instskip(SKIP_3) | instid1(VALU_DEP_1)
	v_xor_b32_e32 v1, vcc_lo, v1
	ds_load_b32 v32, v3 offset:64
	v_add_nc_u32_e32 v34, 64, v3
	; wave barrier
	v_and_b32_e32 v0, v0, v1
	v_mbcnt_lo_u32_b32 v33, v0, 0
	v_cmp_ne_u32_e64 s10, 0, v0
	s_delay_alu instid0(VALU_DEP_2) | instskip(NEXT) | instid1(VALU_DEP_2)
	v_cmp_eq_u32_e32 vcc_lo, 0, v33
	s_and_b32 s15, s10, vcc_lo
	s_delay_alu instid0(SALU_CYCLE_1)
	s_and_saveexec_b32 s10, s15
	s_cbranch_execz .LBB43_8
; %bb.7:                                ;   in Loop: Header=BB43_4 Depth=2
	s_waitcnt lgkmcnt(0)
	v_bcnt_u32_b32 v0, v0, v32
	ds_store_b32 v34, v0
.LBB43_8:                               ;   in Loop: Header=BB43_4 Depth=2
	s_or_b32 exec_lo, exec_lo, s10
	v_bfe_u32 v0, v28, s14, 1
	v_lshrrev_b32_e32 v1, s14, v28
	; wave barrier
	s_delay_alu instid0(VALU_DEP_2) | instskip(NEXT) | instid1(VALU_DEP_1)
	v_add_co_u32 v0, s10, v0, -1
	v_cndmask_b32_e64 v2, 0, 1, s10
	s_delay_alu instid0(VALU_DEP_3)
	v_lshlrev_b32_e32 v3, 30, v1
	v_lshlrev_b32_e32 v4, 29, v1
	;; [unrolled: 1-line block ×4, first 2 shown]
	v_cmp_ne_u32_e32 vcc_lo, 0, v2
	v_not_b32_e32 v2, v3
	v_cmp_gt_i32_e64 s10, 0, v3
	v_not_b32_e32 v3, v4
	v_lshlrev_b32_e32 v7, 26, v1
	v_xor_b32_e32 v0, vcc_lo, v0
	v_ashrrev_i32_e32 v2, 31, v2
	v_cmp_gt_i32_e32 vcc_lo, 0, v4
	v_not_b32_e32 v4, v5
	v_ashrrev_i32_e32 v3, 31, v3
	v_and_b32_e32 v0, exec_lo, v0
	v_xor_b32_e32 v2, s10, v2
	v_cmp_gt_i32_e64 s10, 0, v5
	v_not_b32_e32 v5, v6
	v_ashrrev_i32_e32 v4, 31, v4
	v_xor_b32_e32 v3, vcc_lo, v3
	v_and_b32_e32 v0, v0, v2
	v_cmp_gt_i32_e32 vcc_lo, 0, v6
	v_not_b32_e32 v2, v7
	v_ashrrev_i32_e32 v5, 31, v5
	v_xor_b32_e32 v4, s10, v4
	v_and_b32_e32 v0, v0, v3
	v_lshlrev_b32_e32 v3, 25, v1
	v_cmp_gt_i32_e64 s10, 0, v7
	v_ashrrev_i32_e32 v2, 31, v2
	v_xor_b32_e32 v5, vcc_lo, v5
	v_and_b32_e32 v0, v0, v4
	v_not_b32_e32 v6, v3
	v_lshlrev_b32_e32 v1, 24, v1
	v_bfe_u32 v4, v28, s14, 8
	v_xor_b32_e32 v2, s10, v2
	v_and_b32_e32 v0, v0, v5
	v_cmp_gt_i32_e32 vcc_lo, 0, v3
	v_ashrrev_i32_e32 v3, 31, v6
	v_not_b32_e32 v5, v1
	v_lshlrev_b32_e32 v4, 4, v4
	v_and_b32_e32 v0, v0, v2
	s_delay_alu instid0(VALU_DEP_4) | instskip(SKIP_3) | instid1(VALU_DEP_4)
	v_xor_b32_e32 v2, vcc_lo, v3
	v_cmp_gt_i32_e32 vcc_lo, 0, v1
	v_ashrrev_i32_e32 v1, 31, v5
	v_add_lshl_u32 v3, v4, v22, 2
	v_and_b32_e32 v0, v0, v2
	s_delay_alu instid0(VALU_DEP_3) | instskip(SKIP_3) | instid1(VALU_DEP_1)
	v_xor_b32_e32 v1, vcc_lo, v1
	ds_load_b32 v35, v3 offset:64
	v_add_nc_u32_e32 v37, 64, v3
	; wave barrier
	v_and_b32_e32 v0, v0, v1
	v_mbcnt_lo_u32_b32 v36, v0, 0
	v_cmp_ne_u32_e64 s10, 0, v0
	s_delay_alu instid0(VALU_DEP_2) | instskip(NEXT) | instid1(VALU_DEP_2)
	v_cmp_eq_u32_e32 vcc_lo, 0, v36
	s_and_b32 s15, s10, vcc_lo
	s_delay_alu instid0(SALU_CYCLE_1)
	s_and_saveexec_b32 s10, s15
	s_cbranch_execz .LBB43_10
; %bb.9:                                ;   in Loop: Header=BB43_4 Depth=2
	s_waitcnt lgkmcnt(0)
	v_bcnt_u32_b32 v0, v0, v35
	ds_store_b32 v37, v0
.LBB43_10:                              ;   in Loop: Header=BB43_4 Depth=2
	s_or_b32 exec_lo, exec_lo, s10
	; wave barrier
	s_waitcnt lgkmcnt(0)
	s_barrier
	buffer_gl0_inv
	ds_load_2addr_b64 v[4:7], v13 offset0:8 offset1:9
	ds_load_2addr_b64 v[0:3], v14 offset0:2 offset1:3
	s_waitcnt lgkmcnt(1)
	v_add_nc_u32_e32 v38, v5, v4
	s_delay_alu instid0(VALU_DEP_1) | instskip(SKIP_1) | instid1(VALU_DEP_1)
	v_add3_u32 v38, v38, v6, v7
	s_waitcnt lgkmcnt(0)
	v_add3_u32 v38, v38, v0, v1
	s_delay_alu instid0(VALU_DEP_1) | instskip(NEXT) | instid1(VALU_DEP_1)
	v_add3_u32 v3, v38, v2, v3
	v_mov_b32_dpp v38, v3 row_shr:1 row_mask:0xf bank_mask:0xf
	s_delay_alu instid0(VALU_DEP_1) | instskip(NEXT) | instid1(VALU_DEP_1)
	v_cndmask_b32_e64 v38, v38, 0, s1
	v_add_nc_u32_e32 v3, v38, v3
	s_delay_alu instid0(VALU_DEP_1) | instskip(NEXT) | instid1(VALU_DEP_1)
	v_mov_b32_dpp v38, v3 row_shr:2 row_mask:0xf bank_mask:0xf
	v_cndmask_b32_e64 v38, 0, v38, s2
	s_delay_alu instid0(VALU_DEP_1) | instskip(NEXT) | instid1(VALU_DEP_1)
	v_add_nc_u32_e32 v3, v3, v38
	v_mov_b32_dpp v38, v3 row_shr:4 row_mask:0xf bank_mask:0xf
	s_delay_alu instid0(VALU_DEP_1) | instskip(NEXT) | instid1(VALU_DEP_1)
	v_cndmask_b32_e64 v38, 0, v38, s3
	v_add_nc_u32_e32 v3, v3, v38
	s_delay_alu instid0(VALU_DEP_1) | instskip(NEXT) | instid1(VALU_DEP_1)
	v_mov_b32_dpp v38, v3 row_shr:8 row_mask:0xf bank_mask:0xf
	v_cndmask_b32_e64 v38, 0, v38, s4
	s_delay_alu instid0(VALU_DEP_1) | instskip(SKIP_3) | instid1(VALU_DEP_1)
	v_add_nc_u32_e32 v3, v3, v38
	ds_swizzle_b32 v38, v3 offset:swizzle(BROADCAST,32,15)
	s_waitcnt lgkmcnt(0)
	v_cndmask_b32_e64 v38, v38, 0, s5
	v_add_nc_u32_e32 v3, v3, v38
	s_and_saveexec_b32 s10, s9
	s_cbranch_execz .LBB43_12
; %bb.11:                               ;   in Loop: Header=BB43_4 Depth=2
	ds_store_b32 v16, v3
.LBB43_12:                              ;   in Loop: Header=BB43_4 Depth=2
	s_or_b32 exec_lo, exec_lo, s10
	s_waitcnt lgkmcnt(0)
	s_barrier
	buffer_gl0_inv
	s_and_saveexec_b32 s10, s6
	s_cbranch_execz .LBB43_14
; %bb.13:                               ;   in Loop: Header=BB43_4 Depth=2
	ds_load_b32 v38, v17
	s_waitcnt lgkmcnt(0)
	v_mov_b32_dpp v39, v38 row_shr:1 row_mask:0xf bank_mask:0xf
	s_delay_alu instid0(VALU_DEP_1) | instskip(NEXT) | instid1(VALU_DEP_1)
	v_cndmask_b32_e64 v39, v39, 0, s1
	v_add_nc_u32_e32 v38, v39, v38
	s_delay_alu instid0(VALU_DEP_1) | instskip(NEXT) | instid1(VALU_DEP_1)
	v_mov_b32_dpp v39, v38 row_shr:2 row_mask:0xf bank_mask:0xf
	v_cndmask_b32_e64 v39, 0, v39, s2
	s_delay_alu instid0(VALU_DEP_1) | instskip(NEXT) | instid1(VALU_DEP_1)
	v_add_nc_u32_e32 v38, v38, v39
	v_mov_b32_dpp v39, v38 row_shr:4 row_mask:0xf bank_mask:0xf
	s_delay_alu instid0(VALU_DEP_1) | instskip(NEXT) | instid1(VALU_DEP_1)
	v_cndmask_b32_e64 v39, 0, v39, s3
	v_add_nc_u32_e32 v38, v38, v39
	s_delay_alu instid0(VALU_DEP_1) | instskip(NEXT) | instid1(VALU_DEP_1)
	v_mov_b32_dpp v39, v38 row_shr:8 row_mask:0xf bank_mask:0xf
	v_cndmask_b32_e64 v39, 0, v39, s4
	s_delay_alu instid0(VALU_DEP_1)
	v_add_nc_u32_e32 v38, v38, v39
	ds_store_b32 v17, v38
.LBB43_14:                              ;   in Loop: Header=BB43_4 Depth=2
	s_or_b32 exec_lo, exec_lo, s10
	v_mov_b32_e32 v38, 0
	s_waitcnt lgkmcnt(0)
	s_barrier
	buffer_gl0_inv
	s_and_saveexec_b32 s10, s7
	s_cbranch_execz .LBB43_16
; %bb.15:                               ;   in Loop: Header=BB43_4 Depth=2
	ds_load_b32 v38, v18
.LBB43_16:                              ;   in Loop: Header=BB43_4 Depth=2
	s_or_b32 exec_lo, exec_lo, s10
	s_waitcnt lgkmcnt(0)
	v_add_nc_u32_e32 v3, v38, v3
	s_cmp_gt_u32 s14, 23
	ds_bpermute_b32 v3, v15, v3
	s_waitcnt lgkmcnt(0)
	v_cndmask_b32_e64 v3, v3, v38, s0
	s_delay_alu instid0(VALU_DEP_1) | instskip(NEXT) | instid1(VALU_DEP_1)
	v_cndmask_b32_e64 v3, v3, 0, s8
	v_add_nc_u32_e32 v4, v3, v4
	s_delay_alu instid0(VALU_DEP_1) | instskip(NEXT) | instid1(VALU_DEP_1)
	v_add_nc_u32_e32 v5, v4, v5
	v_add_nc_u32_e32 v6, v5, v6
	s_delay_alu instid0(VALU_DEP_1) | instskip(NEXT) | instid1(VALU_DEP_1)
	v_add_nc_u32_e32 v38, v6, v7
	;; [unrolled: 3-line block ×3, first 2 shown]
	v_add_nc_u32_e32 v1, v0, v2
	ds_store_2addr_b64 v13, v[3:4], v[5:6] offset0:8 offset1:9
	ds_store_2addr_b64 v14, v[38:39], v[0:1] offset0:2 offset1:3
	s_waitcnt lgkmcnt(0)
	s_barrier
	buffer_gl0_inv
	ds_load_b32 v0, v31
	ds_load_b32 v1, v34
	;; [unrolled: 1-line block ×3, first 2 shown]
	s_waitcnt lgkmcnt(2)
	v_add_nc_u32_e32 v30, v0, v30
	s_waitcnt lgkmcnt(1)
	v_add3_u32 v7, v33, v32, v1
	s_waitcnt lgkmcnt(0)
	v_add3_u32 v6, v36, v35, v2
	s_cbranch_scc0 .LBB43_3
; %bb.17:                               ;   in Loop: Header=BB43_2 Depth=1
                                        ; implicit-def: $vgpr4
                                        ; implicit-def: $vgpr1
                                        ; implicit-def: $vgpr5
                                        ; implicit-def: $vgpr3
                                        ; implicit-def: $sgpr14
	s_branch .LBB43_1
.LBB43_18:
	s_waitcnt lgkmcnt(1)
	v_add_nc_u32_e32 v2, v5, v2
	v_lshlrev_b32_e32 v5, 2, v8
	s_add_u32 s0, s18, s12
	s_addc_u32 s1, s19, s13
	v_add_nc_u32_e32 v3, v4, v3
	s_waitcnt lgkmcnt(0)
	v_add_nc_u32_e32 v6, v1, v6
	v_add_co_u32 v0, s2, s0, v5
	s_delay_alu instid0(VALU_DEP_1) | instskip(NEXT) | instid1(VALU_DEP_2)
	v_add_co_ci_u32_e64 v4, null, s1, 0, s2
	v_add_co_u32 v0, vcc_lo, 0x1000, v0
	s_delay_alu instid0(VALU_DEP_2)
	v_add_co_ci_u32_e32 v1, vcc_lo, 0, v4, vcc_lo
	s_clause 0x2
	global_store_b32 v5, v2, s[0:1]
	global_store_b32 v5, v3, s[0:1] offset:2048
	global_store_b32 v[0:1], v6, off
	s_nop 0
	s_sendmsg sendmsg(MSG_DEALLOC_VGPRS)
	s_endpgm
	.section	.rodata,"a",@progbits
	.p2align	6, 0x0
	.amdhsa_kernel _Z17sort_pairs_kernelI22helper_blocked_blockediLj512ELj3ELj10EEvPKT0_PS1_
		.amdhsa_group_segment_fixed_size 16448
		.amdhsa_private_segment_fixed_size 0
		.amdhsa_kernarg_size 272
		.amdhsa_user_sgpr_count 15
		.amdhsa_user_sgpr_dispatch_ptr 0
		.amdhsa_user_sgpr_queue_ptr 0
		.amdhsa_user_sgpr_kernarg_segment_ptr 1
		.amdhsa_user_sgpr_dispatch_id 0
		.amdhsa_user_sgpr_private_segment_size 0
		.amdhsa_wavefront_size32 1
		.amdhsa_uses_dynamic_stack 0
		.amdhsa_enable_private_segment 0
		.amdhsa_system_sgpr_workgroup_id_x 1
		.amdhsa_system_sgpr_workgroup_id_y 0
		.amdhsa_system_sgpr_workgroup_id_z 0
		.amdhsa_system_sgpr_workgroup_info 0
		.amdhsa_system_vgpr_workitem_id 2
		.amdhsa_next_free_vgpr 40
		.amdhsa_next_free_sgpr 20
		.amdhsa_reserve_vcc 1
		.amdhsa_float_round_mode_32 0
		.amdhsa_float_round_mode_16_64 0
		.amdhsa_float_denorm_mode_32 3
		.amdhsa_float_denorm_mode_16_64 3
		.amdhsa_dx10_clamp 1
		.amdhsa_ieee_mode 1
		.amdhsa_fp16_overflow 0
		.amdhsa_workgroup_processor_mode 1
		.amdhsa_memory_ordered 1
		.amdhsa_forward_progress 0
		.amdhsa_shared_vgpr_count 0
		.amdhsa_exception_fp_ieee_invalid_op 0
		.amdhsa_exception_fp_denorm_src 0
		.amdhsa_exception_fp_ieee_div_zero 0
		.amdhsa_exception_fp_ieee_overflow 0
		.amdhsa_exception_fp_ieee_underflow 0
		.amdhsa_exception_fp_ieee_inexact 0
		.amdhsa_exception_int_div_zero 0
	.end_amdhsa_kernel
	.section	.text._Z17sort_pairs_kernelI22helper_blocked_blockediLj512ELj3ELj10EEvPKT0_PS1_,"axG",@progbits,_Z17sort_pairs_kernelI22helper_blocked_blockediLj512ELj3ELj10EEvPKT0_PS1_,comdat
.Lfunc_end43:
	.size	_Z17sort_pairs_kernelI22helper_blocked_blockediLj512ELj3ELj10EEvPKT0_PS1_, .Lfunc_end43-_Z17sort_pairs_kernelI22helper_blocked_blockediLj512ELj3ELj10EEvPKT0_PS1_
                                        ; -- End function
	.section	.AMDGPU.csdata,"",@progbits
; Kernel info:
; codeLenInByte = 2688
; NumSgprs: 22
; NumVgprs: 40
; ScratchSize: 0
; MemoryBound: 0
; FloatMode: 240
; IeeeMode: 1
; LDSByteSize: 16448 bytes/workgroup (compile time only)
; SGPRBlocks: 2
; VGPRBlocks: 4
; NumSGPRsForWavesPerEU: 22
; NumVGPRsForWavesPerEU: 40
; Occupancy: 16
; WaveLimiterHint : 1
; COMPUTE_PGM_RSRC2:SCRATCH_EN: 0
; COMPUTE_PGM_RSRC2:USER_SGPR: 15
; COMPUTE_PGM_RSRC2:TRAP_HANDLER: 0
; COMPUTE_PGM_RSRC2:TGID_X_EN: 1
; COMPUTE_PGM_RSRC2:TGID_Y_EN: 0
; COMPUTE_PGM_RSRC2:TGID_Z_EN: 0
; COMPUTE_PGM_RSRC2:TIDIG_COMP_CNT: 2
	.section	.text._Z16sort_keys_kernelI22helper_blocked_blockediLj512ELj4ELj10EEvPKT0_PS1_,"axG",@progbits,_Z16sort_keys_kernelI22helper_blocked_blockediLj512ELj4ELj10EEvPKT0_PS1_,comdat
	.protected	_Z16sort_keys_kernelI22helper_blocked_blockediLj512ELj4ELj10EEvPKT0_PS1_ ; -- Begin function _Z16sort_keys_kernelI22helper_blocked_blockediLj512ELj4ELj10EEvPKT0_PS1_
	.globl	_Z16sort_keys_kernelI22helper_blocked_blockediLj512ELj4ELj10EEvPKT0_PS1_
	.p2align	8
	.type	_Z16sort_keys_kernelI22helper_blocked_blockediLj512ELj4ELj10EEvPKT0_PS1_,@function
_Z16sort_keys_kernelI22helper_blocked_blockediLj512ELj4ELj10EEvPKT0_PS1_: ; @_Z16sort_keys_kernelI22helper_blocked_blockediLj512ELj4ELj10EEvPKT0_PS1_
; %bb.0:
	s_clause 0x1
	s_load_b128 s[16:19], s[0:1], 0x0
	s_load_b32 s2, s[0:1], 0x1c
	v_mbcnt_lo_u32_b32 v9, -1, 0
	v_and_b32_e32 v8, 0x3ff, v0
	s_mov_b32 s21, 0
	s_lshl_b32 s20, s15, 11
	s_delay_alu instid0(SALU_CYCLE_1)
	s_lshl_b64 s[14:15], s[20:21], 2
	s_mov_b32 s20, s21
	v_lshlrev_b32_e32 v7, 2, v8
	v_cmp_eq_u32_e64 s11, 0, v9
	s_waitcnt lgkmcnt(0)
	s_add_u32 s0, s16, s14
	s_addc_u32 s1, s17, s15
	v_add_co_u32 v1, s3, s0, v7
	s_delay_alu instid0(VALU_DEP_1) | instskip(SKIP_1) | instid1(VALU_DEP_2)
	v_add_co_ci_u32_e64 v2, null, s1, 0, s3
	s_mov_b32 s16, s21
	v_add_co_u32 v5, vcc_lo, 0x1000, v1
	s_delay_alu instid0(VALU_DEP_2)
	v_add_co_ci_u32_e32 v6, vcc_lo, 0, v2, vcc_lo
	s_mov_b32 s17, s21
	s_clause 0x3
	global_load_b32 v2, v7, s[0:1]
	global_load_b32 v3, v7, s[0:1] offset:2048
	global_load_b32 v4, v[5:6], off
	global_load_b32 v1, v[5:6], off offset:2048
	v_bfe_u32 v5, v0, 10, 10
	v_bfe_u32 v0, v0, 20, 10
	s_lshr_b32 s1, s2, 16
	s_and_b32 s2, s2, 0xffff
	v_dual_mov_b32 v11, s16 :: v_dual_and_b32 v10, 3, v9
	s_delay_alu instid0(VALU_DEP_2) | instskip(SKIP_1) | instid1(VALU_DEP_3)
	v_mad_u32_u24 v0, v0, s1, v5
	v_dual_mov_b32 v12, s17 :: v_dual_and_b32 v13, 28, v9
	v_cmp_eq_u32_e64 s0, 3, v10
	v_cmp_eq_u32_e64 s1, 2, v10
	s_delay_alu instid0(VALU_DEP_4)
	v_mad_u64_u32 v[5:6], null, v0, s2, v[8:9]
	v_add_nc_u32_e32 v6, -1, v9
	v_and_b32_e32 v0, 15, v9
	v_cmp_eq_u32_e64 s2, 1, v10
	v_or_b32_e32 v15, 32, v13
	v_or_b32_e32 v16, 64, v13
	v_cmp_gt_i32_e32 vcc_lo, 0, v6
	v_lshrrev_b32_e32 v19, 5, v5
	v_and_b32_e32 v5, 16, v9
	v_cmp_eq_u32_e64 s3, 0, v0
	v_cmp_lt_u32_e64 s4, 1, v0
	v_cmp_lt_u32_e64 s5, 3, v0
	;; [unrolled: 1-line block ×3, first 2 shown]
	v_cmp_eq_u32_e64 s7, 0, v5
	v_cndmask_b32_e32 v5, v6, v9, vcc_lo
	v_or_b32_e32 v0, 31, v8
	v_lshlrev_b32_e32 v14, 5, v8
	v_lshrrev_b32_e32 v6, 3, v8
	v_or_b32_e32 v17, 0x60, v13
	v_cmp_gt_u32_e64 s9, 16, v8
	v_cmp_eq_u32_e64 s8, v0, v8
	v_and_or_b32 v0, 0x780, v7, v9
	v_mov_b32_e32 v9, s20
	v_and_b32_e32 v21, 60, v6
	v_mad_i32_i24 v22, 0xffffffe4, v8, v14
	v_add_nc_u32_e32 v18, 64, v14
	v_lshlrev_b32_e32 v24, 2, v0
	v_mul_u32_u24_e32 v0, 12, v8
	v_cmp_lt_u32_e64 s10, 31, v8
	v_lshlrev_b32_e32 v20, 2, v5
	v_cmp_eq_u32_e64 s12, 0, v8
	v_dual_mov_b32 v10, s21 :: v_dual_add_nc_u32 v23, -4, v21
	v_add_nc_u32_e32 v25, v22, v0
	s_branch .LBB44_2
.LBB44_1:                               ;   in Loop: Header=BB44_2 Depth=1
	v_lshlrev_b32_e32 v0, 2, v7
	v_lshlrev_b32_e32 v1, 2, v6
	;; [unrolled: 1-line block ×4, first 2 shown]
	s_barrier
	buffer_gl0_inv
	ds_store_b32 v0, v26
	ds_store_b32 v1, v29
	;; [unrolled: 1-line block ×4, first 2 shown]
	s_waitcnt lgkmcnt(0)
	s_barrier
	buffer_gl0_inv
	ds_load_2addr_b64 v[2:5], v25 offset1:1
	s_add_i32 s21, s21, 1
	s_delay_alu instid0(SALU_CYCLE_1)
	s_cmp_eq_u32 s21, 10
	s_waitcnt lgkmcnt(0)
	v_xor_b32_e32 v2, 0x80000000, v2
	v_xor_b32_e32 v3, 0x80000000, v3
	;; [unrolled: 1-line block ×4, first 2 shown]
	s_cbranch_scc1 .LBB44_20
.LBB44_2:                               ; =>This Loop Header: Depth=1
                                        ;     Child Loop BB44_4 Depth 2
	s_waitcnt vmcnt(3)
	v_xor_b32_e32 v0, 0x80000000, v2
	s_waitcnt vmcnt(2)
	v_xor_b32_e32 v2, 0x80000000, v3
	;; [unrolled: 2-line block ×4, first 2 shown]
	s_mov_b32 s16, 0
	ds_bpermute_b32 v4, v13, v0
	ds_bpermute_b32 v5, v13, v2
	;; [unrolled: 1-line block ×16, first 2 shown]
	s_waitcnt lgkmcnt(0)
	s_barrier
	v_cndmask_b32_e64 v1, v4, v5, s2
	v_cndmask_b32_e64 v4, v6, v7, s2
	;; [unrolled: 1-line block ×4, first 2 shown]
	s_delay_alu instid0(VALU_DEP_4) | instskip(NEXT) | instid1(VALU_DEP_4)
	v_cndmask_b32_e64 v1, v1, v28, s1
	v_cndmask_b32_e64 v2, v4, v29, s1
	s_delay_alu instid0(VALU_DEP_4) | instskip(NEXT) | instid1(VALU_DEP_4)
	v_cndmask_b32_e64 v4, v5, v30, s1
	v_cndmask_b32_e64 v3, v0, v3, s1
	;; [unrolled: 3-line block ×4, first 2 shown]
	s_branch .LBB44_4
.LBB44_3:                               ;   in Loop: Header=BB44_4 Depth=2
	v_lshlrev_b32_e32 v0, 2, v7
	v_lshlrev_b32_e32 v1, 2, v6
	v_lshlrev_b32_e32 v2, 2, v5
	v_lshlrev_b32_e32 v3, 2, v4
	s_barrier
	buffer_gl0_inv
	ds_store_b32 v0, v26
	ds_store_b32 v1, v29
	;; [unrolled: 1-line block ×4, first 2 shown]
	s_waitcnt lgkmcnt(0)
	s_barrier
	buffer_gl0_inv
	ds_load_2addr_b32 v[0:1], v24 offset1:32
	ds_load_2addr_b32 v[2:3], v24 offset0:64 offset1:96
	s_add_i32 s16, s16, 8
	s_waitcnt lgkmcnt(0)
	s_barrier
	s_cbranch_execz .LBB44_1
.LBB44_4:                               ;   Parent Loop BB44_2 Depth=1
                                        ; =>  This Inner Loop Header: Depth=2
	v_mov_b32_e32 v26, v0
	buffer_gl0_inv
	ds_store_2addr_b64 v14, v[9:10], v[11:12] offset0:8 offset1:9
	ds_store_2addr_b64 v18, v[9:10], v[11:12] offset0:2 offset1:3
	s_waitcnt lgkmcnt(0)
	s_barrier
	v_lshrrev_b32_e32 v4, s16, v26
	buffer_gl0_inv
	; wave barrier
	v_lshlrev_b32_e32 v7, 29, v4
	v_bfe_u32 v0, v26, s16, 1
	v_lshlrev_b32_e32 v6, 30, v4
	v_lshlrev_b32_e32 v27, 28, v4
	;; [unrolled: 1-line block ×4, first 2 shown]
	v_add_co_u32 v0, s13, v0, -1
	s_delay_alu instid0(VALU_DEP_1) | instskip(SKIP_3) | instid1(VALU_DEP_4)
	v_cndmask_b32_e64 v5, 0, 1, s13
	v_cmp_gt_i32_e64 s13, 0, v6
	v_lshlrev_b32_e32 v30, 25, v4
	v_lshlrev_b32_e32 v4, 24, v4
	v_cmp_ne_u32_e32 vcc_lo, 0, v5
	v_not_b32_e32 v5, v6
	v_not_b32_e32 v6, v7
	v_xor_b32_e32 v0, vcc_lo, v0
	s_delay_alu instid0(VALU_DEP_3)
	v_ashrrev_i32_e32 v5, 31, v5
	v_cmp_gt_i32_e32 vcc_lo, 0, v7
	v_not_b32_e32 v7, v27
	v_ashrrev_i32_e32 v6, 31, v6
	v_and_b32_e32 v0, exec_lo, v0
	v_xor_b32_e32 v5, s13, v5
	v_cmp_gt_i32_e64 s13, 0, v27
	v_ashrrev_i32_e32 v7, 31, v7
	v_xor_b32_e32 v6, vcc_lo, v6
	s_delay_alu instid0(VALU_DEP_4) | instskip(SKIP_1) | instid1(VALU_DEP_4)
	v_and_b32_e32 v0, v0, v5
	v_not_b32_e32 v5, v29
	v_xor_b32_e32 v7, s13, v7
	v_cmp_gt_i32_e64 s13, 0, v29
	v_mov_b32_e32 v29, v1
	v_not_b32_e32 v27, v28
	v_cmp_gt_i32_e32 vcc_lo, 0, v28
	v_and_b32_e32 v0, v0, v6
	v_not_b32_e32 v6, v30
	v_ashrrev_i32_e32 v5, 31, v5
	v_ashrrev_i32_e32 v27, 31, v27
	v_bfe_u32 v1, v26, s16, 8
	v_and_b32_e32 v0, v0, v7
	v_not_b32_e32 v7, v4
	v_ashrrev_i32_e32 v6, 31, v6
	v_xor_b32_e32 v27, vcc_lo, v27
	v_cmp_gt_i32_e32 vcc_lo, 0, v30
	v_xor_b32_e32 v5, s13, v5
	v_cmp_gt_i32_e64 s13, 0, v4
	v_ashrrev_i32_e32 v4, 31, v7
	v_and_b32_e32 v0, v0, v27
	v_xor_b32_e32 v6, vcc_lo, v6
	v_lshl_add_u32 v1, v1, 4, v19
	v_mov_b32_e32 v27, v3
	v_xor_b32_e32 v4, s13, v4
	v_and_b32_e32 v0, v0, v5
	v_mov_b32_e32 v28, v2
	v_lshl_add_u32 v31, v1, 2, 64
	s_delay_alu instid0(VALU_DEP_3) | instskip(NEXT) | instid1(VALU_DEP_1)
	v_and_b32_e32 v0, v0, v6
	v_and_b32_e32 v0, v0, v4
	s_delay_alu instid0(VALU_DEP_1) | instskip(SKIP_1) | instid1(VALU_DEP_2)
	v_mbcnt_lo_u32_b32 v30, v0, 0
	v_cmp_ne_u32_e64 s13, 0, v0
	v_cmp_eq_u32_e32 vcc_lo, 0, v30
	s_delay_alu instid0(VALU_DEP_2) | instskip(NEXT) | instid1(SALU_CYCLE_1)
	s_and_b32 s17, s13, vcc_lo
	s_and_saveexec_b32 s13, s17
	s_cbranch_execz .LBB44_6
; %bb.5:                                ;   in Loop: Header=BB44_4 Depth=2
	v_bcnt_u32_b32 v0, v0, 0
	ds_store_b32 v31, v0
.LBB44_6:                               ;   in Loop: Header=BB44_4 Depth=2
	s_or_b32 exec_lo, exec_lo, s13
	v_bfe_u32 v0, v29, s16, 1
	v_lshrrev_b32_e32 v1, s16, v29
	; wave barrier
	s_delay_alu instid0(VALU_DEP_2) | instskip(NEXT) | instid1(VALU_DEP_1)
	v_add_co_u32 v0, s13, v0, -1
	v_cndmask_b32_e64 v2, 0, 1, s13
	s_delay_alu instid0(VALU_DEP_3)
	v_lshlrev_b32_e32 v3, 30, v1
	v_lshlrev_b32_e32 v4, 29, v1
	;; [unrolled: 1-line block ×4, first 2 shown]
	v_cmp_ne_u32_e32 vcc_lo, 0, v2
	v_not_b32_e32 v2, v3
	v_cmp_gt_i32_e64 s13, 0, v3
	v_not_b32_e32 v3, v4
	v_lshlrev_b32_e32 v7, 26, v1
	v_xor_b32_e32 v0, vcc_lo, v0
	v_ashrrev_i32_e32 v2, 31, v2
	v_cmp_gt_i32_e32 vcc_lo, 0, v4
	v_not_b32_e32 v4, v5
	v_ashrrev_i32_e32 v3, 31, v3
	v_and_b32_e32 v0, exec_lo, v0
	v_xor_b32_e32 v2, s13, v2
	v_cmp_gt_i32_e64 s13, 0, v5
	v_not_b32_e32 v5, v6
	v_ashrrev_i32_e32 v4, 31, v4
	v_xor_b32_e32 v3, vcc_lo, v3
	v_and_b32_e32 v0, v0, v2
	v_cmp_gt_i32_e32 vcc_lo, 0, v6
	v_not_b32_e32 v2, v7
	v_ashrrev_i32_e32 v5, 31, v5
	v_xor_b32_e32 v4, s13, v4
	v_and_b32_e32 v0, v0, v3
	v_lshlrev_b32_e32 v3, 25, v1
	v_cmp_gt_i32_e64 s13, 0, v7
	v_ashrrev_i32_e32 v2, 31, v2
	v_xor_b32_e32 v5, vcc_lo, v5
	v_and_b32_e32 v0, v0, v4
	v_not_b32_e32 v6, v3
	v_lshlrev_b32_e32 v1, 24, v1
	v_bfe_u32 v4, v29, s16, 8
	v_xor_b32_e32 v2, s13, v2
	v_and_b32_e32 v0, v0, v5
	v_cmp_gt_i32_e32 vcc_lo, 0, v3
	v_ashrrev_i32_e32 v3, 31, v6
	v_not_b32_e32 v5, v1
	v_lshlrev_b32_e32 v4, 4, v4
	v_and_b32_e32 v0, v0, v2
	s_delay_alu instid0(VALU_DEP_4) | instskip(SKIP_3) | instid1(VALU_DEP_4)
	v_xor_b32_e32 v2, vcc_lo, v3
	v_cmp_gt_i32_e32 vcc_lo, 0, v1
	v_ashrrev_i32_e32 v1, 31, v5
	v_add_lshl_u32 v3, v4, v19, 2
	v_and_b32_e32 v0, v0, v2
	s_delay_alu instid0(VALU_DEP_3) | instskip(SKIP_3) | instid1(VALU_DEP_1)
	v_xor_b32_e32 v1, vcc_lo, v1
	ds_load_b32 v32, v3 offset:64
	v_add_nc_u32_e32 v34, 64, v3
	; wave barrier
	v_and_b32_e32 v0, v0, v1
	v_mbcnt_lo_u32_b32 v33, v0, 0
	v_cmp_ne_u32_e64 s13, 0, v0
	s_delay_alu instid0(VALU_DEP_2) | instskip(NEXT) | instid1(VALU_DEP_2)
	v_cmp_eq_u32_e32 vcc_lo, 0, v33
	s_and_b32 s17, s13, vcc_lo
	s_delay_alu instid0(SALU_CYCLE_1)
	s_and_saveexec_b32 s13, s17
	s_cbranch_execz .LBB44_8
; %bb.7:                                ;   in Loop: Header=BB44_4 Depth=2
	s_waitcnt lgkmcnt(0)
	v_bcnt_u32_b32 v0, v0, v32
	ds_store_b32 v34, v0
.LBB44_8:                               ;   in Loop: Header=BB44_4 Depth=2
	s_or_b32 exec_lo, exec_lo, s13
	v_bfe_u32 v0, v28, s16, 1
	v_lshrrev_b32_e32 v1, s16, v28
	; wave barrier
	s_delay_alu instid0(VALU_DEP_2) | instskip(NEXT) | instid1(VALU_DEP_1)
	v_add_co_u32 v0, s13, v0, -1
	v_cndmask_b32_e64 v2, 0, 1, s13
	s_delay_alu instid0(VALU_DEP_3)
	v_lshlrev_b32_e32 v3, 30, v1
	v_lshlrev_b32_e32 v4, 29, v1
	;; [unrolled: 1-line block ×4, first 2 shown]
	v_cmp_ne_u32_e32 vcc_lo, 0, v2
	v_not_b32_e32 v2, v3
	v_cmp_gt_i32_e64 s13, 0, v3
	v_not_b32_e32 v3, v4
	v_lshlrev_b32_e32 v7, 26, v1
	v_xor_b32_e32 v0, vcc_lo, v0
	v_ashrrev_i32_e32 v2, 31, v2
	v_cmp_gt_i32_e32 vcc_lo, 0, v4
	v_not_b32_e32 v4, v5
	v_ashrrev_i32_e32 v3, 31, v3
	v_and_b32_e32 v0, exec_lo, v0
	v_xor_b32_e32 v2, s13, v2
	v_cmp_gt_i32_e64 s13, 0, v5
	v_not_b32_e32 v5, v6
	v_ashrrev_i32_e32 v4, 31, v4
	v_xor_b32_e32 v3, vcc_lo, v3
	v_and_b32_e32 v0, v0, v2
	v_cmp_gt_i32_e32 vcc_lo, 0, v6
	v_not_b32_e32 v2, v7
	v_ashrrev_i32_e32 v5, 31, v5
	v_xor_b32_e32 v4, s13, v4
	v_and_b32_e32 v0, v0, v3
	v_lshlrev_b32_e32 v3, 25, v1
	v_cmp_gt_i32_e64 s13, 0, v7
	v_ashrrev_i32_e32 v2, 31, v2
	v_xor_b32_e32 v5, vcc_lo, v5
	v_and_b32_e32 v0, v0, v4
	v_not_b32_e32 v6, v3
	v_lshlrev_b32_e32 v1, 24, v1
	v_bfe_u32 v4, v28, s16, 8
	v_xor_b32_e32 v2, s13, v2
	v_and_b32_e32 v0, v0, v5
	v_cmp_gt_i32_e32 vcc_lo, 0, v3
	v_ashrrev_i32_e32 v3, 31, v6
	v_not_b32_e32 v5, v1
	v_lshlrev_b32_e32 v4, 4, v4
	v_and_b32_e32 v0, v0, v2
	s_delay_alu instid0(VALU_DEP_4) | instskip(SKIP_3) | instid1(VALU_DEP_4)
	v_xor_b32_e32 v2, vcc_lo, v3
	v_cmp_gt_i32_e32 vcc_lo, 0, v1
	v_ashrrev_i32_e32 v1, 31, v5
	v_add_lshl_u32 v3, v4, v19, 2
	v_and_b32_e32 v0, v0, v2
	s_delay_alu instid0(VALU_DEP_3) | instskip(SKIP_3) | instid1(VALU_DEP_1)
	v_xor_b32_e32 v1, vcc_lo, v1
	ds_load_b32 v35, v3 offset:64
	v_add_nc_u32_e32 v37, 64, v3
	; wave barrier
	v_and_b32_e32 v0, v0, v1
	v_mbcnt_lo_u32_b32 v36, v0, 0
	v_cmp_ne_u32_e64 s13, 0, v0
	s_delay_alu instid0(VALU_DEP_2) | instskip(NEXT) | instid1(VALU_DEP_2)
	v_cmp_eq_u32_e32 vcc_lo, 0, v36
	s_and_b32 s17, s13, vcc_lo
	s_delay_alu instid0(SALU_CYCLE_1)
	s_and_saveexec_b32 s13, s17
	s_cbranch_execz .LBB44_10
; %bb.9:                                ;   in Loop: Header=BB44_4 Depth=2
	s_waitcnt lgkmcnt(0)
	v_bcnt_u32_b32 v0, v0, v35
	ds_store_b32 v37, v0
.LBB44_10:                              ;   in Loop: Header=BB44_4 Depth=2
	s_or_b32 exec_lo, exec_lo, s13
	v_bfe_u32 v0, v27, s16, 1
	v_lshrrev_b32_e32 v1, s16, v27
	; wave barrier
	s_delay_alu instid0(VALU_DEP_2) | instskip(NEXT) | instid1(VALU_DEP_1)
	v_add_co_u32 v0, s13, v0, -1
	v_cndmask_b32_e64 v2, 0, 1, s13
	s_delay_alu instid0(VALU_DEP_3)
	v_lshlrev_b32_e32 v3, 30, v1
	v_lshlrev_b32_e32 v4, 29, v1
	;; [unrolled: 1-line block ×4, first 2 shown]
	v_cmp_ne_u32_e32 vcc_lo, 0, v2
	v_not_b32_e32 v2, v3
	v_cmp_gt_i32_e64 s13, 0, v3
	v_not_b32_e32 v3, v4
	v_lshlrev_b32_e32 v7, 26, v1
	v_xor_b32_e32 v0, vcc_lo, v0
	v_ashrrev_i32_e32 v2, 31, v2
	v_cmp_gt_i32_e32 vcc_lo, 0, v4
	v_not_b32_e32 v4, v5
	v_ashrrev_i32_e32 v3, 31, v3
	v_and_b32_e32 v0, exec_lo, v0
	v_xor_b32_e32 v2, s13, v2
	v_cmp_gt_i32_e64 s13, 0, v5
	v_not_b32_e32 v5, v6
	v_ashrrev_i32_e32 v4, 31, v4
	v_xor_b32_e32 v3, vcc_lo, v3
	v_and_b32_e32 v0, v0, v2
	v_cmp_gt_i32_e32 vcc_lo, 0, v6
	v_not_b32_e32 v2, v7
	v_ashrrev_i32_e32 v5, 31, v5
	v_xor_b32_e32 v4, s13, v4
	v_and_b32_e32 v0, v0, v3
	v_lshlrev_b32_e32 v3, 25, v1
	v_cmp_gt_i32_e64 s13, 0, v7
	v_ashrrev_i32_e32 v2, 31, v2
	v_xor_b32_e32 v5, vcc_lo, v5
	v_and_b32_e32 v0, v0, v4
	v_not_b32_e32 v6, v3
	v_lshlrev_b32_e32 v1, 24, v1
	v_bfe_u32 v4, v27, s16, 8
	v_xor_b32_e32 v2, s13, v2
	v_and_b32_e32 v0, v0, v5
	v_cmp_gt_i32_e32 vcc_lo, 0, v3
	v_ashrrev_i32_e32 v3, 31, v6
	v_not_b32_e32 v5, v1
	v_lshlrev_b32_e32 v4, 4, v4
	v_and_b32_e32 v0, v0, v2
	s_delay_alu instid0(VALU_DEP_4) | instskip(SKIP_3) | instid1(VALU_DEP_4)
	v_xor_b32_e32 v2, vcc_lo, v3
	v_cmp_gt_i32_e32 vcc_lo, 0, v1
	v_ashrrev_i32_e32 v1, 31, v5
	v_add_lshl_u32 v3, v4, v19, 2
	v_and_b32_e32 v0, v0, v2
	s_delay_alu instid0(VALU_DEP_3) | instskip(SKIP_3) | instid1(VALU_DEP_1)
	v_xor_b32_e32 v1, vcc_lo, v1
	ds_load_b32 v38, v3 offset:64
	v_add_nc_u32_e32 v40, 64, v3
	; wave barrier
	v_and_b32_e32 v0, v0, v1
	v_mbcnt_lo_u32_b32 v39, v0, 0
	v_cmp_ne_u32_e64 s13, 0, v0
	s_delay_alu instid0(VALU_DEP_2) | instskip(NEXT) | instid1(VALU_DEP_2)
	v_cmp_eq_u32_e32 vcc_lo, 0, v39
	s_and_b32 s17, s13, vcc_lo
	s_delay_alu instid0(SALU_CYCLE_1)
	s_and_saveexec_b32 s13, s17
	s_cbranch_execz .LBB44_12
; %bb.11:                               ;   in Loop: Header=BB44_4 Depth=2
	s_waitcnt lgkmcnt(0)
	v_bcnt_u32_b32 v0, v0, v38
	ds_store_b32 v40, v0
.LBB44_12:                              ;   in Loop: Header=BB44_4 Depth=2
	s_or_b32 exec_lo, exec_lo, s13
	; wave barrier
	s_waitcnt lgkmcnt(0)
	s_barrier
	buffer_gl0_inv
	ds_load_2addr_b64 v[4:7], v14 offset0:8 offset1:9
	ds_load_2addr_b64 v[0:3], v18 offset0:2 offset1:3
	s_waitcnt lgkmcnt(1)
	v_add_nc_u32_e32 v41, v5, v4
	s_delay_alu instid0(VALU_DEP_1) | instskip(SKIP_1) | instid1(VALU_DEP_1)
	v_add3_u32 v41, v41, v6, v7
	s_waitcnt lgkmcnt(0)
	v_add3_u32 v41, v41, v0, v1
	s_delay_alu instid0(VALU_DEP_1) | instskip(NEXT) | instid1(VALU_DEP_1)
	v_add3_u32 v3, v41, v2, v3
	v_mov_b32_dpp v41, v3 row_shr:1 row_mask:0xf bank_mask:0xf
	s_delay_alu instid0(VALU_DEP_1) | instskip(NEXT) | instid1(VALU_DEP_1)
	v_cndmask_b32_e64 v41, v41, 0, s3
	v_add_nc_u32_e32 v3, v41, v3
	s_delay_alu instid0(VALU_DEP_1) | instskip(NEXT) | instid1(VALU_DEP_1)
	v_mov_b32_dpp v41, v3 row_shr:2 row_mask:0xf bank_mask:0xf
	v_cndmask_b32_e64 v41, 0, v41, s4
	s_delay_alu instid0(VALU_DEP_1) | instskip(NEXT) | instid1(VALU_DEP_1)
	v_add_nc_u32_e32 v3, v3, v41
	v_mov_b32_dpp v41, v3 row_shr:4 row_mask:0xf bank_mask:0xf
	s_delay_alu instid0(VALU_DEP_1) | instskip(NEXT) | instid1(VALU_DEP_1)
	v_cndmask_b32_e64 v41, 0, v41, s5
	v_add_nc_u32_e32 v3, v3, v41
	s_delay_alu instid0(VALU_DEP_1) | instskip(NEXT) | instid1(VALU_DEP_1)
	v_mov_b32_dpp v41, v3 row_shr:8 row_mask:0xf bank_mask:0xf
	v_cndmask_b32_e64 v41, 0, v41, s6
	s_delay_alu instid0(VALU_DEP_1) | instskip(SKIP_3) | instid1(VALU_DEP_1)
	v_add_nc_u32_e32 v3, v3, v41
	ds_swizzle_b32 v41, v3 offset:swizzle(BROADCAST,32,15)
	s_waitcnt lgkmcnt(0)
	v_cndmask_b32_e64 v41, v41, 0, s7
	v_add_nc_u32_e32 v3, v3, v41
	s_and_saveexec_b32 s13, s8
	s_cbranch_execz .LBB44_14
; %bb.13:                               ;   in Loop: Header=BB44_4 Depth=2
	ds_store_b32 v21, v3
.LBB44_14:                              ;   in Loop: Header=BB44_4 Depth=2
	s_or_b32 exec_lo, exec_lo, s13
	s_waitcnt lgkmcnt(0)
	s_barrier
	buffer_gl0_inv
	s_and_saveexec_b32 s13, s9
	s_cbranch_execz .LBB44_16
; %bb.15:                               ;   in Loop: Header=BB44_4 Depth=2
	ds_load_b32 v41, v22
	s_waitcnt lgkmcnt(0)
	v_mov_b32_dpp v42, v41 row_shr:1 row_mask:0xf bank_mask:0xf
	s_delay_alu instid0(VALU_DEP_1) | instskip(NEXT) | instid1(VALU_DEP_1)
	v_cndmask_b32_e64 v42, v42, 0, s3
	v_add_nc_u32_e32 v41, v42, v41
	s_delay_alu instid0(VALU_DEP_1) | instskip(NEXT) | instid1(VALU_DEP_1)
	v_mov_b32_dpp v42, v41 row_shr:2 row_mask:0xf bank_mask:0xf
	v_cndmask_b32_e64 v42, 0, v42, s4
	s_delay_alu instid0(VALU_DEP_1) | instskip(NEXT) | instid1(VALU_DEP_1)
	v_add_nc_u32_e32 v41, v41, v42
	v_mov_b32_dpp v42, v41 row_shr:4 row_mask:0xf bank_mask:0xf
	s_delay_alu instid0(VALU_DEP_1) | instskip(NEXT) | instid1(VALU_DEP_1)
	v_cndmask_b32_e64 v42, 0, v42, s5
	v_add_nc_u32_e32 v41, v41, v42
	s_delay_alu instid0(VALU_DEP_1) | instskip(NEXT) | instid1(VALU_DEP_1)
	v_mov_b32_dpp v42, v41 row_shr:8 row_mask:0xf bank_mask:0xf
	v_cndmask_b32_e64 v42, 0, v42, s6
	s_delay_alu instid0(VALU_DEP_1)
	v_add_nc_u32_e32 v41, v41, v42
	ds_store_b32 v22, v41
.LBB44_16:                              ;   in Loop: Header=BB44_4 Depth=2
	s_or_b32 exec_lo, exec_lo, s13
	v_mov_b32_e32 v41, 0
	s_waitcnt lgkmcnt(0)
	s_barrier
	buffer_gl0_inv
	s_and_saveexec_b32 s13, s10
	s_cbranch_execz .LBB44_18
; %bb.17:                               ;   in Loop: Header=BB44_4 Depth=2
	ds_load_b32 v41, v23
.LBB44_18:                              ;   in Loop: Header=BB44_4 Depth=2
	s_or_b32 exec_lo, exec_lo, s13
	s_waitcnt lgkmcnt(0)
	v_add_nc_u32_e32 v3, v41, v3
	s_cmp_gt_u32 s16, 23
	ds_bpermute_b32 v3, v20, v3
	s_waitcnt lgkmcnt(0)
	v_cndmask_b32_e64 v3, v3, v41, s11
	s_delay_alu instid0(VALU_DEP_1) | instskip(NEXT) | instid1(VALU_DEP_1)
	v_cndmask_b32_e64 v3, v3, 0, s12
	v_add_nc_u32_e32 v4, v3, v4
	s_delay_alu instid0(VALU_DEP_1) | instskip(NEXT) | instid1(VALU_DEP_1)
	v_add_nc_u32_e32 v5, v4, v5
	v_add_nc_u32_e32 v6, v5, v6
	s_delay_alu instid0(VALU_DEP_1) | instskip(NEXT) | instid1(VALU_DEP_1)
	v_add_nc_u32_e32 v41, v6, v7
	;; [unrolled: 3-line block ×3, first 2 shown]
	v_add_nc_u32_e32 v1, v0, v2
	ds_store_2addr_b64 v14, v[3:4], v[5:6] offset0:8 offset1:9
	ds_store_2addr_b64 v18, v[41:42], v[0:1] offset0:2 offset1:3
	s_waitcnt lgkmcnt(0)
	s_barrier
	buffer_gl0_inv
	ds_load_b32 v0, v31
	ds_load_b32 v1, v34
	;; [unrolled: 1-line block ×4, first 2 shown]
	s_waitcnt lgkmcnt(3)
	v_add_nc_u32_e32 v7, v0, v30
	s_waitcnt lgkmcnt(2)
	v_add3_u32 v6, v33, v32, v1
	s_waitcnt lgkmcnt(1)
	v_add3_u32 v5, v36, v35, v2
	s_waitcnt lgkmcnt(0)
	v_add3_u32 v4, v39, v38, v3
	s_cbranch_scc0 .LBB44_3
; %bb.19:                               ;   in Loop: Header=BB44_2 Depth=1
                                        ; implicit-def: $vgpr3
                                        ; implicit-def: $vgpr1
                                        ; implicit-def: $sgpr16
	s_branch .LBB44_1
.LBB44_20:
	v_lshlrev_b32_e32 v0, 2, v8
	s_add_u32 s0, s18, s14
	s_addc_u32 s1, s19, s15
	s_delay_alu instid0(VALU_DEP_1) | instskip(NEXT) | instid1(VALU_DEP_1)
	v_add_co_u32 v5, s2, s0, v0
	v_add_co_ci_u32_e64 v6, null, s1, 0, s2
	s_delay_alu instid0(VALU_DEP_2) | instskip(NEXT) | instid1(VALU_DEP_2)
	v_add_co_u32 v5, vcc_lo, 0x1000, v5
	v_add_co_ci_u32_e32 v6, vcc_lo, 0, v6, vcc_lo
	s_clause 0x3
	global_store_b32 v0, v2, s[0:1]
	global_store_b32 v0, v3, s[0:1] offset:2048
	global_store_b32 v[5:6], v4, off
	global_store_b32 v[5:6], v1, off offset:2048
	s_nop 0
	s_sendmsg sendmsg(MSG_DEALLOC_VGPRS)
	s_endpgm
	.section	.rodata,"a",@progbits
	.p2align	6, 0x0
	.amdhsa_kernel _Z16sort_keys_kernelI22helper_blocked_blockediLj512ELj4ELj10EEvPKT0_PS1_
		.amdhsa_group_segment_fixed_size 16448
		.amdhsa_private_segment_fixed_size 0
		.amdhsa_kernarg_size 272
		.amdhsa_user_sgpr_count 15
		.amdhsa_user_sgpr_dispatch_ptr 0
		.amdhsa_user_sgpr_queue_ptr 0
		.amdhsa_user_sgpr_kernarg_segment_ptr 1
		.amdhsa_user_sgpr_dispatch_id 0
		.amdhsa_user_sgpr_private_segment_size 0
		.amdhsa_wavefront_size32 1
		.amdhsa_uses_dynamic_stack 0
		.amdhsa_enable_private_segment 0
		.amdhsa_system_sgpr_workgroup_id_x 1
		.amdhsa_system_sgpr_workgroup_id_y 0
		.amdhsa_system_sgpr_workgroup_id_z 0
		.amdhsa_system_sgpr_workgroup_info 0
		.amdhsa_system_vgpr_workitem_id 2
		.amdhsa_next_free_vgpr 43
		.amdhsa_next_free_sgpr 22
		.amdhsa_reserve_vcc 1
		.amdhsa_float_round_mode_32 0
		.amdhsa_float_round_mode_16_64 0
		.amdhsa_float_denorm_mode_32 3
		.amdhsa_float_denorm_mode_16_64 3
		.amdhsa_dx10_clamp 1
		.amdhsa_ieee_mode 1
		.amdhsa_fp16_overflow 0
		.amdhsa_workgroup_processor_mode 1
		.amdhsa_memory_ordered 1
		.amdhsa_forward_progress 0
		.amdhsa_shared_vgpr_count 0
		.amdhsa_exception_fp_ieee_invalid_op 0
		.amdhsa_exception_fp_denorm_src 0
		.amdhsa_exception_fp_ieee_div_zero 0
		.amdhsa_exception_fp_ieee_overflow 0
		.amdhsa_exception_fp_ieee_underflow 0
		.amdhsa_exception_fp_ieee_inexact 0
		.amdhsa_exception_int_div_zero 0
	.end_amdhsa_kernel
	.section	.text._Z16sort_keys_kernelI22helper_blocked_blockediLj512ELj4ELj10EEvPKT0_PS1_,"axG",@progbits,_Z16sort_keys_kernelI22helper_blocked_blockediLj512ELj4ELj10EEvPKT0_PS1_,comdat
.Lfunc_end44:
	.size	_Z16sort_keys_kernelI22helper_blocked_blockediLj512ELj4ELj10EEvPKT0_PS1_, .Lfunc_end44-_Z16sort_keys_kernelI22helper_blocked_blockediLj512ELj4ELj10EEvPKT0_PS1_
                                        ; -- End function
	.section	.AMDGPU.csdata,"",@progbits
; Kernel info:
; codeLenInByte = 3084
; NumSgprs: 24
; NumVgprs: 43
; ScratchSize: 0
; MemoryBound: 0
; FloatMode: 240
; IeeeMode: 1
; LDSByteSize: 16448 bytes/workgroup (compile time only)
; SGPRBlocks: 2
; VGPRBlocks: 5
; NumSGPRsForWavesPerEU: 24
; NumVGPRsForWavesPerEU: 43
; Occupancy: 16
; WaveLimiterHint : 1
; COMPUTE_PGM_RSRC2:SCRATCH_EN: 0
; COMPUTE_PGM_RSRC2:USER_SGPR: 15
; COMPUTE_PGM_RSRC2:TRAP_HANDLER: 0
; COMPUTE_PGM_RSRC2:TGID_X_EN: 1
; COMPUTE_PGM_RSRC2:TGID_Y_EN: 0
; COMPUTE_PGM_RSRC2:TGID_Z_EN: 0
; COMPUTE_PGM_RSRC2:TIDIG_COMP_CNT: 2
	.section	.text._Z17sort_pairs_kernelI22helper_blocked_blockediLj512ELj4ELj10EEvPKT0_PS1_,"axG",@progbits,_Z17sort_pairs_kernelI22helper_blocked_blockediLj512ELj4ELj10EEvPKT0_PS1_,comdat
	.protected	_Z17sort_pairs_kernelI22helper_blocked_blockediLj512ELj4ELj10EEvPKT0_PS1_ ; -- Begin function _Z17sort_pairs_kernelI22helper_blocked_blockediLj512ELj4ELj10EEvPKT0_PS1_
	.globl	_Z17sort_pairs_kernelI22helper_blocked_blockediLj512ELj4ELj10EEvPKT0_PS1_
	.p2align	8
	.type	_Z17sort_pairs_kernelI22helper_blocked_blockediLj512ELj4ELj10EEvPKT0_PS1_,@function
_Z17sort_pairs_kernelI22helper_blocked_blockediLj512ELj4ELj10EEvPKT0_PS1_: ; @_Z17sort_pairs_kernelI22helper_blocked_blockediLj512ELj4ELj10EEvPKT0_PS1_
; %bb.0:
	s_clause 0x1
	s_load_b128 s[16:19], s[0:1], 0x0
	s_load_b32 s12, s[0:1], 0x1c
	v_and_b32_e32 v8, 0x3ff, v0
	s_mov_b32 s21, 0
	s_lshl_b32 s20, s15, 11
	v_bfe_u32 v18, v0, 10, 10
	s_lshl_b64 s[14:15], s[20:21], 2
	v_lshlrev_b32_e32 v3, 2, v8
	v_bfe_u32 v0, v0, 20, 10
	s_mov_b32 s20, s21
	s_delay_alu instid0(SALU_CYCLE_1) | instskip(SKIP_4) | instid1(VALU_DEP_1)
	v_dual_mov_b32 v11, s20 :: v_dual_mov_b32 v12, s21
	s_waitcnt lgkmcnt(0)
	s_add_u32 s0, s16, s14
	s_addc_u32 s1, s17, s15
	v_add_co_u32 v1, s2, s0, v3
	v_add_co_ci_u32_e64 v2, null, s1, 0, s2
	s_lshr_b32 s13, s12, 16
	s_delay_alu instid0(VALU_DEP_2) | instskip(NEXT) | instid1(VALU_DEP_2)
	v_add_co_u32 v1, vcc_lo, 0x1000, v1
	v_add_co_ci_u32_e32 v2, vcc_lo, 0, v2, vcc_lo
	s_clause 0x3
	global_load_b32 v7, v3, s[0:1]
	global_load_b32 v6, v3, s[0:1] offset:2048
	global_load_b32 v5, v[1:2], off
	global_load_b32 v4, v[1:2], off offset:2048
	v_mbcnt_lo_u32_b32 v2, -1, 0
	s_mov_b32 s1, s21
	s_mov_b32 s0, s21
	s_delay_alu instid0(SALU_CYCLE_1) | instskip(NEXT) | instid1(VALU_DEP_2)
	v_dual_mov_b32 v10, s1 :: v_dual_mov_b32 v9, s0
	v_add_nc_u32_e32 v21, -1, v2
	v_and_b32_e32 v19, 15, v2
	v_and_b32_e32 v20, 16, v2
	;; [unrolled: 1-line block ×3, first 2 shown]
	v_mad_u32_u24 v22, v0, s13, v18
	v_cmp_gt_i32_e32 vcc_lo, 0, v21
	v_lshlrev_b32_e32 v17, 5, v8
	v_cmp_eq_u32_e64 s4, 0, v19
	v_cmp_lt_u32_e64 s5, 1, v19
	v_cmp_lt_u32_e64 s6, 3, v19
	;; [unrolled: 1-line block ×3, first 2 shown]
	v_cmp_eq_u32_e64 s8, 0, v20
	v_or_b32_e32 v20, 31, v8
	v_dual_cndmask_b32 v21, v21, v2 :: v_dual_add_nc_u32 v18, 64, v17
	v_lshrrev_b32_e32 v19, 3, v8
	s_and_b32 s12, s12, 0xffff
	v_cmp_eq_u32_e64 s1, 3, v1
	v_cmp_eq_u32_e64 s2, 2, v1
	;; [unrolled: 1-line block ×3, first 2 shown]
	v_mad_u64_u32 v[0:1], null, v22, s12, v[8:9]
	v_and_b32_e32 v13, 28, v2
	v_mul_u32_u24_e32 v25, 12, v8
	v_and_b32_e32 v19, 60, v19
	v_and_or_b32 v1, 0x780, v3, v2
	v_cmp_eq_u32_e64 s12, v20, v8
	v_lshlrev_b32_e32 v20, 2, v21
	v_mad_i32_i24 v21, 0xffffffe4, v8, v17
	v_cmp_eq_u32_e64 s0, 0, v2
	v_or_b32_e32 v14, 32, v13
	v_or_b32_e32 v15, 64, v13
	;; [unrolled: 1-line block ×3, first 2 shown]
	v_cmp_gt_u32_e64 s9, 16, v8
	v_cmp_lt_u32_e64 s10, 31, v8
	v_cmp_eq_u32_e64 s11, 0, v8
	v_add_nc_u32_e32 v22, -4, v19
	v_lshlrev_b32_e32 v23, 2, v1
	v_lshrrev_b32_e32 v24, 5, v0
	v_add_nc_u32_e32 v25, v21, v25
	s_waitcnt vmcnt(3)
	v_add_nc_u32_e32 v0, 1, v7
	s_waitcnt vmcnt(2)
	;; [unrolled: 2-line block ×4, first 2 shown]
	v_add_nc_u32_e32 v3, 1, v4
	s_branch .LBB45_2
.LBB45_1:                               ;   in Loop: Header=BB45_2 Depth=1
	v_lshlrev_b32_e32 v0, 2, v38
	v_lshlrev_b32_e32 v1, 2, v36
	;; [unrolled: 1-line block ×4, first 2 shown]
	s_barrier
	buffer_gl0_inv
	ds_store_b32 v0, v26
	ds_store_b32 v1, v33
	;; [unrolled: 1-line block ×4, first 2 shown]
	s_waitcnt lgkmcnt(0)
	s_barrier
	buffer_gl0_inv
	ds_load_2addr_b64 v[32:35], v25 offset1:1
	s_waitcnt lgkmcnt(0)
	s_barrier
	buffer_gl0_inv
	ds_store_b32 v0, v31
	ds_store_b32 v1, v29
	;; [unrolled: 1-line block ×4, first 2 shown]
	s_waitcnt lgkmcnt(0)
	s_barrier
	buffer_gl0_inv
	ds_load_2addr_b64 v[0:3], v25 offset1:1
	s_add_i32 s21, s21, 1
	s_delay_alu instid0(SALU_CYCLE_1)
	s_cmp_eq_u32 s21, 10
	v_xor_b32_e32 v7, 0x80000000, v32
	v_xor_b32_e32 v6, 0x80000000, v33
	;; [unrolled: 1-line block ×4, first 2 shown]
	s_cbranch_scc1 .LBB45_20
.LBB45_2:                               ; =>This Loop Header: Depth=1
                                        ;     Child Loop BB45_4 Depth 2
	v_xor_b32_e32 v7, 0x80000000, v7
	v_xor_b32_e32 v6, 0x80000000, v6
	;; [unrolled: 1-line block ×4, first 2 shown]
	s_waitcnt lgkmcnt(0)
	ds_bpermute_b32 v35, v13, v0
	ds_bpermute_b32 v26, v13, v7
	;; [unrolled: 1-line block ×22, first 2 shown]
	s_waitcnt lgkmcnt(19)
	v_cndmask_b32_e64 v26, v26, v27, s3
	ds_bpermute_b32 v4, v16, v4
	s_waitcnt lgkmcnt(18)
	v_cndmask_b32_e64 v27, v28, v29, s3
	ds_bpermute_b32 v29, v16, v1
	s_waitcnt lgkmcnt(17)
	v_cndmask_b32_e64 v28, v30, v31, s3
	s_waitcnt lgkmcnt(16)
	v_cndmask_b32_e64 v26, v26, v32, s2
	ds_bpermute_b32 v30, v13, v2
	s_waitcnt lgkmcnt(16)
	v_cndmask_b32_e64 v27, v27, v33, s2
	ds_bpermute_b32 v31, v14, v2
	ds_bpermute_b32 v32, v15, v2
	ds_bpermute_b32 v33, v16, v2
	s_waitcnt lgkmcnt(18)
	v_cndmask_b32_e64 v28, v28, v34, s2
	ds_bpermute_b32 v34, v13, v3
	ds_bpermute_b32 v44, v14, v3
	;; [unrolled: 1-line block ×4, first 2 shown]
	s_waitcnt lgkmcnt(15)
	v_cndmask_b32_e64 v0, v26, v0, s1
	s_waitcnt lgkmcnt(14)
	v_cndmask_b32_e64 v1, v27, v42, s1
	;; [unrolled: 2-line block ×3, first 2 shown]
	v_cndmask_b32_e64 v6, v35, v36, s3
	v_cndmask_b32_e64 v7, v37, v38, s3
	;; [unrolled: 1-line block ×3, first 2 shown]
	s_waitcnt lgkmcnt(10)
	v_cndmask_b32_e64 v2, v28, v43, s1
	s_waitcnt lgkmcnt(8)
	v_cndmask_b32_e64 v27, v41, v29, s3
	v_cndmask_b32_e64 v3, v3, v5, s2
	s_mov_b32 s16, 0
	s_waitcnt lgkmcnt(7)
	v_cndmask_b32_e64 v5, v6, v30, s2
	s_waitcnt lgkmcnt(0)
	v_cndmask_b32_e64 v6, v7, v31, s2
	v_cndmask_b32_e64 v7, v26, v32, s2
	;; [unrolled: 1-line block ×8, first 2 shown]
	s_barrier
	s_branch .LBB45_4
.LBB45_3:                               ;   in Loop: Header=BB45_4 Depth=2
	v_lshlrev_b32_e32 v4, 2, v38
	v_lshlrev_b32_e32 v5, 2, v36
	;; [unrolled: 1-line block ×4, first 2 shown]
	s_barrier
	buffer_gl0_inv
	ds_store_b32 v4, v26
	ds_store_b32 v5, v33
	ds_store_b32 v6, v32
	ds_store_b32 v7, v30
	s_waitcnt lgkmcnt(0)
	s_barrier
	buffer_gl0_inv
	ds_load_2addr_b32 v[0:1], v23 offset1:32
	ds_load_2addr_b32 v[2:3], v23 offset0:64 offset1:96
	s_waitcnt lgkmcnt(0)
	s_barrier
	buffer_gl0_inv
	ds_store_b32 v4, v31
	ds_store_b32 v5, v29
	ds_store_b32 v6, v28
	ds_store_b32 v7, v27
	s_waitcnt lgkmcnt(0)
	s_barrier
	buffer_gl0_inv
	ds_load_2addr_b32 v[4:5], v23 offset1:32
	ds_load_2addr_b32 v[6:7], v23 offset0:64 offset1:96
	s_add_i32 s16, s16, 8
	s_waitcnt lgkmcnt(0)
	s_barrier
	s_cbranch_execz .LBB45_1
.LBB45_4:                               ;   Parent Loop BB45_2 Depth=1
                                        ; =>  This Inner Loop Header: Depth=2
	v_mov_b32_e32 v26, v0
	buffer_gl0_inv
	ds_store_2addr_b64 v17, v[11:12], v[9:10] offset0:8 offset1:9
	ds_store_2addr_b64 v18, v[11:12], v[9:10] offset0:2 offset1:3
	s_waitcnt lgkmcnt(0)
	s_barrier
	v_lshrrev_b32_e32 v27, s16, v26
	buffer_gl0_inv
	; wave barrier
	v_lshlrev_b32_e32 v29, 30, v27
	v_bfe_u32 v0, v26, s16, 1
	v_lshlrev_b32_e32 v30, 29, v27
	v_lshlrev_b32_e32 v31, 28, v27
	;; [unrolled: 1-line block ×4, first 2 shown]
	v_add_co_u32 v0, s13, v0, -1
	s_delay_alu instid0(VALU_DEP_1) | instskip(SKIP_3) | instid1(VALU_DEP_4)
	v_cndmask_b32_e64 v28, 0, 1, s13
	v_cmp_gt_i32_e64 s13, 0, v29
	v_lshlrev_b32_e32 v34, 25, v27
	v_lshlrev_b32_e32 v27, 24, v27
	v_cmp_ne_u32_e32 vcc_lo, 0, v28
	v_not_b32_e32 v28, v29
	v_not_b32_e32 v29, v30
	v_xor_b32_e32 v0, vcc_lo, v0
	s_delay_alu instid0(VALU_DEP_3)
	v_ashrrev_i32_e32 v28, 31, v28
	v_cmp_gt_i32_e32 vcc_lo, 0, v30
	v_not_b32_e32 v30, v31
	v_ashrrev_i32_e32 v29, 31, v29
	v_and_b32_e32 v0, exec_lo, v0
	v_xor_b32_e32 v28, s13, v28
	v_cmp_gt_i32_e64 s13, 0, v31
	v_ashrrev_i32_e32 v30, 31, v30
	v_xor_b32_e32 v29, vcc_lo, v29
	s_delay_alu instid0(VALU_DEP_4) | instskip(SKIP_1) | instid1(VALU_DEP_4)
	v_and_b32_e32 v0, v0, v28
	v_not_b32_e32 v28, v33
	v_xor_b32_e32 v30, s13, v30
	v_cmp_gt_i32_e64 s13, 0, v33
	s_delay_alu instid0(VALU_DEP_4) | instskip(NEXT) | instid1(VALU_DEP_4)
	v_dual_mov_b32 v33, v1 :: v_dual_and_b32 v0, v0, v29
	v_ashrrev_i32_e32 v28, 31, v28
	v_not_b32_e32 v29, v34
	v_bfe_u32 v1, v26, s16, 8
	s_delay_alu instid0(VALU_DEP_4)
	v_and_b32_e32 v0, v0, v30
	v_not_b32_e32 v30, v27
	v_xor_b32_e32 v28, s13, v28
	v_cmp_gt_i32_e64 s13, 0, v27
	v_ashrrev_i32_e32 v29, 31, v29
	v_lshl_add_u32 v1, v1, 4, v24
	v_ashrrev_i32_e32 v27, 31, v30
	v_mov_b32_e32 v30, v3
	s_delay_alu instid0(VALU_DEP_3) | instskip(NEXT) | instid1(VALU_DEP_3)
	v_lshl_add_u32 v35, v1, 2, 64
	v_xor_b32_e32 v3, s13, v27
	v_mov_b32_e32 v27, v7
	v_not_b32_e32 v31, v32
	v_cmp_gt_i32_e32 vcc_lo, 0, v32
	v_mov_b32_e32 v32, v2
	s_delay_alu instid0(VALU_DEP_3) | instskip(NEXT) | instid1(VALU_DEP_1)
	v_ashrrev_i32_e32 v31, 31, v31
	v_xor_b32_e32 v31, vcc_lo, v31
	v_cmp_gt_i32_e32 vcc_lo, 0, v34
	s_delay_alu instid0(VALU_DEP_2) | instskip(SKIP_2) | instid1(VALU_DEP_3)
	v_and_b32_e32 v0, v0, v31
	v_mov_b32_e32 v31, v4
	v_xor_b32_e32 v29, vcc_lo, v29
	v_and_b32_e32 v0, v0, v28
	v_mov_b32_e32 v28, v6
	s_delay_alu instid0(VALU_DEP_2) | instskip(NEXT) | instid1(VALU_DEP_1)
	v_dual_mov_b32 v29, v5 :: v_dual_and_b32 v0, v0, v29
	v_and_b32_e32 v0, v0, v3
	s_delay_alu instid0(VALU_DEP_1) | instskip(SKIP_1) | instid1(VALU_DEP_2)
	v_mbcnt_lo_u32_b32 v34, v0, 0
	v_cmp_ne_u32_e64 s13, 0, v0
	v_cmp_eq_u32_e32 vcc_lo, 0, v34
	s_delay_alu instid0(VALU_DEP_2) | instskip(NEXT) | instid1(SALU_CYCLE_1)
	s_and_b32 s17, s13, vcc_lo
	s_and_saveexec_b32 s13, s17
	s_cbranch_execz .LBB45_6
; %bb.5:                                ;   in Loop: Header=BB45_4 Depth=2
	v_bcnt_u32_b32 v0, v0, 0
	ds_store_b32 v35, v0
.LBB45_6:                               ;   in Loop: Header=BB45_4 Depth=2
	s_or_b32 exec_lo, exec_lo, s13
	v_bfe_u32 v0, v33, s16, 1
	v_lshrrev_b32_e32 v1, s16, v33
	; wave barrier
	s_delay_alu instid0(VALU_DEP_2) | instskip(NEXT) | instid1(VALU_DEP_1)
	v_add_co_u32 v0, s13, v0, -1
	v_cndmask_b32_e64 v2, 0, 1, s13
	s_delay_alu instid0(VALU_DEP_3)
	v_lshlrev_b32_e32 v3, 30, v1
	v_lshlrev_b32_e32 v4, 29, v1
	;; [unrolled: 1-line block ×4, first 2 shown]
	v_cmp_ne_u32_e32 vcc_lo, 0, v2
	v_not_b32_e32 v2, v3
	v_cmp_gt_i32_e64 s13, 0, v3
	v_not_b32_e32 v3, v4
	v_lshlrev_b32_e32 v7, 26, v1
	v_xor_b32_e32 v0, vcc_lo, v0
	v_ashrrev_i32_e32 v2, 31, v2
	v_cmp_gt_i32_e32 vcc_lo, 0, v4
	v_not_b32_e32 v4, v5
	v_ashrrev_i32_e32 v3, 31, v3
	v_and_b32_e32 v0, exec_lo, v0
	v_xor_b32_e32 v2, s13, v2
	v_cmp_gt_i32_e64 s13, 0, v5
	v_not_b32_e32 v5, v6
	v_ashrrev_i32_e32 v4, 31, v4
	v_xor_b32_e32 v3, vcc_lo, v3
	v_and_b32_e32 v0, v0, v2
	v_cmp_gt_i32_e32 vcc_lo, 0, v6
	v_not_b32_e32 v2, v7
	v_ashrrev_i32_e32 v5, 31, v5
	v_xor_b32_e32 v4, s13, v4
	v_and_b32_e32 v0, v0, v3
	v_lshlrev_b32_e32 v3, 25, v1
	v_cmp_gt_i32_e64 s13, 0, v7
	v_ashrrev_i32_e32 v2, 31, v2
	v_xor_b32_e32 v5, vcc_lo, v5
	v_and_b32_e32 v0, v0, v4
	v_not_b32_e32 v6, v3
	v_lshlrev_b32_e32 v1, 24, v1
	v_bfe_u32 v4, v33, s16, 8
	v_xor_b32_e32 v2, s13, v2
	v_and_b32_e32 v0, v0, v5
	v_cmp_gt_i32_e32 vcc_lo, 0, v3
	v_ashrrev_i32_e32 v3, 31, v6
	v_not_b32_e32 v5, v1
	v_lshlrev_b32_e32 v4, 4, v4
	v_and_b32_e32 v0, v0, v2
	s_delay_alu instid0(VALU_DEP_4) | instskip(SKIP_3) | instid1(VALU_DEP_4)
	v_xor_b32_e32 v2, vcc_lo, v3
	v_cmp_gt_i32_e32 vcc_lo, 0, v1
	v_ashrrev_i32_e32 v1, 31, v5
	v_add_lshl_u32 v3, v4, v24, 2
	v_and_b32_e32 v0, v0, v2
	s_delay_alu instid0(VALU_DEP_3) | instskip(SKIP_3) | instid1(VALU_DEP_1)
	v_xor_b32_e32 v1, vcc_lo, v1
	ds_load_b32 v36, v3 offset:64
	v_add_nc_u32_e32 v38, 64, v3
	; wave barrier
	v_and_b32_e32 v0, v0, v1
	v_mbcnt_lo_u32_b32 v37, v0, 0
	v_cmp_ne_u32_e64 s13, 0, v0
	s_delay_alu instid0(VALU_DEP_2) | instskip(NEXT) | instid1(VALU_DEP_2)
	v_cmp_eq_u32_e32 vcc_lo, 0, v37
	s_and_b32 s17, s13, vcc_lo
	s_delay_alu instid0(SALU_CYCLE_1)
	s_and_saveexec_b32 s13, s17
	s_cbranch_execz .LBB45_8
; %bb.7:                                ;   in Loop: Header=BB45_4 Depth=2
	s_waitcnt lgkmcnt(0)
	v_bcnt_u32_b32 v0, v0, v36
	ds_store_b32 v38, v0
.LBB45_8:                               ;   in Loop: Header=BB45_4 Depth=2
	s_or_b32 exec_lo, exec_lo, s13
	v_bfe_u32 v0, v32, s16, 1
	v_lshrrev_b32_e32 v1, s16, v32
	; wave barrier
	s_delay_alu instid0(VALU_DEP_2) | instskip(NEXT) | instid1(VALU_DEP_1)
	v_add_co_u32 v0, s13, v0, -1
	v_cndmask_b32_e64 v2, 0, 1, s13
	s_delay_alu instid0(VALU_DEP_3)
	v_lshlrev_b32_e32 v3, 30, v1
	v_lshlrev_b32_e32 v4, 29, v1
	;; [unrolled: 1-line block ×4, first 2 shown]
	v_cmp_ne_u32_e32 vcc_lo, 0, v2
	v_not_b32_e32 v2, v3
	v_cmp_gt_i32_e64 s13, 0, v3
	v_not_b32_e32 v3, v4
	v_lshlrev_b32_e32 v7, 26, v1
	v_xor_b32_e32 v0, vcc_lo, v0
	v_ashrrev_i32_e32 v2, 31, v2
	v_cmp_gt_i32_e32 vcc_lo, 0, v4
	v_not_b32_e32 v4, v5
	v_ashrrev_i32_e32 v3, 31, v3
	v_and_b32_e32 v0, exec_lo, v0
	v_xor_b32_e32 v2, s13, v2
	v_cmp_gt_i32_e64 s13, 0, v5
	v_not_b32_e32 v5, v6
	v_ashrrev_i32_e32 v4, 31, v4
	v_xor_b32_e32 v3, vcc_lo, v3
	v_and_b32_e32 v0, v0, v2
	v_cmp_gt_i32_e32 vcc_lo, 0, v6
	v_not_b32_e32 v2, v7
	v_ashrrev_i32_e32 v5, 31, v5
	v_xor_b32_e32 v4, s13, v4
	v_and_b32_e32 v0, v0, v3
	v_lshlrev_b32_e32 v3, 25, v1
	v_cmp_gt_i32_e64 s13, 0, v7
	v_ashrrev_i32_e32 v2, 31, v2
	v_xor_b32_e32 v5, vcc_lo, v5
	v_and_b32_e32 v0, v0, v4
	v_not_b32_e32 v6, v3
	v_lshlrev_b32_e32 v1, 24, v1
	v_bfe_u32 v4, v32, s16, 8
	v_xor_b32_e32 v2, s13, v2
	v_and_b32_e32 v0, v0, v5
	v_cmp_gt_i32_e32 vcc_lo, 0, v3
	v_ashrrev_i32_e32 v3, 31, v6
	v_not_b32_e32 v5, v1
	v_lshlrev_b32_e32 v4, 4, v4
	v_and_b32_e32 v0, v0, v2
	s_delay_alu instid0(VALU_DEP_4) | instskip(SKIP_3) | instid1(VALU_DEP_4)
	v_xor_b32_e32 v2, vcc_lo, v3
	v_cmp_gt_i32_e32 vcc_lo, 0, v1
	v_ashrrev_i32_e32 v1, 31, v5
	v_add_lshl_u32 v3, v4, v24, 2
	v_and_b32_e32 v0, v0, v2
	s_delay_alu instid0(VALU_DEP_3) | instskip(SKIP_3) | instid1(VALU_DEP_1)
	v_xor_b32_e32 v1, vcc_lo, v1
	ds_load_b32 v39, v3 offset:64
	v_add_nc_u32_e32 v41, 64, v3
	; wave barrier
	v_and_b32_e32 v0, v0, v1
	v_mbcnt_lo_u32_b32 v40, v0, 0
	v_cmp_ne_u32_e64 s13, 0, v0
	s_delay_alu instid0(VALU_DEP_2) | instskip(NEXT) | instid1(VALU_DEP_2)
	v_cmp_eq_u32_e32 vcc_lo, 0, v40
	s_and_b32 s17, s13, vcc_lo
	s_delay_alu instid0(SALU_CYCLE_1)
	s_and_saveexec_b32 s13, s17
	s_cbranch_execz .LBB45_10
; %bb.9:                                ;   in Loop: Header=BB45_4 Depth=2
	s_waitcnt lgkmcnt(0)
	v_bcnt_u32_b32 v0, v0, v39
	ds_store_b32 v41, v0
.LBB45_10:                              ;   in Loop: Header=BB45_4 Depth=2
	s_or_b32 exec_lo, exec_lo, s13
	v_bfe_u32 v0, v30, s16, 1
	v_lshrrev_b32_e32 v1, s16, v30
	; wave barrier
	s_delay_alu instid0(VALU_DEP_2) | instskip(NEXT) | instid1(VALU_DEP_1)
	v_add_co_u32 v0, s13, v0, -1
	v_cndmask_b32_e64 v2, 0, 1, s13
	s_delay_alu instid0(VALU_DEP_3)
	v_lshlrev_b32_e32 v3, 30, v1
	v_lshlrev_b32_e32 v4, 29, v1
	;; [unrolled: 1-line block ×4, first 2 shown]
	v_cmp_ne_u32_e32 vcc_lo, 0, v2
	v_not_b32_e32 v2, v3
	v_cmp_gt_i32_e64 s13, 0, v3
	v_not_b32_e32 v3, v4
	v_lshlrev_b32_e32 v7, 26, v1
	v_xor_b32_e32 v0, vcc_lo, v0
	v_ashrrev_i32_e32 v2, 31, v2
	v_cmp_gt_i32_e32 vcc_lo, 0, v4
	v_not_b32_e32 v4, v5
	v_ashrrev_i32_e32 v3, 31, v3
	v_and_b32_e32 v0, exec_lo, v0
	v_xor_b32_e32 v2, s13, v2
	v_cmp_gt_i32_e64 s13, 0, v5
	v_not_b32_e32 v5, v6
	v_ashrrev_i32_e32 v4, 31, v4
	v_xor_b32_e32 v3, vcc_lo, v3
	v_and_b32_e32 v0, v0, v2
	v_cmp_gt_i32_e32 vcc_lo, 0, v6
	v_not_b32_e32 v2, v7
	v_ashrrev_i32_e32 v5, 31, v5
	v_xor_b32_e32 v4, s13, v4
	v_and_b32_e32 v0, v0, v3
	v_lshlrev_b32_e32 v3, 25, v1
	v_cmp_gt_i32_e64 s13, 0, v7
	v_ashrrev_i32_e32 v2, 31, v2
	v_xor_b32_e32 v5, vcc_lo, v5
	v_and_b32_e32 v0, v0, v4
	v_not_b32_e32 v6, v3
	v_lshlrev_b32_e32 v1, 24, v1
	v_bfe_u32 v4, v30, s16, 8
	v_xor_b32_e32 v2, s13, v2
	v_and_b32_e32 v0, v0, v5
	v_cmp_gt_i32_e32 vcc_lo, 0, v3
	v_ashrrev_i32_e32 v3, 31, v6
	v_not_b32_e32 v5, v1
	v_lshlrev_b32_e32 v4, 4, v4
	v_and_b32_e32 v0, v0, v2
	s_delay_alu instid0(VALU_DEP_4) | instskip(SKIP_3) | instid1(VALU_DEP_4)
	v_xor_b32_e32 v2, vcc_lo, v3
	v_cmp_gt_i32_e32 vcc_lo, 0, v1
	v_ashrrev_i32_e32 v1, 31, v5
	v_add_lshl_u32 v3, v4, v24, 2
	v_and_b32_e32 v0, v0, v2
	s_delay_alu instid0(VALU_DEP_3) | instskip(SKIP_3) | instid1(VALU_DEP_1)
	v_xor_b32_e32 v1, vcc_lo, v1
	ds_load_b32 v42, v3 offset:64
	v_add_nc_u32_e32 v44, 64, v3
	; wave barrier
	v_and_b32_e32 v0, v0, v1
	v_mbcnt_lo_u32_b32 v43, v0, 0
	v_cmp_ne_u32_e64 s13, 0, v0
	s_delay_alu instid0(VALU_DEP_2) | instskip(NEXT) | instid1(VALU_DEP_2)
	v_cmp_eq_u32_e32 vcc_lo, 0, v43
	s_and_b32 s17, s13, vcc_lo
	s_delay_alu instid0(SALU_CYCLE_1)
	s_and_saveexec_b32 s13, s17
	s_cbranch_execz .LBB45_12
; %bb.11:                               ;   in Loop: Header=BB45_4 Depth=2
	s_waitcnt lgkmcnt(0)
	v_bcnt_u32_b32 v0, v0, v42
	ds_store_b32 v44, v0
.LBB45_12:                              ;   in Loop: Header=BB45_4 Depth=2
	s_or_b32 exec_lo, exec_lo, s13
	; wave barrier
	s_waitcnt lgkmcnt(0)
	s_barrier
	buffer_gl0_inv
	ds_load_2addr_b64 v[4:7], v17 offset0:8 offset1:9
	ds_load_2addr_b64 v[0:3], v18 offset0:2 offset1:3
	s_waitcnt lgkmcnt(1)
	v_add_nc_u32_e32 v45, v5, v4
	s_delay_alu instid0(VALU_DEP_1) | instskip(SKIP_1) | instid1(VALU_DEP_1)
	v_add3_u32 v45, v45, v6, v7
	s_waitcnt lgkmcnt(0)
	v_add3_u32 v45, v45, v0, v1
	s_delay_alu instid0(VALU_DEP_1) | instskip(NEXT) | instid1(VALU_DEP_1)
	v_add3_u32 v3, v45, v2, v3
	v_mov_b32_dpp v45, v3 row_shr:1 row_mask:0xf bank_mask:0xf
	s_delay_alu instid0(VALU_DEP_1) | instskip(NEXT) | instid1(VALU_DEP_1)
	v_cndmask_b32_e64 v45, v45, 0, s4
	v_add_nc_u32_e32 v3, v45, v3
	s_delay_alu instid0(VALU_DEP_1) | instskip(NEXT) | instid1(VALU_DEP_1)
	v_mov_b32_dpp v45, v3 row_shr:2 row_mask:0xf bank_mask:0xf
	v_cndmask_b32_e64 v45, 0, v45, s5
	s_delay_alu instid0(VALU_DEP_1) | instskip(NEXT) | instid1(VALU_DEP_1)
	v_add_nc_u32_e32 v3, v3, v45
	v_mov_b32_dpp v45, v3 row_shr:4 row_mask:0xf bank_mask:0xf
	s_delay_alu instid0(VALU_DEP_1) | instskip(NEXT) | instid1(VALU_DEP_1)
	v_cndmask_b32_e64 v45, 0, v45, s6
	v_add_nc_u32_e32 v3, v3, v45
	s_delay_alu instid0(VALU_DEP_1) | instskip(NEXT) | instid1(VALU_DEP_1)
	v_mov_b32_dpp v45, v3 row_shr:8 row_mask:0xf bank_mask:0xf
	v_cndmask_b32_e64 v45, 0, v45, s7
	s_delay_alu instid0(VALU_DEP_1) | instskip(SKIP_3) | instid1(VALU_DEP_1)
	v_add_nc_u32_e32 v3, v3, v45
	ds_swizzle_b32 v45, v3 offset:swizzle(BROADCAST,32,15)
	s_waitcnt lgkmcnt(0)
	v_cndmask_b32_e64 v45, v45, 0, s8
	v_add_nc_u32_e32 v3, v3, v45
	s_and_saveexec_b32 s13, s12
	s_cbranch_execz .LBB45_14
; %bb.13:                               ;   in Loop: Header=BB45_4 Depth=2
	ds_store_b32 v19, v3
.LBB45_14:                              ;   in Loop: Header=BB45_4 Depth=2
	s_or_b32 exec_lo, exec_lo, s13
	s_waitcnt lgkmcnt(0)
	s_barrier
	buffer_gl0_inv
	s_and_saveexec_b32 s13, s9
	s_cbranch_execz .LBB45_16
; %bb.15:                               ;   in Loop: Header=BB45_4 Depth=2
	ds_load_b32 v45, v21
	s_waitcnt lgkmcnt(0)
	v_mov_b32_dpp v46, v45 row_shr:1 row_mask:0xf bank_mask:0xf
	s_delay_alu instid0(VALU_DEP_1) | instskip(NEXT) | instid1(VALU_DEP_1)
	v_cndmask_b32_e64 v46, v46, 0, s4
	v_add_nc_u32_e32 v45, v46, v45
	s_delay_alu instid0(VALU_DEP_1) | instskip(NEXT) | instid1(VALU_DEP_1)
	v_mov_b32_dpp v46, v45 row_shr:2 row_mask:0xf bank_mask:0xf
	v_cndmask_b32_e64 v46, 0, v46, s5
	s_delay_alu instid0(VALU_DEP_1) | instskip(NEXT) | instid1(VALU_DEP_1)
	v_add_nc_u32_e32 v45, v45, v46
	v_mov_b32_dpp v46, v45 row_shr:4 row_mask:0xf bank_mask:0xf
	s_delay_alu instid0(VALU_DEP_1) | instskip(NEXT) | instid1(VALU_DEP_1)
	v_cndmask_b32_e64 v46, 0, v46, s6
	v_add_nc_u32_e32 v45, v45, v46
	s_delay_alu instid0(VALU_DEP_1) | instskip(NEXT) | instid1(VALU_DEP_1)
	v_mov_b32_dpp v46, v45 row_shr:8 row_mask:0xf bank_mask:0xf
	v_cndmask_b32_e64 v46, 0, v46, s7
	s_delay_alu instid0(VALU_DEP_1)
	v_add_nc_u32_e32 v45, v45, v46
	ds_store_b32 v21, v45
.LBB45_16:                              ;   in Loop: Header=BB45_4 Depth=2
	s_or_b32 exec_lo, exec_lo, s13
	v_mov_b32_e32 v45, 0
	s_waitcnt lgkmcnt(0)
	s_barrier
	buffer_gl0_inv
	s_and_saveexec_b32 s13, s10
	s_cbranch_execz .LBB45_18
; %bb.17:                               ;   in Loop: Header=BB45_4 Depth=2
	ds_load_b32 v45, v22
.LBB45_18:                              ;   in Loop: Header=BB45_4 Depth=2
	s_or_b32 exec_lo, exec_lo, s13
	s_waitcnt lgkmcnt(0)
	v_add_nc_u32_e32 v3, v45, v3
	s_cmp_gt_u32 s16, 23
	ds_bpermute_b32 v3, v20, v3
	s_waitcnt lgkmcnt(0)
	v_cndmask_b32_e64 v3, v3, v45, s0
	s_delay_alu instid0(VALU_DEP_1) | instskip(NEXT) | instid1(VALU_DEP_1)
	v_cndmask_b32_e64 v3, v3, 0, s11
	v_add_nc_u32_e32 v4, v3, v4
	s_delay_alu instid0(VALU_DEP_1) | instskip(NEXT) | instid1(VALU_DEP_1)
	v_add_nc_u32_e32 v5, v4, v5
	v_add_nc_u32_e32 v6, v5, v6
	s_delay_alu instid0(VALU_DEP_1) | instskip(NEXT) | instid1(VALU_DEP_1)
	v_add_nc_u32_e32 v45, v6, v7
	;; [unrolled: 3-line block ×3, first 2 shown]
	v_add_nc_u32_e32 v1, v0, v2
	ds_store_2addr_b64 v17, v[3:4], v[5:6] offset0:8 offset1:9
	ds_store_2addr_b64 v18, v[45:46], v[0:1] offset0:2 offset1:3
	s_waitcnt lgkmcnt(0)
	s_barrier
	buffer_gl0_inv
	ds_load_b32 v0, v35
	ds_load_b32 v1, v38
	;; [unrolled: 1-line block ×4, first 2 shown]
	s_waitcnt lgkmcnt(3)
	v_add_nc_u32_e32 v38, v0, v34
	s_waitcnt lgkmcnt(2)
	v_add3_u32 v36, v37, v36, v1
	s_waitcnt lgkmcnt(1)
	v_add3_u32 v35, v40, v39, v2
	;; [unrolled: 2-line block ×3, first 2 shown]
	s_cbranch_scc0 .LBB45_3
; %bb.19:                               ;   in Loop: Header=BB45_2 Depth=1
                                        ; implicit-def: $vgpr3
                                        ; implicit-def: $vgpr1
                                        ; implicit-def: $vgpr7
                                        ; implicit-def: $vgpr5
                                        ; implicit-def: $sgpr16
	s_branch .LBB45_1
.LBB45_20:
	v_lshlrev_b32_e32 v8, 2, v8
	s_add_u32 s0, s18, s14
	s_waitcnt lgkmcnt(0)
	v_add_nc_u32_e32 v7, v7, v0
	s_addc_u32 s1, s19, s15
	v_add_nc_u32_e32 v6, v6, v1
	v_add_co_u32 v0, s2, s0, v8
	s_delay_alu instid0(VALU_DEP_1) | instskip(SKIP_1) | instid1(VALU_DEP_3)
	v_add_co_ci_u32_e64 v1, null, s1, 0, s2
	v_add_nc_u32_e32 v2, v5, v2
	v_add_co_u32 v0, vcc_lo, 0x1000, v0
	s_delay_alu instid0(VALU_DEP_3)
	v_add_co_ci_u32_e32 v1, vcc_lo, 0, v1, vcc_lo
	v_add_nc_u32_e32 v3, v4, v3
	s_clause 0x3
	global_store_b32 v8, v7, s[0:1]
	global_store_b32 v8, v6, s[0:1] offset:2048
	global_store_b32 v[0:1], v2, off
	global_store_b32 v[0:1], v3, off offset:2048
	s_nop 0
	s_sendmsg sendmsg(MSG_DEALLOC_VGPRS)
	s_endpgm
	.section	.rodata,"a",@progbits
	.p2align	6, 0x0
	.amdhsa_kernel _Z17sort_pairs_kernelI22helper_blocked_blockediLj512ELj4ELj10EEvPKT0_PS1_
		.amdhsa_group_segment_fixed_size 16448
		.amdhsa_private_segment_fixed_size 0
		.amdhsa_kernarg_size 272
		.amdhsa_user_sgpr_count 15
		.amdhsa_user_sgpr_dispatch_ptr 0
		.amdhsa_user_sgpr_queue_ptr 0
		.amdhsa_user_sgpr_kernarg_segment_ptr 1
		.amdhsa_user_sgpr_dispatch_id 0
		.amdhsa_user_sgpr_private_segment_size 0
		.amdhsa_wavefront_size32 1
		.amdhsa_uses_dynamic_stack 0
		.amdhsa_enable_private_segment 0
		.amdhsa_system_sgpr_workgroup_id_x 1
		.amdhsa_system_sgpr_workgroup_id_y 0
		.amdhsa_system_sgpr_workgroup_id_z 0
		.amdhsa_system_sgpr_workgroup_info 0
		.amdhsa_system_vgpr_workitem_id 2
		.amdhsa_next_free_vgpr 47
		.amdhsa_next_free_sgpr 22
		.amdhsa_reserve_vcc 1
		.amdhsa_float_round_mode_32 0
		.amdhsa_float_round_mode_16_64 0
		.amdhsa_float_denorm_mode_32 3
		.amdhsa_float_denorm_mode_16_64 3
		.amdhsa_dx10_clamp 1
		.amdhsa_ieee_mode 1
		.amdhsa_fp16_overflow 0
		.amdhsa_workgroup_processor_mode 1
		.amdhsa_memory_ordered 1
		.amdhsa_forward_progress 0
		.amdhsa_shared_vgpr_count 0
		.amdhsa_exception_fp_ieee_invalid_op 0
		.amdhsa_exception_fp_denorm_src 0
		.amdhsa_exception_fp_ieee_div_zero 0
		.amdhsa_exception_fp_ieee_overflow 0
		.amdhsa_exception_fp_ieee_underflow 0
		.amdhsa_exception_fp_ieee_inexact 0
		.amdhsa_exception_int_div_zero 0
	.end_amdhsa_kernel
	.section	.text._Z17sort_pairs_kernelI22helper_blocked_blockediLj512ELj4ELj10EEvPKT0_PS1_,"axG",@progbits,_Z17sort_pairs_kernelI22helper_blocked_blockediLj512ELj4ELj10EEvPKT0_PS1_,comdat
.Lfunc_end45:
	.size	_Z17sort_pairs_kernelI22helper_blocked_blockediLj512ELj4ELj10EEvPKT0_PS1_, .Lfunc_end45-_Z17sort_pairs_kernelI22helper_blocked_blockediLj512ELj4ELj10EEvPKT0_PS1_
                                        ; -- End function
	.section	.AMDGPU.csdata,"",@progbits
; Kernel info:
; codeLenInByte = 3556
; NumSgprs: 24
; NumVgprs: 47
; ScratchSize: 0
; MemoryBound: 0
; FloatMode: 240
; IeeeMode: 1
; LDSByteSize: 16448 bytes/workgroup (compile time only)
; SGPRBlocks: 2
; VGPRBlocks: 5
; NumSGPRsForWavesPerEU: 24
; NumVGPRsForWavesPerEU: 47
; Occupancy: 16
; WaveLimiterHint : 1
; COMPUTE_PGM_RSRC2:SCRATCH_EN: 0
; COMPUTE_PGM_RSRC2:USER_SGPR: 15
; COMPUTE_PGM_RSRC2:TRAP_HANDLER: 0
; COMPUTE_PGM_RSRC2:TGID_X_EN: 1
; COMPUTE_PGM_RSRC2:TGID_Y_EN: 0
; COMPUTE_PGM_RSRC2:TGID_Z_EN: 0
; COMPUTE_PGM_RSRC2:TIDIG_COMP_CNT: 2
	.section	.text._Z16sort_keys_kernelI22helper_blocked_blockediLj512ELj8ELj10EEvPKT0_PS1_,"axG",@progbits,_Z16sort_keys_kernelI22helper_blocked_blockediLj512ELj8ELj10EEvPKT0_PS1_,comdat
	.protected	_Z16sort_keys_kernelI22helper_blocked_blockediLj512ELj8ELj10EEvPKT0_PS1_ ; -- Begin function _Z16sort_keys_kernelI22helper_blocked_blockediLj512ELj8ELj10EEvPKT0_PS1_
	.globl	_Z16sort_keys_kernelI22helper_blocked_blockediLj512ELj8ELj10EEvPKT0_PS1_
	.p2align	8
	.type	_Z16sort_keys_kernelI22helper_blocked_blockediLj512ELj8ELj10EEvPKT0_PS1_,@function
_Z16sort_keys_kernelI22helper_blocked_blockediLj512ELj8ELj10EEvPKT0_PS1_: ; @_Z16sort_keys_kernelI22helper_blocked_blockediLj512ELj8ELj10EEvPKT0_PS1_
; %bb.0:
	s_clause 0x1
	s_load_b128 s[16:19], s[0:1], 0x0
	s_load_b32 s2, s[0:1], 0x1c
	v_and_b32_e32 v8, 0x3ff, v0
	s_mov_b32 s11, 0
	s_lshl_b32 s10, s15, 12
	s_mov_b32 s14, s11
	s_lshl_b64 s[12:13], s[10:11], 2
	s_mov_b32 s10, s11
	v_lshlrev_b32_e32 v1, 2, v8
	s_mov_b32 s15, s11
	s_waitcnt lgkmcnt(0)
	s_add_u32 s0, s16, s12
	s_addc_u32 s1, s17, s13
	v_add_co_u32 v2, s3, s0, v1
	s_delay_alu instid0(VALU_DEP_1) | instskip(NEXT) | instid1(VALU_DEP_2)
	v_add_co_ci_u32_e64 v3, null, s1, 0, s3
	v_add_co_u32 v4, vcc_lo, 0x1000, v2
	s_delay_alu instid0(VALU_DEP_2)
	v_add_co_ci_u32_e32 v5, vcc_lo, 0, v3, vcc_lo
	v_add_co_u32 v9, vcc_lo, v2, 0x2000
	v_add_co_ci_u32_e32 v10, vcc_lo, 0, v3, vcc_lo
	v_add_co_u32 v6, vcc_lo, 0x2000, v2
	v_add_co_ci_u32_e32 v7, vcc_lo, 0, v3, vcc_lo
	v_add_co_u32 v11, vcc_lo, 0x3000, v2
	v_add_co_ci_u32_e32 v12, vcc_lo, 0, v3, vcc_lo
	s_clause 0x7
	global_load_b32 v23, v[9:10], off
	global_load_b32 v2, v1, s[0:1]
	global_load_b32 v3, v1, s[0:1] offset:2048
	global_load_b32 v5, v[4:5], off offset:2048
	global_load_b32 v6, v[6:7], off offset:2048
	global_load_b32 v7, v[11:12], off
	global_load_b32 v4, v[9:10], off offset:-4096
	global_load_b32 v1, v[11:12], off offset:2048
	v_bfe_u32 v9, v0, 10, 10
	v_bfe_u32 v0, v0, 20, 10
	s_lshr_b32 s0, s2, 16
	v_mbcnt_lo_u32_b32 v11, -1, 0
	s_delay_alu instid0(VALU_DEP_2) | instskip(SKIP_1) | instid1(VALU_DEP_2)
	v_mad_u32_u24 v0, v0, s0, v9
	s_and_b32 s0, s2, 0xffff
	v_cmp_eq_u32_e64 s8, 0, v11
	s_delay_alu instid0(VALU_DEP_2) | instskip(SKIP_1) | instid1(VALU_DEP_1)
	v_mad_u64_u32 v[9:10], null, v0, s0, v[8:9]
	v_and_b32_e32 v10, 15, v11
	v_cmp_eq_u32_e64 s0, 0, v10
	s_delay_alu instid0(VALU_DEP_3) | instskip(SKIP_4) | instid1(VALU_DEP_4)
	v_lshrrev_b32_e32 v17, 5, v9
	v_add_nc_u32_e32 v9, -1, v11
	v_cmp_lt_u32_e64 s1, 1, v10
	v_cmp_lt_u32_e64 s2, 3, v10
	;; [unrolled: 1-line block ×3, first 2 shown]
	v_cmp_gt_i32_e32 vcc_lo, 0, v9
	v_cndmask_b32_e32 v9, v9, v11, vcc_lo
	v_lshlrev_b32_e32 v13, 3, v8
	v_and_b32_e32 v12, 0x1e0, v8
	v_cmp_gt_u32_e64 s6, 16, v8
	v_cmp_lt_u32_e64 s7, 31, v8
	v_lshlrev_b32_e32 v19, 2, v9
	v_and_or_b32 v0, 0xf00, v13, v11
	v_lshlrev_b32_e32 v13, 5, v8
	v_or_b32_e32 v10, 31, v12
	v_cmp_eq_u32_e64 s9, 0, v8
	s_delay_alu instid0(VALU_DEP_4) | instskip(SKIP_1) | instid1(VALU_DEP_4)
	v_lshlrev_b32_e32 v15, 2, v0
	v_and_b32_e32 v0, 16, v11
	v_cmp_eq_u32_e64 s5, v10, v8
	v_mov_b32_e32 v9, s10
	v_or_b32_e32 v14, v11, v12
	v_mad_i32_i24 v20, 0xffffffe4, v8, v13
	v_cmp_eq_u32_e64 s4, 0, v0
	v_lshrrev_b32_e32 v0, 3, v8
	s_delay_alu instid0(VALU_DEP_4) | instskip(SKIP_2) | instid1(VALU_DEP_4)
	v_dual_mov_b32 v11, s14 :: v_dual_lshlrev_b32 v14, 5, v14
	v_add_nc_u32_e32 v16, 64, v13
	v_mov_b32_e32 v10, s11
	v_and_b32_e32 v18, 60, v0
	v_mul_u32_u24_e32 v0, 28, v8
	s_delay_alu instid0(VALU_DEP_2) | instskip(NEXT) | instid1(VALU_DEP_2)
	v_dual_mov_b32 v12, s15 :: v_dual_add_nc_u32 v21, -4, v18
	v_add_nc_u32_e32 v22, v20, v0
	s_branch .LBB46_2
.LBB46_1:                               ;   in Loop: Header=BB46_2 Depth=1
	v_lshlrev_b32_e32 v0, 2, v41
	v_lshlrev_b32_e32 v1, 2, v38
	;; [unrolled: 1-line block ×3, first 2 shown]
	s_barrier
	buffer_gl0_inv
	ds_store_b32 v0, v23
	ds_store_b32 v1, v30
	;; [unrolled: 1-line block ×3, first 2 shown]
	v_lshlrev_b32_e32 v0, 2, v35
	v_lshlrev_b32_e32 v1, 2, v34
	;; [unrolled: 1-line block ×5, first 2 shown]
	ds_store_b32 v0, v28
	ds_store_b32 v1, v27
	;; [unrolled: 1-line block ×5, first 2 shown]
	s_waitcnt lgkmcnt(0)
	s_barrier
	buffer_gl0_inv
	ds_load_2addr_b64 v[2:5], v22 offset1:1
	ds_load_2addr_b64 v[23:26], v22 offset0:2 offset1:3
	s_add_i32 s11, s11, 1
	s_delay_alu instid0(SALU_CYCLE_1)
	s_cmp_eq_u32 s11, 10
	s_waitcnt lgkmcnt(1)
	v_xor_b32_e32 v2, 0x80000000, v2
	v_xor_b32_e32 v3, 0x80000000, v3
	;; [unrolled: 1-line block ×4, first 2 shown]
	s_waitcnt lgkmcnt(0)
	v_xor_b32_e32 v23, 0x80000000, v23
	v_xor_b32_e32 v6, 0x80000000, v24
	;; [unrolled: 1-line block ×4, first 2 shown]
	s_cbranch_scc1 .LBB46_28
.LBB46_2:                               ; =>This Loop Header: Depth=1
                                        ;     Child Loop BB46_4 Depth 2
	s_waitcnt vmcnt(6)
	v_xor_b32_e32 v2, 0x80000000, v2
	s_waitcnt vmcnt(5)
	v_xor_b32_e32 v3, 0x80000000, v3
	;; [unrolled: 2-line block ×3, first 2 shown]
	v_xor_b32_e32 v5, 0x80000000, v5
	v_xor_b32_e32 v23, 0x80000000, v23
	;; [unrolled: 1-line block ×4, first 2 shown]
	s_waitcnt vmcnt(0)
	v_xor_b32_e32 v1, 0x80000000, v1
	ds_store_2addr_b64 v14, v[2:3], v[4:5] offset1:1
	ds_store_2addr_b64 v14, v[23:24], v[0:1] offset0:2 offset1:3
	; wave barrier
	ds_load_2addr_b32 v[0:1], v15 offset1:32
	ds_load_2addr_b32 v[2:3], v15 offset0:64 offset1:96
	ds_load_2addr_b32 v[4:5], v15 offset0:128 offset1:160
	;; [unrolled: 1-line block ×3, first 2 shown]
	s_mov_b32 s14, 0
	s_waitcnt lgkmcnt(0)
	s_barrier
	buffer_gl0_inv
	; wave barrier
	s_barrier
	s_branch .LBB46_4
.LBB46_3:                               ;   in Loop: Header=BB46_4 Depth=2
	v_lshlrev_b32_e32 v0, 2, v41
	v_lshlrev_b32_e32 v1, 2, v38
	;; [unrolled: 1-line block ×3, first 2 shown]
	s_barrier
	buffer_gl0_inv
	ds_store_b32 v0, v23
	ds_store_b32 v1, v30
	;; [unrolled: 1-line block ×3, first 2 shown]
	v_lshlrev_b32_e32 v0, 2, v35
	v_lshlrev_b32_e32 v1, 2, v34
	;; [unrolled: 1-line block ×5, first 2 shown]
	ds_store_b32 v0, v28
	ds_store_b32 v1, v27
	;; [unrolled: 1-line block ×5, first 2 shown]
	s_waitcnt lgkmcnt(0)
	s_barrier
	buffer_gl0_inv
	ds_load_2addr_b32 v[0:1], v15 offset1:32
	ds_load_2addr_b32 v[2:3], v15 offset0:64 offset1:96
	ds_load_2addr_b32 v[4:5], v15 offset0:128 offset1:160
	;; [unrolled: 1-line block ×3, first 2 shown]
	s_add_i32 s14, s14, 8
	s_waitcnt lgkmcnt(0)
	s_barrier
	s_cbranch_execz .LBB46_1
.LBB46_4:                               ;   Parent Loop BB46_2 Depth=1
                                        ; =>  This Inner Loop Header: Depth=2
	v_mov_b32_e32 v23, v0
	buffer_gl0_inv
	ds_store_2addr_b64 v13, v[9:10], v[11:12] offset0:8 offset1:9
	ds_store_2addr_b64 v16, v[9:10], v[11:12] offset0:2 offset1:3
	s_waitcnt lgkmcnt(0)
	s_barrier
	v_lshrrev_b32_e32 v24, s14, v23
	buffer_gl0_inv
	; wave barrier
	v_lshlrev_b32_e32 v26, 30, v24
	v_bfe_u32 v0, v23, s14, 1
	v_lshlrev_b32_e32 v27, 29, v24
	v_lshlrev_b32_e32 v28, 28, v24
	v_lshlrev_b32_e32 v29, 27, v24
	v_lshlrev_b32_e32 v30, 26, v24
	v_add_co_u32 v0, s10, v0, -1
	s_delay_alu instid0(VALU_DEP_1) | instskip(SKIP_3) | instid1(VALU_DEP_4)
	v_cndmask_b32_e64 v25, 0, 1, s10
	v_cmp_gt_i32_e64 s10, 0, v26
	v_lshlrev_b32_e32 v31, 25, v24
	v_lshlrev_b32_e32 v24, 24, v24
	v_cmp_ne_u32_e32 vcc_lo, 0, v25
	v_not_b32_e32 v25, v26
	v_not_b32_e32 v26, v27
	v_xor_b32_e32 v0, vcc_lo, v0
	s_delay_alu instid0(VALU_DEP_3)
	v_ashrrev_i32_e32 v25, 31, v25
	v_cmp_gt_i32_e32 vcc_lo, 0, v27
	v_not_b32_e32 v27, v28
	v_ashrrev_i32_e32 v26, 31, v26
	v_and_b32_e32 v0, exec_lo, v0
	v_xor_b32_e32 v25, s10, v25
	v_cmp_gt_i32_e64 s10, 0, v28
	v_not_b32_e32 v28, v29
	v_ashrrev_i32_e32 v27, 31, v27
	v_xor_b32_e32 v26, vcc_lo, v26
	v_and_b32_e32 v0, v0, v25
	v_cmp_gt_i32_e32 vcc_lo, 0, v29
	v_mov_b32_e32 v29, v2
	v_ashrrev_i32_e32 v28, 31, v28
	v_xor_b32_e32 v27, s10, v27
	v_and_b32_e32 v0, v0, v26
	v_not_b32_e32 v25, v30
	v_cmp_gt_i32_e64 s10, 0, v30
	v_xor_b32_e32 v28, vcc_lo, v28
	v_mov_b32_e32 v30, v1
	v_and_b32_e32 v0, v0, v27
	v_ashrrev_i32_e32 v25, 31, v25
	v_not_b32_e32 v27, v24
	v_bfe_u32 v1, v23, s14, 8
	s_delay_alu instid0(VALU_DEP_4)
	v_and_b32_e32 v0, v0, v28
	v_mov_b32_e32 v28, v3
	v_not_b32_e32 v26, v31
	v_cmp_gt_i32_e32 vcc_lo, 0, v31
	v_xor_b32_e32 v25, s10, v25
	v_cmp_gt_i32_e64 s10, 0, v24
	v_ashrrev_i32_e32 v27, 31, v27
	v_ashrrev_i32_e32 v26, 31, v26
	v_mov_b32_e32 v24, v7
	v_and_b32_e32 v0, v0, v25
	v_lshl_add_u32 v1, v1, 4, v17
	v_xor_b32_e32 v7, s10, v27
	v_xor_b32_e32 v26, vcc_lo, v26
	v_mov_b32_e32 v25, v6
	v_mov_b32_e32 v27, v4
	v_lshl_add_u32 v32, v1, 2, 64
	s_delay_alu instid0(VALU_DEP_4) | instskip(SKIP_1) | instid1(VALU_DEP_2)
	v_and_b32_e32 v0, v0, v26
	v_mov_b32_e32 v26, v5
	v_and_b32_e32 v0, v0, v7
	s_delay_alu instid0(VALU_DEP_1) | instskip(SKIP_1) | instid1(VALU_DEP_2)
	v_mbcnt_lo_u32_b32 v31, v0, 0
	v_cmp_ne_u32_e64 s10, 0, v0
	v_cmp_eq_u32_e32 vcc_lo, 0, v31
	s_delay_alu instid0(VALU_DEP_2) | instskip(NEXT) | instid1(SALU_CYCLE_1)
	s_and_b32 s15, s10, vcc_lo
	s_and_saveexec_b32 s10, s15
	s_cbranch_execz .LBB46_6
; %bb.5:                                ;   in Loop: Header=BB46_4 Depth=2
	v_bcnt_u32_b32 v0, v0, 0
	ds_store_b32 v32, v0
.LBB46_6:                               ;   in Loop: Header=BB46_4 Depth=2
	s_or_b32 exec_lo, exec_lo, s10
	v_bfe_u32 v0, v30, s14, 1
	v_lshrrev_b32_e32 v1, s14, v30
	; wave barrier
	s_delay_alu instid0(VALU_DEP_2) | instskip(NEXT) | instid1(VALU_DEP_1)
	v_add_co_u32 v0, s10, v0, -1
	v_cndmask_b32_e64 v2, 0, 1, s10
	s_delay_alu instid0(VALU_DEP_3)
	v_lshlrev_b32_e32 v3, 30, v1
	v_lshlrev_b32_e32 v4, 29, v1
	;; [unrolled: 1-line block ×4, first 2 shown]
	v_cmp_ne_u32_e32 vcc_lo, 0, v2
	v_not_b32_e32 v2, v3
	v_cmp_gt_i32_e64 s10, 0, v3
	v_not_b32_e32 v3, v4
	v_lshlrev_b32_e32 v7, 26, v1
	v_xor_b32_e32 v0, vcc_lo, v0
	v_ashrrev_i32_e32 v2, 31, v2
	v_cmp_gt_i32_e32 vcc_lo, 0, v4
	v_not_b32_e32 v4, v5
	v_ashrrev_i32_e32 v3, 31, v3
	v_and_b32_e32 v0, exec_lo, v0
	v_xor_b32_e32 v2, s10, v2
	v_cmp_gt_i32_e64 s10, 0, v5
	v_not_b32_e32 v5, v6
	v_ashrrev_i32_e32 v4, 31, v4
	v_xor_b32_e32 v3, vcc_lo, v3
	v_and_b32_e32 v0, v0, v2
	v_cmp_gt_i32_e32 vcc_lo, 0, v6
	v_not_b32_e32 v2, v7
	v_ashrrev_i32_e32 v5, 31, v5
	v_xor_b32_e32 v4, s10, v4
	v_and_b32_e32 v0, v0, v3
	v_lshlrev_b32_e32 v3, 25, v1
	v_cmp_gt_i32_e64 s10, 0, v7
	v_ashrrev_i32_e32 v2, 31, v2
	v_xor_b32_e32 v5, vcc_lo, v5
	v_and_b32_e32 v0, v0, v4
	v_not_b32_e32 v6, v3
	v_lshlrev_b32_e32 v1, 24, v1
	v_bfe_u32 v4, v30, s14, 8
	v_xor_b32_e32 v2, s10, v2
	v_and_b32_e32 v0, v0, v5
	v_cmp_gt_i32_e32 vcc_lo, 0, v3
	v_ashrrev_i32_e32 v3, 31, v6
	v_not_b32_e32 v5, v1
	v_lshlrev_b32_e32 v4, 4, v4
	v_and_b32_e32 v0, v0, v2
	s_delay_alu instid0(VALU_DEP_4) | instskip(SKIP_3) | instid1(VALU_DEP_4)
	v_xor_b32_e32 v2, vcc_lo, v3
	v_cmp_gt_i32_e32 vcc_lo, 0, v1
	v_ashrrev_i32_e32 v1, 31, v5
	v_add_lshl_u32 v3, v4, v17, 2
	v_and_b32_e32 v0, v0, v2
	s_delay_alu instid0(VALU_DEP_3) | instskip(SKIP_3) | instid1(VALU_DEP_1)
	v_xor_b32_e32 v1, vcc_lo, v1
	ds_load_b32 v33, v3 offset:64
	v_add_nc_u32_e32 v35, 64, v3
	; wave barrier
	v_and_b32_e32 v0, v0, v1
	v_mbcnt_lo_u32_b32 v34, v0, 0
	v_cmp_ne_u32_e64 s10, 0, v0
	s_delay_alu instid0(VALU_DEP_2) | instskip(NEXT) | instid1(VALU_DEP_2)
	v_cmp_eq_u32_e32 vcc_lo, 0, v34
	s_and_b32 s15, s10, vcc_lo
	s_delay_alu instid0(SALU_CYCLE_1)
	s_and_saveexec_b32 s10, s15
	s_cbranch_execz .LBB46_8
; %bb.7:                                ;   in Loop: Header=BB46_4 Depth=2
	s_waitcnt lgkmcnt(0)
	v_bcnt_u32_b32 v0, v0, v33
	ds_store_b32 v35, v0
.LBB46_8:                               ;   in Loop: Header=BB46_4 Depth=2
	s_or_b32 exec_lo, exec_lo, s10
	v_bfe_u32 v0, v29, s14, 1
	v_lshrrev_b32_e32 v1, s14, v29
	; wave barrier
	s_delay_alu instid0(VALU_DEP_2) | instskip(NEXT) | instid1(VALU_DEP_1)
	v_add_co_u32 v0, s10, v0, -1
	v_cndmask_b32_e64 v2, 0, 1, s10
	s_delay_alu instid0(VALU_DEP_3)
	v_lshlrev_b32_e32 v3, 30, v1
	v_lshlrev_b32_e32 v4, 29, v1
	;; [unrolled: 1-line block ×4, first 2 shown]
	v_cmp_ne_u32_e32 vcc_lo, 0, v2
	v_not_b32_e32 v2, v3
	v_cmp_gt_i32_e64 s10, 0, v3
	v_not_b32_e32 v3, v4
	v_lshlrev_b32_e32 v7, 26, v1
	v_xor_b32_e32 v0, vcc_lo, v0
	v_ashrrev_i32_e32 v2, 31, v2
	v_cmp_gt_i32_e32 vcc_lo, 0, v4
	v_not_b32_e32 v4, v5
	v_ashrrev_i32_e32 v3, 31, v3
	v_and_b32_e32 v0, exec_lo, v0
	v_xor_b32_e32 v2, s10, v2
	v_cmp_gt_i32_e64 s10, 0, v5
	v_not_b32_e32 v5, v6
	v_ashrrev_i32_e32 v4, 31, v4
	v_xor_b32_e32 v3, vcc_lo, v3
	v_and_b32_e32 v0, v0, v2
	v_cmp_gt_i32_e32 vcc_lo, 0, v6
	v_not_b32_e32 v2, v7
	v_ashrrev_i32_e32 v5, 31, v5
	v_xor_b32_e32 v4, s10, v4
	v_and_b32_e32 v0, v0, v3
	v_lshlrev_b32_e32 v3, 25, v1
	v_cmp_gt_i32_e64 s10, 0, v7
	v_ashrrev_i32_e32 v2, 31, v2
	v_xor_b32_e32 v5, vcc_lo, v5
	v_and_b32_e32 v0, v0, v4
	v_not_b32_e32 v6, v3
	v_lshlrev_b32_e32 v1, 24, v1
	v_bfe_u32 v4, v29, s14, 8
	v_xor_b32_e32 v2, s10, v2
	v_and_b32_e32 v0, v0, v5
	v_cmp_gt_i32_e32 vcc_lo, 0, v3
	v_ashrrev_i32_e32 v3, 31, v6
	v_not_b32_e32 v5, v1
	v_lshlrev_b32_e32 v4, 4, v4
	v_and_b32_e32 v0, v0, v2
	s_delay_alu instid0(VALU_DEP_4) | instskip(SKIP_3) | instid1(VALU_DEP_4)
	v_xor_b32_e32 v2, vcc_lo, v3
	v_cmp_gt_i32_e32 vcc_lo, 0, v1
	v_ashrrev_i32_e32 v1, 31, v5
	v_add_lshl_u32 v3, v4, v17, 2
	v_and_b32_e32 v0, v0, v2
	s_delay_alu instid0(VALU_DEP_3) | instskip(SKIP_3) | instid1(VALU_DEP_1)
	v_xor_b32_e32 v1, vcc_lo, v1
	ds_load_b32 v36, v3 offset:64
	v_add_nc_u32_e32 v38, 64, v3
	; wave barrier
	v_and_b32_e32 v0, v0, v1
	v_mbcnt_lo_u32_b32 v37, v0, 0
	v_cmp_ne_u32_e64 s10, 0, v0
	s_delay_alu instid0(VALU_DEP_2) | instskip(NEXT) | instid1(VALU_DEP_2)
	v_cmp_eq_u32_e32 vcc_lo, 0, v37
	s_and_b32 s15, s10, vcc_lo
	s_delay_alu instid0(SALU_CYCLE_1)
	s_and_saveexec_b32 s10, s15
	s_cbranch_execz .LBB46_10
; %bb.9:                                ;   in Loop: Header=BB46_4 Depth=2
	s_waitcnt lgkmcnt(0)
	v_bcnt_u32_b32 v0, v0, v36
	ds_store_b32 v38, v0
.LBB46_10:                              ;   in Loop: Header=BB46_4 Depth=2
	s_or_b32 exec_lo, exec_lo, s10
	v_bfe_u32 v0, v28, s14, 1
	v_lshrrev_b32_e32 v1, s14, v28
	; wave barrier
	s_delay_alu instid0(VALU_DEP_2) | instskip(NEXT) | instid1(VALU_DEP_1)
	v_add_co_u32 v0, s10, v0, -1
	v_cndmask_b32_e64 v2, 0, 1, s10
	s_delay_alu instid0(VALU_DEP_3)
	v_lshlrev_b32_e32 v3, 30, v1
	v_lshlrev_b32_e32 v4, 29, v1
	;; [unrolled: 1-line block ×4, first 2 shown]
	v_cmp_ne_u32_e32 vcc_lo, 0, v2
	v_not_b32_e32 v2, v3
	v_cmp_gt_i32_e64 s10, 0, v3
	v_not_b32_e32 v3, v4
	v_lshlrev_b32_e32 v7, 26, v1
	v_xor_b32_e32 v0, vcc_lo, v0
	v_ashrrev_i32_e32 v2, 31, v2
	v_cmp_gt_i32_e32 vcc_lo, 0, v4
	v_not_b32_e32 v4, v5
	v_ashrrev_i32_e32 v3, 31, v3
	v_and_b32_e32 v0, exec_lo, v0
	v_xor_b32_e32 v2, s10, v2
	v_cmp_gt_i32_e64 s10, 0, v5
	v_not_b32_e32 v5, v6
	v_ashrrev_i32_e32 v4, 31, v4
	v_xor_b32_e32 v3, vcc_lo, v3
	v_and_b32_e32 v0, v0, v2
	v_cmp_gt_i32_e32 vcc_lo, 0, v6
	v_not_b32_e32 v2, v7
	v_ashrrev_i32_e32 v5, 31, v5
	v_xor_b32_e32 v4, s10, v4
	v_and_b32_e32 v0, v0, v3
	v_lshlrev_b32_e32 v3, 25, v1
	v_cmp_gt_i32_e64 s10, 0, v7
	v_ashrrev_i32_e32 v2, 31, v2
	v_xor_b32_e32 v5, vcc_lo, v5
	v_and_b32_e32 v0, v0, v4
	v_not_b32_e32 v6, v3
	v_lshlrev_b32_e32 v1, 24, v1
	v_bfe_u32 v4, v28, s14, 8
	v_xor_b32_e32 v2, s10, v2
	v_and_b32_e32 v0, v0, v5
	v_cmp_gt_i32_e32 vcc_lo, 0, v3
	v_ashrrev_i32_e32 v3, 31, v6
	v_not_b32_e32 v5, v1
	v_lshlrev_b32_e32 v4, 4, v4
	v_and_b32_e32 v0, v0, v2
	s_delay_alu instid0(VALU_DEP_4) | instskip(SKIP_3) | instid1(VALU_DEP_4)
	v_xor_b32_e32 v2, vcc_lo, v3
	v_cmp_gt_i32_e32 vcc_lo, 0, v1
	v_ashrrev_i32_e32 v1, 31, v5
	v_add_lshl_u32 v3, v4, v17, 2
	v_and_b32_e32 v0, v0, v2
	s_delay_alu instid0(VALU_DEP_3) | instskip(SKIP_3) | instid1(VALU_DEP_1)
	v_xor_b32_e32 v1, vcc_lo, v1
	ds_load_b32 v39, v3 offset:64
	v_add_nc_u32_e32 v41, 64, v3
	; wave barrier
	v_and_b32_e32 v0, v0, v1
	v_mbcnt_lo_u32_b32 v40, v0, 0
	v_cmp_ne_u32_e64 s10, 0, v0
	s_delay_alu instid0(VALU_DEP_2) | instskip(NEXT) | instid1(VALU_DEP_2)
	v_cmp_eq_u32_e32 vcc_lo, 0, v40
	s_and_b32 s15, s10, vcc_lo
	s_delay_alu instid0(SALU_CYCLE_1)
	s_and_saveexec_b32 s10, s15
	s_cbranch_execz .LBB46_12
; %bb.11:                               ;   in Loop: Header=BB46_4 Depth=2
	s_waitcnt lgkmcnt(0)
	v_bcnt_u32_b32 v0, v0, v39
	ds_store_b32 v41, v0
.LBB46_12:                              ;   in Loop: Header=BB46_4 Depth=2
	s_or_b32 exec_lo, exec_lo, s10
	v_bfe_u32 v0, v27, s14, 1
	v_lshrrev_b32_e32 v1, s14, v27
	; wave barrier
	s_delay_alu instid0(VALU_DEP_2) | instskip(NEXT) | instid1(VALU_DEP_1)
	v_add_co_u32 v0, s10, v0, -1
	v_cndmask_b32_e64 v2, 0, 1, s10
	s_delay_alu instid0(VALU_DEP_3)
	v_lshlrev_b32_e32 v3, 30, v1
	v_lshlrev_b32_e32 v4, 29, v1
	;; [unrolled: 1-line block ×4, first 2 shown]
	v_cmp_ne_u32_e32 vcc_lo, 0, v2
	v_not_b32_e32 v2, v3
	v_cmp_gt_i32_e64 s10, 0, v3
	v_not_b32_e32 v3, v4
	v_lshlrev_b32_e32 v7, 26, v1
	v_xor_b32_e32 v0, vcc_lo, v0
	v_ashrrev_i32_e32 v2, 31, v2
	v_cmp_gt_i32_e32 vcc_lo, 0, v4
	v_not_b32_e32 v4, v5
	v_ashrrev_i32_e32 v3, 31, v3
	v_and_b32_e32 v0, exec_lo, v0
	v_xor_b32_e32 v2, s10, v2
	v_cmp_gt_i32_e64 s10, 0, v5
	v_not_b32_e32 v5, v6
	v_ashrrev_i32_e32 v4, 31, v4
	v_xor_b32_e32 v3, vcc_lo, v3
	v_and_b32_e32 v0, v0, v2
	v_cmp_gt_i32_e32 vcc_lo, 0, v6
	v_not_b32_e32 v2, v7
	v_ashrrev_i32_e32 v5, 31, v5
	v_xor_b32_e32 v4, s10, v4
	v_and_b32_e32 v0, v0, v3
	v_lshlrev_b32_e32 v3, 25, v1
	v_cmp_gt_i32_e64 s10, 0, v7
	v_ashrrev_i32_e32 v2, 31, v2
	v_xor_b32_e32 v5, vcc_lo, v5
	v_and_b32_e32 v0, v0, v4
	v_not_b32_e32 v6, v3
	v_lshlrev_b32_e32 v1, 24, v1
	v_bfe_u32 v4, v27, s14, 8
	v_xor_b32_e32 v2, s10, v2
	v_and_b32_e32 v0, v0, v5
	v_cmp_gt_i32_e32 vcc_lo, 0, v3
	v_ashrrev_i32_e32 v3, 31, v6
	v_not_b32_e32 v5, v1
	v_lshlrev_b32_e32 v4, 4, v4
	v_and_b32_e32 v0, v0, v2
	s_delay_alu instid0(VALU_DEP_4) | instskip(SKIP_3) | instid1(VALU_DEP_4)
	v_xor_b32_e32 v2, vcc_lo, v3
	v_cmp_gt_i32_e32 vcc_lo, 0, v1
	v_ashrrev_i32_e32 v1, 31, v5
	v_add_lshl_u32 v3, v4, v17, 2
	v_and_b32_e32 v0, v0, v2
	s_delay_alu instid0(VALU_DEP_3) | instskip(SKIP_3) | instid1(VALU_DEP_1)
	v_xor_b32_e32 v1, vcc_lo, v1
	ds_load_b32 v42, v3 offset:64
	v_add_nc_u32_e32 v44, 64, v3
	; wave barrier
	v_and_b32_e32 v0, v0, v1
	v_mbcnt_lo_u32_b32 v43, v0, 0
	v_cmp_ne_u32_e64 s10, 0, v0
	s_delay_alu instid0(VALU_DEP_2) | instskip(NEXT) | instid1(VALU_DEP_2)
	v_cmp_eq_u32_e32 vcc_lo, 0, v43
	s_and_b32 s15, s10, vcc_lo
	s_delay_alu instid0(SALU_CYCLE_1)
	s_and_saveexec_b32 s10, s15
	s_cbranch_execz .LBB46_14
; %bb.13:                               ;   in Loop: Header=BB46_4 Depth=2
	s_waitcnt lgkmcnt(0)
	v_bcnt_u32_b32 v0, v0, v42
	ds_store_b32 v44, v0
.LBB46_14:                              ;   in Loop: Header=BB46_4 Depth=2
	s_or_b32 exec_lo, exec_lo, s10
	v_bfe_u32 v0, v26, s14, 1
	v_lshrrev_b32_e32 v1, s14, v26
	; wave barrier
	s_delay_alu instid0(VALU_DEP_2) | instskip(NEXT) | instid1(VALU_DEP_1)
	v_add_co_u32 v0, s10, v0, -1
	v_cndmask_b32_e64 v2, 0, 1, s10
	s_delay_alu instid0(VALU_DEP_3)
	v_lshlrev_b32_e32 v3, 30, v1
	v_lshlrev_b32_e32 v4, 29, v1
	;; [unrolled: 1-line block ×4, first 2 shown]
	v_cmp_ne_u32_e32 vcc_lo, 0, v2
	v_not_b32_e32 v2, v3
	v_cmp_gt_i32_e64 s10, 0, v3
	v_not_b32_e32 v3, v4
	v_lshlrev_b32_e32 v7, 26, v1
	v_xor_b32_e32 v0, vcc_lo, v0
	v_ashrrev_i32_e32 v2, 31, v2
	v_cmp_gt_i32_e32 vcc_lo, 0, v4
	v_not_b32_e32 v4, v5
	v_ashrrev_i32_e32 v3, 31, v3
	v_and_b32_e32 v0, exec_lo, v0
	v_xor_b32_e32 v2, s10, v2
	v_cmp_gt_i32_e64 s10, 0, v5
	v_not_b32_e32 v5, v6
	v_ashrrev_i32_e32 v4, 31, v4
	v_xor_b32_e32 v3, vcc_lo, v3
	v_and_b32_e32 v0, v0, v2
	v_cmp_gt_i32_e32 vcc_lo, 0, v6
	v_not_b32_e32 v2, v7
	v_ashrrev_i32_e32 v5, 31, v5
	v_xor_b32_e32 v4, s10, v4
	v_and_b32_e32 v0, v0, v3
	v_lshlrev_b32_e32 v3, 25, v1
	v_cmp_gt_i32_e64 s10, 0, v7
	v_ashrrev_i32_e32 v2, 31, v2
	v_xor_b32_e32 v5, vcc_lo, v5
	v_and_b32_e32 v0, v0, v4
	v_not_b32_e32 v6, v3
	v_lshlrev_b32_e32 v1, 24, v1
	v_bfe_u32 v4, v26, s14, 8
	v_xor_b32_e32 v2, s10, v2
	v_and_b32_e32 v0, v0, v5
	v_cmp_gt_i32_e32 vcc_lo, 0, v3
	v_ashrrev_i32_e32 v3, 31, v6
	v_not_b32_e32 v5, v1
	v_lshlrev_b32_e32 v4, 4, v4
	v_and_b32_e32 v0, v0, v2
	s_delay_alu instid0(VALU_DEP_4) | instskip(SKIP_3) | instid1(VALU_DEP_4)
	v_xor_b32_e32 v2, vcc_lo, v3
	v_cmp_gt_i32_e32 vcc_lo, 0, v1
	v_ashrrev_i32_e32 v1, 31, v5
	v_add_lshl_u32 v3, v4, v17, 2
	v_and_b32_e32 v0, v0, v2
	s_delay_alu instid0(VALU_DEP_3) | instskip(SKIP_3) | instid1(VALU_DEP_1)
	v_xor_b32_e32 v1, vcc_lo, v1
	ds_load_b32 v45, v3 offset:64
	v_add_nc_u32_e32 v47, 64, v3
	; wave barrier
	v_and_b32_e32 v0, v0, v1
	v_mbcnt_lo_u32_b32 v46, v0, 0
	v_cmp_ne_u32_e64 s10, 0, v0
	s_delay_alu instid0(VALU_DEP_2) | instskip(NEXT) | instid1(VALU_DEP_2)
	v_cmp_eq_u32_e32 vcc_lo, 0, v46
	s_and_b32 s15, s10, vcc_lo
	s_delay_alu instid0(SALU_CYCLE_1)
	s_and_saveexec_b32 s10, s15
	s_cbranch_execz .LBB46_16
; %bb.15:                               ;   in Loop: Header=BB46_4 Depth=2
	s_waitcnt lgkmcnt(0)
	v_bcnt_u32_b32 v0, v0, v45
	ds_store_b32 v47, v0
.LBB46_16:                              ;   in Loop: Header=BB46_4 Depth=2
	s_or_b32 exec_lo, exec_lo, s10
	v_bfe_u32 v0, v25, s14, 1
	v_lshrrev_b32_e32 v1, s14, v25
	; wave barrier
	s_delay_alu instid0(VALU_DEP_2) | instskip(NEXT) | instid1(VALU_DEP_1)
	v_add_co_u32 v0, s10, v0, -1
	v_cndmask_b32_e64 v2, 0, 1, s10
	s_delay_alu instid0(VALU_DEP_3)
	v_lshlrev_b32_e32 v3, 30, v1
	v_lshlrev_b32_e32 v4, 29, v1
	;; [unrolled: 1-line block ×4, first 2 shown]
	v_cmp_ne_u32_e32 vcc_lo, 0, v2
	v_not_b32_e32 v2, v3
	v_cmp_gt_i32_e64 s10, 0, v3
	v_not_b32_e32 v3, v4
	v_lshlrev_b32_e32 v7, 26, v1
	v_xor_b32_e32 v0, vcc_lo, v0
	v_ashrrev_i32_e32 v2, 31, v2
	v_cmp_gt_i32_e32 vcc_lo, 0, v4
	v_not_b32_e32 v4, v5
	v_ashrrev_i32_e32 v3, 31, v3
	v_and_b32_e32 v0, exec_lo, v0
	v_xor_b32_e32 v2, s10, v2
	v_cmp_gt_i32_e64 s10, 0, v5
	v_not_b32_e32 v5, v6
	v_ashrrev_i32_e32 v4, 31, v4
	v_xor_b32_e32 v3, vcc_lo, v3
	v_and_b32_e32 v0, v0, v2
	v_cmp_gt_i32_e32 vcc_lo, 0, v6
	v_not_b32_e32 v2, v7
	v_ashrrev_i32_e32 v5, 31, v5
	v_xor_b32_e32 v4, s10, v4
	v_and_b32_e32 v0, v0, v3
	v_lshlrev_b32_e32 v3, 25, v1
	v_cmp_gt_i32_e64 s10, 0, v7
	v_ashrrev_i32_e32 v2, 31, v2
	v_xor_b32_e32 v5, vcc_lo, v5
	v_and_b32_e32 v0, v0, v4
	v_not_b32_e32 v6, v3
	v_lshlrev_b32_e32 v1, 24, v1
	v_bfe_u32 v4, v25, s14, 8
	v_xor_b32_e32 v2, s10, v2
	v_and_b32_e32 v0, v0, v5
	v_cmp_gt_i32_e32 vcc_lo, 0, v3
	v_ashrrev_i32_e32 v3, 31, v6
	v_not_b32_e32 v5, v1
	v_lshlrev_b32_e32 v4, 4, v4
	v_and_b32_e32 v0, v0, v2
	s_delay_alu instid0(VALU_DEP_4) | instskip(SKIP_3) | instid1(VALU_DEP_4)
	v_xor_b32_e32 v2, vcc_lo, v3
	v_cmp_gt_i32_e32 vcc_lo, 0, v1
	v_ashrrev_i32_e32 v1, 31, v5
	v_add_lshl_u32 v3, v4, v17, 2
	v_and_b32_e32 v0, v0, v2
	s_delay_alu instid0(VALU_DEP_3) | instskip(SKIP_3) | instid1(VALU_DEP_1)
	v_xor_b32_e32 v1, vcc_lo, v1
	ds_load_b32 v48, v3 offset:64
	v_add_nc_u32_e32 v50, 64, v3
	; wave barrier
	v_and_b32_e32 v0, v0, v1
	v_mbcnt_lo_u32_b32 v49, v0, 0
	v_cmp_ne_u32_e64 s10, 0, v0
	s_delay_alu instid0(VALU_DEP_2) | instskip(NEXT) | instid1(VALU_DEP_2)
	v_cmp_eq_u32_e32 vcc_lo, 0, v49
	s_and_b32 s15, s10, vcc_lo
	s_delay_alu instid0(SALU_CYCLE_1)
	s_and_saveexec_b32 s10, s15
	s_cbranch_execz .LBB46_18
; %bb.17:                               ;   in Loop: Header=BB46_4 Depth=2
	s_waitcnt lgkmcnt(0)
	v_bcnt_u32_b32 v0, v0, v48
	ds_store_b32 v50, v0
.LBB46_18:                              ;   in Loop: Header=BB46_4 Depth=2
	s_or_b32 exec_lo, exec_lo, s10
	v_bfe_u32 v0, v24, s14, 1
	v_lshrrev_b32_e32 v1, s14, v24
	; wave barrier
	s_delay_alu instid0(VALU_DEP_2) | instskip(NEXT) | instid1(VALU_DEP_1)
	v_add_co_u32 v0, s10, v0, -1
	v_cndmask_b32_e64 v2, 0, 1, s10
	s_delay_alu instid0(VALU_DEP_3)
	v_lshlrev_b32_e32 v3, 30, v1
	v_lshlrev_b32_e32 v4, 29, v1
	;; [unrolled: 1-line block ×4, first 2 shown]
	v_cmp_ne_u32_e32 vcc_lo, 0, v2
	v_not_b32_e32 v2, v3
	v_cmp_gt_i32_e64 s10, 0, v3
	v_not_b32_e32 v3, v4
	v_lshlrev_b32_e32 v7, 26, v1
	v_xor_b32_e32 v0, vcc_lo, v0
	v_ashrrev_i32_e32 v2, 31, v2
	v_cmp_gt_i32_e32 vcc_lo, 0, v4
	v_not_b32_e32 v4, v5
	v_ashrrev_i32_e32 v3, 31, v3
	v_and_b32_e32 v0, exec_lo, v0
	v_xor_b32_e32 v2, s10, v2
	v_cmp_gt_i32_e64 s10, 0, v5
	v_not_b32_e32 v5, v6
	v_ashrrev_i32_e32 v4, 31, v4
	v_xor_b32_e32 v3, vcc_lo, v3
	v_and_b32_e32 v0, v0, v2
	v_cmp_gt_i32_e32 vcc_lo, 0, v6
	v_not_b32_e32 v2, v7
	v_ashrrev_i32_e32 v5, 31, v5
	v_xor_b32_e32 v4, s10, v4
	v_and_b32_e32 v0, v0, v3
	v_lshlrev_b32_e32 v3, 25, v1
	v_cmp_gt_i32_e64 s10, 0, v7
	v_ashrrev_i32_e32 v2, 31, v2
	v_xor_b32_e32 v5, vcc_lo, v5
	v_and_b32_e32 v0, v0, v4
	v_not_b32_e32 v6, v3
	v_lshlrev_b32_e32 v1, 24, v1
	v_bfe_u32 v4, v24, s14, 8
	v_xor_b32_e32 v2, s10, v2
	v_and_b32_e32 v0, v0, v5
	v_cmp_gt_i32_e32 vcc_lo, 0, v3
	v_ashrrev_i32_e32 v3, 31, v6
	v_not_b32_e32 v5, v1
	v_lshlrev_b32_e32 v4, 4, v4
	v_and_b32_e32 v0, v0, v2
	s_delay_alu instid0(VALU_DEP_4) | instskip(SKIP_3) | instid1(VALU_DEP_4)
	v_xor_b32_e32 v2, vcc_lo, v3
	v_cmp_gt_i32_e32 vcc_lo, 0, v1
	v_ashrrev_i32_e32 v1, 31, v5
	v_add_lshl_u32 v3, v4, v17, 2
	v_and_b32_e32 v0, v0, v2
	s_delay_alu instid0(VALU_DEP_3) | instskip(SKIP_3) | instid1(VALU_DEP_1)
	v_xor_b32_e32 v1, vcc_lo, v1
	ds_load_b32 v51, v3 offset:64
	v_add_nc_u32_e32 v53, 64, v3
	; wave barrier
	v_and_b32_e32 v0, v0, v1
	v_mbcnt_lo_u32_b32 v52, v0, 0
	v_cmp_ne_u32_e64 s10, 0, v0
	s_delay_alu instid0(VALU_DEP_2) | instskip(NEXT) | instid1(VALU_DEP_2)
	v_cmp_eq_u32_e32 vcc_lo, 0, v52
	s_and_b32 s15, s10, vcc_lo
	s_delay_alu instid0(SALU_CYCLE_1)
	s_and_saveexec_b32 s10, s15
	s_cbranch_execz .LBB46_20
; %bb.19:                               ;   in Loop: Header=BB46_4 Depth=2
	s_waitcnt lgkmcnt(0)
	v_bcnt_u32_b32 v0, v0, v51
	ds_store_b32 v53, v0
.LBB46_20:                              ;   in Loop: Header=BB46_4 Depth=2
	s_or_b32 exec_lo, exec_lo, s10
	; wave barrier
	s_waitcnt lgkmcnt(0)
	s_barrier
	buffer_gl0_inv
	ds_load_2addr_b64 v[4:7], v13 offset0:8 offset1:9
	ds_load_2addr_b64 v[0:3], v16 offset0:2 offset1:3
	s_waitcnt lgkmcnt(1)
	v_add_nc_u32_e32 v54, v5, v4
	s_delay_alu instid0(VALU_DEP_1) | instskip(SKIP_1) | instid1(VALU_DEP_1)
	v_add3_u32 v54, v54, v6, v7
	s_waitcnt lgkmcnt(0)
	v_add3_u32 v54, v54, v0, v1
	s_delay_alu instid0(VALU_DEP_1) | instskip(NEXT) | instid1(VALU_DEP_1)
	v_add3_u32 v3, v54, v2, v3
	v_mov_b32_dpp v54, v3 row_shr:1 row_mask:0xf bank_mask:0xf
	s_delay_alu instid0(VALU_DEP_1) | instskip(NEXT) | instid1(VALU_DEP_1)
	v_cndmask_b32_e64 v54, v54, 0, s0
	v_add_nc_u32_e32 v3, v54, v3
	s_delay_alu instid0(VALU_DEP_1) | instskip(NEXT) | instid1(VALU_DEP_1)
	v_mov_b32_dpp v54, v3 row_shr:2 row_mask:0xf bank_mask:0xf
	v_cndmask_b32_e64 v54, 0, v54, s1
	s_delay_alu instid0(VALU_DEP_1) | instskip(NEXT) | instid1(VALU_DEP_1)
	v_add_nc_u32_e32 v3, v3, v54
	v_mov_b32_dpp v54, v3 row_shr:4 row_mask:0xf bank_mask:0xf
	s_delay_alu instid0(VALU_DEP_1) | instskip(NEXT) | instid1(VALU_DEP_1)
	v_cndmask_b32_e64 v54, 0, v54, s2
	v_add_nc_u32_e32 v3, v3, v54
	s_delay_alu instid0(VALU_DEP_1) | instskip(NEXT) | instid1(VALU_DEP_1)
	v_mov_b32_dpp v54, v3 row_shr:8 row_mask:0xf bank_mask:0xf
	v_cndmask_b32_e64 v54, 0, v54, s3
	s_delay_alu instid0(VALU_DEP_1) | instskip(SKIP_3) | instid1(VALU_DEP_1)
	v_add_nc_u32_e32 v3, v3, v54
	ds_swizzle_b32 v54, v3 offset:swizzle(BROADCAST,32,15)
	s_waitcnt lgkmcnt(0)
	v_cndmask_b32_e64 v54, v54, 0, s4
	v_add_nc_u32_e32 v3, v3, v54
	s_and_saveexec_b32 s10, s5
	s_cbranch_execz .LBB46_22
; %bb.21:                               ;   in Loop: Header=BB46_4 Depth=2
	ds_store_b32 v18, v3
.LBB46_22:                              ;   in Loop: Header=BB46_4 Depth=2
	s_or_b32 exec_lo, exec_lo, s10
	s_waitcnt lgkmcnt(0)
	s_barrier
	buffer_gl0_inv
	s_and_saveexec_b32 s10, s6
	s_cbranch_execz .LBB46_24
; %bb.23:                               ;   in Loop: Header=BB46_4 Depth=2
	ds_load_b32 v54, v20
	s_waitcnt lgkmcnt(0)
	v_mov_b32_dpp v55, v54 row_shr:1 row_mask:0xf bank_mask:0xf
	s_delay_alu instid0(VALU_DEP_1) | instskip(NEXT) | instid1(VALU_DEP_1)
	v_cndmask_b32_e64 v55, v55, 0, s0
	v_add_nc_u32_e32 v54, v55, v54
	s_delay_alu instid0(VALU_DEP_1) | instskip(NEXT) | instid1(VALU_DEP_1)
	v_mov_b32_dpp v55, v54 row_shr:2 row_mask:0xf bank_mask:0xf
	v_cndmask_b32_e64 v55, 0, v55, s1
	s_delay_alu instid0(VALU_DEP_1) | instskip(NEXT) | instid1(VALU_DEP_1)
	v_add_nc_u32_e32 v54, v54, v55
	v_mov_b32_dpp v55, v54 row_shr:4 row_mask:0xf bank_mask:0xf
	s_delay_alu instid0(VALU_DEP_1) | instskip(NEXT) | instid1(VALU_DEP_1)
	v_cndmask_b32_e64 v55, 0, v55, s2
	v_add_nc_u32_e32 v54, v54, v55
	s_delay_alu instid0(VALU_DEP_1) | instskip(NEXT) | instid1(VALU_DEP_1)
	v_mov_b32_dpp v55, v54 row_shr:8 row_mask:0xf bank_mask:0xf
	v_cndmask_b32_e64 v55, 0, v55, s3
	s_delay_alu instid0(VALU_DEP_1)
	v_add_nc_u32_e32 v54, v54, v55
	ds_store_b32 v20, v54
.LBB46_24:                              ;   in Loop: Header=BB46_4 Depth=2
	s_or_b32 exec_lo, exec_lo, s10
	v_mov_b32_e32 v54, 0
	s_waitcnt lgkmcnt(0)
	s_barrier
	buffer_gl0_inv
	s_and_saveexec_b32 s10, s7
	s_cbranch_execz .LBB46_26
; %bb.25:                               ;   in Loop: Header=BB46_4 Depth=2
	ds_load_b32 v54, v21
.LBB46_26:                              ;   in Loop: Header=BB46_4 Depth=2
	s_or_b32 exec_lo, exec_lo, s10
	s_waitcnt lgkmcnt(0)
	v_add_nc_u32_e32 v3, v54, v3
	s_cmp_gt_u32 s14, 23
	ds_bpermute_b32 v3, v19, v3
	s_waitcnt lgkmcnt(0)
	v_cndmask_b32_e64 v3, v3, v54, s8
	s_delay_alu instid0(VALU_DEP_1) | instskip(NEXT) | instid1(VALU_DEP_1)
	v_cndmask_b32_e64 v3, v3, 0, s9
	v_add_nc_u32_e32 v4, v3, v4
	s_delay_alu instid0(VALU_DEP_1) | instskip(NEXT) | instid1(VALU_DEP_1)
	v_add_nc_u32_e32 v5, v4, v5
	v_add_nc_u32_e32 v6, v5, v6
	s_delay_alu instid0(VALU_DEP_1) | instskip(NEXT) | instid1(VALU_DEP_1)
	v_add_nc_u32_e32 v54, v6, v7
	;; [unrolled: 3-line block ×3, first 2 shown]
	v_add_nc_u32_e32 v1, v0, v2
	ds_store_2addr_b64 v13, v[3:4], v[5:6] offset0:8 offset1:9
	ds_store_2addr_b64 v16, v[54:55], v[0:1] offset0:2 offset1:3
	s_waitcnt lgkmcnt(0)
	s_barrier
	buffer_gl0_inv
	ds_load_b32 v0, v32
	ds_load_b32 v1, v35
	;; [unrolled: 1-line block ×8, first 2 shown]
	s_waitcnt lgkmcnt(7)
	v_add_nc_u32_e32 v41, v0, v31
	s_waitcnt lgkmcnt(6)
	v_add3_u32 v38, v34, v33, v1
	s_waitcnt lgkmcnt(5)
	v_add3_u32 v36, v37, v36, v2
	;; [unrolled: 2-line block ×7, first 2 shown]
	s_cbranch_scc0 .LBB46_3
; %bb.27:                               ;   in Loop: Header=BB46_2 Depth=1
                                        ; implicit-def: $vgpr7
                                        ; implicit-def: $vgpr5
                                        ; implicit-def: $vgpr3
                                        ; implicit-def: $vgpr1
                                        ; implicit-def: $sgpr14
	s_branch .LBB46_1
.LBB46_28:
	v_lshlrev_b32_e32 v0, 2, v8
	s_add_u32 s0, s18, s12
	s_addc_u32 s1, s19, s13
	s_delay_alu instid0(VALU_DEP_1) | instskip(NEXT) | instid1(VALU_DEP_1)
	v_add_co_u32 v14, s2, s0, v0
	v_add_co_ci_u32_e64 v15, null, s1, 0, s2
	s_delay_alu instid0(VALU_DEP_2) | instskip(NEXT) | instid1(VALU_DEP_2)
	v_add_co_u32 v8, vcc_lo, 0x1000, v14
	v_add_co_ci_u32_e32 v9, vcc_lo, 0, v15, vcc_lo
	v_add_co_u32 v10, vcc_lo, v14, 0x2000
	v_add_co_ci_u32_e32 v11, vcc_lo, 0, v15, vcc_lo
	;; [unrolled: 2-line block ×4, first 2 shown]
	s_clause 0x7
	global_store_b32 v[10:11], v23, off
	global_store_b32 v0, v2, s[0:1]
	global_store_b32 v0, v3, s[0:1] offset:2048
	global_store_b32 v[8:9], v5, off offset:2048
	global_store_b32 v[12:13], v6, off offset:2048
	global_store_b32 v[14:15], v7, off
	global_store_b32 v[10:11], v4, off offset:-4096
	global_store_b32 v[14:15], v1, off offset:2048
	s_nop 0
	s_sendmsg sendmsg(MSG_DEALLOC_VGPRS)
	s_endpgm
	.section	.rodata,"a",@progbits
	.p2align	6, 0x0
	.amdhsa_kernel _Z16sort_keys_kernelI22helper_blocked_blockediLj512ELj8ELj10EEvPKT0_PS1_
		.amdhsa_group_segment_fixed_size 16448
		.amdhsa_private_segment_fixed_size 0
		.amdhsa_kernarg_size 272
		.amdhsa_user_sgpr_count 15
		.amdhsa_user_sgpr_dispatch_ptr 0
		.amdhsa_user_sgpr_queue_ptr 0
		.amdhsa_user_sgpr_kernarg_segment_ptr 1
		.amdhsa_user_sgpr_dispatch_id 0
		.amdhsa_user_sgpr_private_segment_size 0
		.amdhsa_wavefront_size32 1
		.amdhsa_uses_dynamic_stack 0
		.amdhsa_enable_private_segment 0
		.amdhsa_system_sgpr_workgroup_id_x 1
		.amdhsa_system_sgpr_workgroup_id_y 0
		.amdhsa_system_sgpr_workgroup_id_z 0
		.amdhsa_system_sgpr_workgroup_info 0
		.amdhsa_system_vgpr_workitem_id 2
		.amdhsa_next_free_vgpr 56
		.amdhsa_next_free_sgpr 20
		.amdhsa_reserve_vcc 1
		.amdhsa_float_round_mode_32 0
		.amdhsa_float_round_mode_16_64 0
		.amdhsa_float_denorm_mode_32 3
		.amdhsa_float_denorm_mode_16_64 3
		.amdhsa_dx10_clamp 1
		.amdhsa_ieee_mode 1
		.amdhsa_fp16_overflow 0
		.amdhsa_workgroup_processor_mode 1
		.amdhsa_memory_ordered 1
		.amdhsa_forward_progress 0
		.amdhsa_shared_vgpr_count 0
		.amdhsa_exception_fp_ieee_invalid_op 0
		.amdhsa_exception_fp_denorm_src 0
		.amdhsa_exception_fp_ieee_div_zero 0
		.amdhsa_exception_fp_ieee_overflow 0
		.amdhsa_exception_fp_ieee_underflow 0
		.amdhsa_exception_fp_ieee_inexact 0
		.amdhsa_exception_int_div_zero 0
	.end_amdhsa_kernel
	.section	.text._Z16sort_keys_kernelI22helper_blocked_blockediLj512ELj8ELj10EEvPKT0_PS1_,"axG",@progbits,_Z16sort_keys_kernelI22helper_blocked_blockediLj512ELj8ELj10EEvPKT0_PS1_,comdat
.Lfunc_end46:
	.size	_Z16sort_keys_kernelI22helper_blocked_blockediLj512ELj8ELj10EEvPKT0_PS1_, .Lfunc_end46-_Z16sort_keys_kernelI22helper_blocked_blockediLj512ELj8ELj10EEvPKT0_PS1_
                                        ; -- End function
	.section	.AMDGPU.csdata,"",@progbits
; Kernel info:
; codeLenInByte = 4660
; NumSgprs: 22
; NumVgprs: 56
; ScratchSize: 0
; MemoryBound: 0
; FloatMode: 240
; IeeeMode: 1
; LDSByteSize: 16448 bytes/workgroup (compile time only)
; SGPRBlocks: 2
; VGPRBlocks: 6
; NumSGPRsForWavesPerEU: 22
; NumVGPRsForWavesPerEU: 56
; Occupancy: 16
; WaveLimiterHint : 1
; COMPUTE_PGM_RSRC2:SCRATCH_EN: 0
; COMPUTE_PGM_RSRC2:USER_SGPR: 15
; COMPUTE_PGM_RSRC2:TRAP_HANDLER: 0
; COMPUTE_PGM_RSRC2:TGID_X_EN: 1
; COMPUTE_PGM_RSRC2:TGID_Y_EN: 0
; COMPUTE_PGM_RSRC2:TGID_Z_EN: 0
; COMPUTE_PGM_RSRC2:TIDIG_COMP_CNT: 2
	.section	.text._Z17sort_pairs_kernelI22helper_blocked_blockediLj512ELj8ELj10EEvPKT0_PS1_,"axG",@progbits,_Z17sort_pairs_kernelI22helper_blocked_blockediLj512ELj8ELj10EEvPKT0_PS1_,comdat
	.protected	_Z17sort_pairs_kernelI22helper_blocked_blockediLj512ELj8ELj10EEvPKT0_PS1_ ; -- Begin function _Z17sort_pairs_kernelI22helper_blocked_blockediLj512ELj8ELj10EEvPKT0_PS1_
	.globl	_Z17sort_pairs_kernelI22helper_blocked_blockediLj512ELj8ELj10EEvPKT0_PS1_
	.p2align	8
	.type	_Z17sort_pairs_kernelI22helper_blocked_blockediLj512ELj8ELj10EEvPKT0_PS1_,@function
_Z17sort_pairs_kernelI22helper_blocked_blockediLj512ELj8ELj10EEvPKT0_PS1_: ; @_Z17sort_pairs_kernelI22helper_blocked_blockediLj512ELj8ELj10EEvPKT0_PS1_
; %bb.0:
	s_clause 0x1
	s_load_b128 s[16:19], s[0:1], 0x0
	s_load_b32 s9, s[0:1], 0x1c
	s_mov_b32 s11, 0
	s_lshl_b32 s10, s15, 12
	s_mov_b32 s14, s11
	s_lshl_b64 s[12:13], s[10:11], 2
	s_mov_b32 s10, s11
	v_and_b32_e32 v8, 0x3ff, v0
	s_mov_b32 s15, s11
	s_delay_alu instid0(VALU_DEP_1) | instskip(SKIP_3) | instid1(VALU_DEP_1)
	v_lshlrev_b32_e32 v7, 2, v8
	s_waitcnt lgkmcnt(0)
	s_add_u32 s0, s16, s12
	s_addc_u32 s1, s17, s13
	v_add_co_u32 v9, s2, s0, v7
	s_delay_alu instid0(VALU_DEP_1) | instskip(NEXT) | instid1(VALU_DEP_2)
	v_add_co_ci_u32_e64 v10, null, s1, 0, s2
	v_add_co_u32 v1, vcc_lo, 0x1000, v9
	s_delay_alu instid0(VALU_DEP_2)
	v_add_co_ci_u32_e32 v2, vcc_lo, 0, v10, vcc_lo
	v_add_co_u32 v3, vcc_lo, v9, 0x2000
	v_add_co_ci_u32_e32 v4, vcc_lo, 0, v10, vcc_lo
	v_add_co_u32 v5, vcc_lo, 0x2000, v9
	;; [unrolled: 2-line block ×3, first 2 shown]
	v_add_co_ci_u32_e32 v10, vcc_lo, 0, v10, vcc_lo
	s_clause 0x7
	global_load_b32 v15, v7, s[0:1]
	global_load_b32 v16, v7, s[0:1] offset:2048
	global_load_b32 v17, v[3:4], off offset:-4096
	global_load_b32 v18, v[1:2], off offset:2048
	global_load_b32 v19, v[3:4], off
	global_load_b32 v20, v[5:6], off offset:2048
	global_load_b32 v14, v[9:10], off
	global_load_b32 v13, v[9:10], off offset:2048
	v_mbcnt_lo_u32_b32 v1, -1, 0
	v_dual_mov_b32 v9, s10 :: v_dual_mov_b32 v10, s11
	v_and_b32_e32 v7, 0x1e0, v8
	v_bfe_u32 v2, v0, 10, 10
	v_bfe_u32 v0, v0, 20, 10
	v_add_nc_u32_e32 v5, -1, v1
	v_and_b32_e32 v4, 16, v1
	v_or_b32_e32 v11, v1, v7
	s_lshr_b32 s10, s9, 16
	v_and_b32_e32 v3, 15, v1
	v_cmp_gt_i32_e32 vcc_lo, 0, v5
	v_lshlrev_b32_e32 v6, 3, v8
	v_mad_u32_u24 v2, v0, s10, v2
	v_lshlrev_b32_e32 v21, 5, v8
	s_and_b32 s9, s9, 0xffff
	v_dual_mov_b32 v11, s14 :: v_dual_lshlrev_b32 v26, 5, v11
	v_cmp_eq_u32_e64 s5, 0, v4
	v_lshrrev_b32_e32 v4, 3, v8
	v_cmp_eq_u32_e64 s0, 0, v1
	v_mov_b32_e32 v12, s15
	v_cmp_eq_u32_e64 s1, 0, v3
	v_cmp_lt_u32_e64 s2, 1, v3
	v_cmp_lt_u32_e64 s3, 3, v3
	;; [unrolled: 1-line block ×3, first 2 shown]
	v_cndmask_b32_e32 v3, v5, v1, vcc_lo
	v_and_or_b32 v6, 0xf00, v6, v1
	v_mad_u64_u32 v[0:1], null, v2, s9, v[8:9]
	v_mul_u32_u24_e32 v5, 28, v8
	v_or_b32_e32 v7, 31, v7
	v_and_b32_e32 v24, 60, v4
	v_mad_i32_i24 v25, 0xffffffe4, v8, v21
	v_cmp_gt_u32_e64 s6, 16, v8
	v_cmp_lt_u32_e64 s7, 31, v8
	v_cmp_eq_u32_e64 s8, 0, v8
	v_add_nc_u32_e32 v22, 64, v21
	v_lshlrev_b32_e32 v23, 2, v3
	v_lshlrev_b32_e32 v27, 2, v6
	v_cmp_eq_u32_e64 s9, v7, v8
	v_add_nc_u32_e32 v28, -4, v24
	v_add_nc_u32_e32 v29, v25, v5
	v_lshrrev_b32_e32 v30, 5, v0
	s_waitcnt vmcnt(7)
	v_add_nc_u32_e32 v4, 1, v15
	s_waitcnt vmcnt(6)
	v_add_nc_u32_e32 v5, 1, v16
	;; [unrolled: 2-line block ×8, first 2 shown]
	s_branch .LBB47_2
.LBB47_1:                               ;   in Loop: Header=BB47_2 Depth=1
	v_lshlrev_b32_e32 v0, 2, v59
	v_lshlrev_b32_e32 v3, 2, v52
	;; [unrolled: 1-line block ×8, first 2 shown]
	s_barrier
	buffer_gl0_inv
	ds_store_b32 v0, v33
	ds_store_b32 v1, v46
	;; [unrolled: 1-line block ×8, first 2 shown]
	s_waitcnt lgkmcnt(0)
	s_barrier
	buffer_gl0_inv
	ds_load_2addr_b64 v[15:18], v29 offset1:1
	ds_load_2addr_b64 v[31:34], v29 offset0:2 offset1:3
	s_waitcnt lgkmcnt(0)
	s_barrier
	buffer_gl0_inv
	ds_store_b32 v0, v44
	ds_store_b32 v1, v43
	ds_store_b32 v2, v42
	ds_store_b32 v3, v40
	ds_store_b32 v4, v39
	ds_store_b32 v5, v38
	ds_store_b32 v6, v37
	ds_store_b32 v7, v36
	s_waitcnt lgkmcnt(0)
	s_barrier
	buffer_gl0_inv
	ds_load_2addr_b64 v[4:7], v29 offset1:1
	ds_load_2addr_b64 v[0:3], v29 offset0:2 offset1:3
	s_add_i32 s11, s11, 1
	s_delay_alu instid0(SALU_CYCLE_1)
	s_cmp_eq_u32 s11, 10
	v_xor_b32_e32 v15, 0x80000000, v15
	v_xor_b32_e32 v16, 0x80000000, v16
	;; [unrolled: 1-line block ×8, first 2 shown]
	s_cbranch_scc1 .LBB47_28
.LBB47_2:                               ; =>This Loop Header: Depth=1
                                        ;     Child Loop BB47_4 Depth 2
	v_xor_b32_e32 v15, 0x80000000, v15
	v_xor_b32_e32 v16, 0x80000000, v16
	;; [unrolled: 1-line block ×8, first 2 shown]
	ds_store_2addr_b64 v26, v[15:16], v[17:18] offset1:1
	ds_store_2addr_b64 v26, v[19:20], v[31:32] offset0:2 offset1:3
	; wave barrier
	ds_load_2addr_b32 v[13:14], v27 offset1:32
	ds_load_2addr_b32 v[15:16], v27 offset0:64 offset1:96
	ds_load_2addr_b32 v[17:18], v27 offset0:128 offset1:160
	;; [unrolled: 1-line block ×3, first 2 shown]
	; wave barrier
	s_waitcnt lgkmcnt(7)
	ds_store_2addr_b64 v26, v[4:5], v[6:7] offset1:1
	s_waitcnt lgkmcnt(7)
	ds_store_2addr_b64 v26, v[0:1], v[2:3] offset0:2 offset1:3
	; wave barrier
	ds_load_2addr_b32 v[0:1], v27 offset1:32
	ds_load_2addr_b32 v[2:3], v27 offset0:64 offset1:96
	ds_load_2addr_b32 v[4:5], v27 offset0:128 offset1:160
	;; [unrolled: 1-line block ×3, first 2 shown]
	s_mov_b32 s14, 0
	s_waitcnt lgkmcnt(0)
	s_barrier
	s_branch .LBB47_4
.LBB47_3:                               ;   in Loop: Header=BB47_4 Depth=2
	v_lshlrev_b32_e32 v0, 2, v59
	v_lshlrev_b32_e32 v3, 2, v52
	;; [unrolled: 1-line block ×8, first 2 shown]
	s_barrier
	buffer_gl0_inv
	ds_store_b32 v0, v33
	ds_store_b32 v1, v46
	;; [unrolled: 1-line block ×8, first 2 shown]
	s_waitcnt lgkmcnt(0)
	s_barrier
	buffer_gl0_inv
	ds_load_2addr_b32 v[13:14], v27 offset1:32
	ds_load_2addr_b32 v[15:16], v27 offset0:64 offset1:96
	ds_load_2addr_b32 v[17:18], v27 offset0:128 offset1:160
	ds_load_2addr_b32 v[19:20], v27 offset0:192 offset1:224
	s_waitcnt lgkmcnt(0)
	s_barrier
	buffer_gl0_inv
	ds_store_b32 v0, v44
	ds_store_b32 v1, v43
	ds_store_b32 v2, v42
	ds_store_b32 v3, v40
	ds_store_b32 v4, v39
	ds_store_b32 v5, v38
	ds_store_b32 v6, v37
	ds_store_b32 v7, v36
	s_waitcnt lgkmcnt(0)
	s_barrier
	buffer_gl0_inv
	ds_load_2addr_b32 v[0:1], v27 offset1:32
	ds_load_2addr_b32 v[2:3], v27 offset0:64 offset1:96
	ds_load_2addr_b32 v[4:5], v27 offset0:128 offset1:160
	;; [unrolled: 1-line block ×3, first 2 shown]
	s_add_i32 s14, s14, 8
	s_waitcnt lgkmcnt(0)
	s_barrier
	s_cbranch_execz .LBB47_1
.LBB47_4:                               ;   Parent Loop BB47_2 Depth=1
                                        ; =>  This Inner Loop Header: Depth=2
	v_dual_mov_b32 v33, v13 :: v_dual_mov_b32 v32, v19
	v_dual_mov_b32 v31, v20 :: v_dual_mov_b32 v34, v18
	buffer_gl0_inv
	v_bfe_u32 v13, v33, s14, 1
	v_lshrrev_b32_e32 v18, s14, v33
	v_mov_b32_e32 v35, v17
	ds_store_2addr_b64 v21, v[9:10], v[11:12] offset0:8 offset1:9
	ds_store_2addr_b64 v22, v[9:10], v[11:12] offset0:2 offset1:3
	s_waitcnt lgkmcnt(0)
	v_add_co_u32 v13, s10, v13, -1
	v_lshlrev_b32_e32 v20, 29, v18
	v_cndmask_b32_e64 v17, 0, 1, s10
	v_dual_mov_b32 v46, v14 :: v_dual_lshlrev_b32 v19, 30, v18
	v_dual_mov_b32 v41, v16 :: v_dual_lshlrev_b32 v36, 28, v18
	s_delay_alu instid0(VALU_DEP_3) | instskip(NEXT) | instid1(VALU_DEP_3)
	v_cmp_ne_u32_e32 vcc_lo, 0, v17
	v_not_b32_e32 v17, v19
	v_cmp_gt_i32_e64 s10, 0, v19
	v_not_b32_e32 v19, v20
	v_lshlrev_b32_e32 v37, 27, v18
	v_xor_b32_e32 v13, vcc_lo, v13
	v_ashrrev_i32_e32 v17, 31, v17
	v_cmp_gt_i32_e32 vcc_lo, 0, v20
	v_not_b32_e32 v20, v36
	v_ashrrev_i32_e32 v19, 31, v19
	v_and_b32_e32 v13, exec_lo, v13
	v_xor_b32_e32 v17, s10, v17
	v_dual_mov_b32 v45, v15 :: v_dual_lshlrev_b32 v38, 26, v18
	v_cmp_gt_i32_e64 s10, 0, v36
	v_not_b32_e32 v36, v37
	v_ashrrev_i32_e32 v20, 31, v20
	v_xor_b32_e32 v19, vcc_lo, v19
	v_dual_mov_b32 v40, v3 :: v_dual_and_b32 v13, v13, v17
	v_cmp_gt_i32_e32 vcc_lo, 0, v37
	v_not_b32_e32 v17, v38
	v_ashrrev_i32_e32 v36, 31, v36
	v_xor_b32_e32 v20, s10, v20
	v_dual_mov_b32 v42, v2 :: v_dual_and_b32 v13, v13, v19
	v_dual_mov_b32 v44, v0 :: v_dual_lshlrev_b32 v19, 25, v18
	v_cmp_gt_i32_e64 s10, 0, v38
	v_ashrrev_i32_e32 v17, 31, v17
	v_xor_b32_e32 v36, vcc_lo, v36
	v_and_b32_e32 v13, v13, v20
	v_not_b32_e32 v20, v19
	v_dual_mov_b32 v37, v6 :: v_dual_lshlrev_b32 v18, 24, v18
	v_cmp_gt_i32_e32 vcc_lo, 0, v19
	v_xor_b32_e32 v17, s10, v17
	v_and_b32_e32 v13, v13, v36
	v_ashrrev_i32_e32 v19, 31, v20
	v_not_b32_e32 v16, v18
	v_dual_mov_b32 v36, v7 :: v_dual_mov_b32 v39, v4
	s_delay_alu instid0(VALU_DEP_4) | instskip(NEXT) | instid1(VALU_DEP_4)
	v_and_b32_e32 v13, v13, v17
	v_xor_b32_e32 v15, vcc_lo, v19
	v_cmp_gt_i32_e32 vcc_lo, 0, v18
	v_ashrrev_i32_e32 v16, 31, v16
	v_bfe_u32 v0, v33, s14, 8
	v_mov_b32_e32 v43, v1
	v_and_b32_e32 v6, v13, v15
	v_mov_b32_e32 v38, v5
	v_xor_b32_e32 v7, vcc_lo, v16
	v_lshl_add_u32 v0, v0, 4, v30
	s_barrier
	buffer_gl0_inv
	v_and_b32_e32 v2, v6, v7
	v_lshl_add_u32 v14, v0, 2, 64
	; wave barrier
	s_delay_alu instid0(VALU_DEP_2) | instskip(SKIP_1) | instid1(VALU_DEP_2)
	v_mbcnt_lo_u32_b32 v13, v2, 0
	v_cmp_ne_u32_e64 s10, 0, v2
	v_cmp_eq_u32_e32 vcc_lo, 0, v13
	s_delay_alu instid0(VALU_DEP_2) | instskip(NEXT) | instid1(SALU_CYCLE_1)
	s_and_b32 s15, s10, vcc_lo
	s_and_saveexec_b32 s10, s15
	s_cbranch_execz .LBB47_6
; %bb.5:                                ;   in Loop: Header=BB47_4 Depth=2
	v_bcnt_u32_b32 v0, v2, 0
	ds_store_b32 v14, v0
.LBB47_6:                               ;   in Loop: Header=BB47_4 Depth=2
	s_or_b32 exec_lo, exec_lo, s10
	v_bfe_u32 v0, v46, s14, 1
	v_lshrrev_b32_e32 v1, s14, v46
	; wave barrier
	s_delay_alu instid0(VALU_DEP_2) | instskip(NEXT) | instid1(VALU_DEP_1)
	v_add_co_u32 v0, s10, v0, -1
	v_cndmask_b32_e64 v2, 0, 1, s10
	s_delay_alu instid0(VALU_DEP_3)
	v_lshlrev_b32_e32 v3, 30, v1
	v_lshlrev_b32_e32 v4, 29, v1
	;; [unrolled: 1-line block ×4, first 2 shown]
	v_cmp_ne_u32_e32 vcc_lo, 0, v2
	v_not_b32_e32 v2, v3
	v_cmp_gt_i32_e64 s10, 0, v3
	v_not_b32_e32 v3, v4
	v_lshlrev_b32_e32 v7, 26, v1
	v_xor_b32_e32 v0, vcc_lo, v0
	v_ashrrev_i32_e32 v2, 31, v2
	v_cmp_gt_i32_e32 vcc_lo, 0, v4
	v_not_b32_e32 v4, v5
	v_ashrrev_i32_e32 v3, 31, v3
	v_and_b32_e32 v0, exec_lo, v0
	v_xor_b32_e32 v2, s10, v2
	v_cmp_gt_i32_e64 s10, 0, v5
	v_not_b32_e32 v5, v6
	v_ashrrev_i32_e32 v4, 31, v4
	v_xor_b32_e32 v3, vcc_lo, v3
	v_and_b32_e32 v0, v0, v2
	v_cmp_gt_i32_e32 vcc_lo, 0, v6
	v_not_b32_e32 v2, v7
	v_ashrrev_i32_e32 v5, 31, v5
	v_xor_b32_e32 v4, s10, v4
	v_and_b32_e32 v0, v0, v3
	v_lshlrev_b32_e32 v3, 25, v1
	v_cmp_gt_i32_e64 s10, 0, v7
	v_ashrrev_i32_e32 v2, 31, v2
	v_xor_b32_e32 v5, vcc_lo, v5
	v_and_b32_e32 v0, v0, v4
	v_not_b32_e32 v6, v3
	v_lshlrev_b32_e32 v1, 24, v1
	v_bfe_u32 v4, v46, s14, 8
	v_xor_b32_e32 v2, s10, v2
	v_and_b32_e32 v0, v0, v5
	v_cmp_gt_i32_e32 vcc_lo, 0, v3
	v_ashrrev_i32_e32 v3, 31, v6
	v_not_b32_e32 v5, v1
	v_lshlrev_b32_e32 v4, 4, v4
	v_and_b32_e32 v0, v0, v2
	s_delay_alu instid0(VALU_DEP_4) | instskip(SKIP_3) | instid1(VALU_DEP_4)
	v_xor_b32_e32 v2, vcc_lo, v3
	v_cmp_gt_i32_e32 vcc_lo, 0, v1
	v_ashrrev_i32_e32 v1, 31, v5
	v_add_lshl_u32 v3, v4, v30, 2
	v_and_b32_e32 v0, v0, v2
	s_delay_alu instid0(VALU_DEP_3) | instskip(SKIP_3) | instid1(VALU_DEP_1)
	v_xor_b32_e32 v1, vcc_lo, v1
	ds_load_b32 v15, v3 offset:64
	v_add_nc_u32_e32 v17, 64, v3
	; wave barrier
	v_and_b32_e32 v0, v0, v1
	v_mbcnt_lo_u32_b32 v16, v0, 0
	v_cmp_ne_u32_e64 s10, 0, v0
	s_delay_alu instid0(VALU_DEP_2) | instskip(NEXT) | instid1(VALU_DEP_2)
	v_cmp_eq_u32_e32 vcc_lo, 0, v16
	s_and_b32 s15, s10, vcc_lo
	s_delay_alu instid0(SALU_CYCLE_1)
	s_and_saveexec_b32 s10, s15
	s_cbranch_execz .LBB47_8
; %bb.7:                                ;   in Loop: Header=BB47_4 Depth=2
	s_waitcnt lgkmcnt(0)
	v_bcnt_u32_b32 v0, v0, v15
	ds_store_b32 v17, v0
.LBB47_8:                               ;   in Loop: Header=BB47_4 Depth=2
	s_or_b32 exec_lo, exec_lo, s10
	v_bfe_u32 v0, v45, s14, 1
	v_lshrrev_b32_e32 v1, s14, v45
	; wave barrier
	s_delay_alu instid0(VALU_DEP_2) | instskip(NEXT) | instid1(VALU_DEP_1)
	v_add_co_u32 v0, s10, v0, -1
	v_cndmask_b32_e64 v2, 0, 1, s10
	s_delay_alu instid0(VALU_DEP_3)
	v_lshlrev_b32_e32 v3, 30, v1
	v_lshlrev_b32_e32 v4, 29, v1
	;; [unrolled: 1-line block ×4, first 2 shown]
	v_cmp_ne_u32_e32 vcc_lo, 0, v2
	v_not_b32_e32 v2, v3
	v_cmp_gt_i32_e64 s10, 0, v3
	v_not_b32_e32 v3, v4
	v_lshlrev_b32_e32 v7, 26, v1
	v_xor_b32_e32 v0, vcc_lo, v0
	v_ashrrev_i32_e32 v2, 31, v2
	v_cmp_gt_i32_e32 vcc_lo, 0, v4
	v_not_b32_e32 v4, v5
	v_ashrrev_i32_e32 v3, 31, v3
	v_and_b32_e32 v0, exec_lo, v0
	v_xor_b32_e32 v2, s10, v2
	v_cmp_gt_i32_e64 s10, 0, v5
	v_not_b32_e32 v5, v6
	v_ashrrev_i32_e32 v4, 31, v4
	v_xor_b32_e32 v3, vcc_lo, v3
	v_and_b32_e32 v0, v0, v2
	v_cmp_gt_i32_e32 vcc_lo, 0, v6
	v_not_b32_e32 v2, v7
	v_ashrrev_i32_e32 v5, 31, v5
	v_xor_b32_e32 v4, s10, v4
	v_and_b32_e32 v0, v0, v3
	v_lshlrev_b32_e32 v3, 25, v1
	v_cmp_gt_i32_e64 s10, 0, v7
	v_ashrrev_i32_e32 v2, 31, v2
	v_xor_b32_e32 v5, vcc_lo, v5
	v_and_b32_e32 v0, v0, v4
	v_not_b32_e32 v6, v3
	v_lshlrev_b32_e32 v1, 24, v1
	v_bfe_u32 v4, v45, s14, 8
	v_xor_b32_e32 v2, s10, v2
	v_and_b32_e32 v0, v0, v5
	v_cmp_gt_i32_e32 vcc_lo, 0, v3
	v_ashrrev_i32_e32 v3, 31, v6
	v_not_b32_e32 v5, v1
	v_lshlrev_b32_e32 v4, 4, v4
	v_and_b32_e32 v0, v0, v2
	s_delay_alu instid0(VALU_DEP_4) | instskip(SKIP_3) | instid1(VALU_DEP_4)
	v_xor_b32_e32 v2, vcc_lo, v3
	v_cmp_gt_i32_e32 vcc_lo, 0, v1
	v_ashrrev_i32_e32 v1, 31, v5
	v_add_lshl_u32 v3, v4, v30, 2
	v_and_b32_e32 v0, v0, v2
	s_delay_alu instid0(VALU_DEP_3) | instskip(SKIP_3) | instid1(VALU_DEP_1)
	v_xor_b32_e32 v1, vcc_lo, v1
	ds_load_b32 v18, v3 offset:64
	v_add_nc_u32_e32 v20, 64, v3
	; wave barrier
	v_and_b32_e32 v0, v0, v1
	v_mbcnt_lo_u32_b32 v19, v0, 0
	v_cmp_ne_u32_e64 s10, 0, v0
	s_delay_alu instid0(VALU_DEP_2) | instskip(NEXT) | instid1(VALU_DEP_2)
	v_cmp_eq_u32_e32 vcc_lo, 0, v19
	s_and_b32 s15, s10, vcc_lo
	s_delay_alu instid0(SALU_CYCLE_1)
	s_and_saveexec_b32 s10, s15
	s_cbranch_execz .LBB47_10
; %bb.9:                                ;   in Loop: Header=BB47_4 Depth=2
	s_waitcnt lgkmcnt(0)
	v_bcnt_u32_b32 v0, v0, v18
	ds_store_b32 v20, v0
.LBB47_10:                              ;   in Loop: Header=BB47_4 Depth=2
	s_or_b32 exec_lo, exec_lo, s10
	v_bfe_u32 v0, v41, s14, 1
	v_lshrrev_b32_e32 v1, s14, v41
	; wave barrier
	s_delay_alu instid0(VALU_DEP_2) | instskip(NEXT) | instid1(VALU_DEP_1)
	v_add_co_u32 v0, s10, v0, -1
	v_cndmask_b32_e64 v2, 0, 1, s10
	s_delay_alu instid0(VALU_DEP_3)
	v_lshlrev_b32_e32 v3, 30, v1
	v_lshlrev_b32_e32 v4, 29, v1
	;; [unrolled: 1-line block ×4, first 2 shown]
	v_cmp_ne_u32_e32 vcc_lo, 0, v2
	v_not_b32_e32 v2, v3
	v_cmp_gt_i32_e64 s10, 0, v3
	v_not_b32_e32 v3, v4
	v_lshlrev_b32_e32 v7, 26, v1
	v_xor_b32_e32 v0, vcc_lo, v0
	v_ashrrev_i32_e32 v2, 31, v2
	v_cmp_gt_i32_e32 vcc_lo, 0, v4
	v_not_b32_e32 v4, v5
	v_ashrrev_i32_e32 v3, 31, v3
	v_and_b32_e32 v0, exec_lo, v0
	v_xor_b32_e32 v2, s10, v2
	v_cmp_gt_i32_e64 s10, 0, v5
	v_not_b32_e32 v5, v6
	v_ashrrev_i32_e32 v4, 31, v4
	v_xor_b32_e32 v3, vcc_lo, v3
	v_and_b32_e32 v0, v0, v2
	v_cmp_gt_i32_e32 vcc_lo, 0, v6
	v_not_b32_e32 v2, v7
	v_ashrrev_i32_e32 v5, 31, v5
	v_xor_b32_e32 v4, s10, v4
	v_and_b32_e32 v0, v0, v3
	v_lshlrev_b32_e32 v3, 25, v1
	v_cmp_gt_i32_e64 s10, 0, v7
	v_ashrrev_i32_e32 v2, 31, v2
	v_xor_b32_e32 v5, vcc_lo, v5
	v_and_b32_e32 v0, v0, v4
	v_not_b32_e32 v6, v3
	v_lshlrev_b32_e32 v1, 24, v1
	v_bfe_u32 v4, v41, s14, 8
	v_xor_b32_e32 v2, s10, v2
	v_and_b32_e32 v0, v0, v5
	v_cmp_gt_i32_e32 vcc_lo, 0, v3
	v_ashrrev_i32_e32 v3, 31, v6
	v_not_b32_e32 v5, v1
	v_lshlrev_b32_e32 v4, 4, v4
	v_and_b32_e32 v0, v0, v2
	s_delay_alu instid0(VALU_DEP_4) | instskip(SKIP_3) | instid1(VALU_DEP_4)
	v_xor_b32_e32 v2, vcc_lo, v3
	v_cmp_gt_i32_e32 vcc_lo, 0, v1
	v_ashrrev_i32_e32 v1, 31, v5
	v_add_lshl_u32 v3, v4, v30, 2
	v_and_b32_e32 v0, v0, v2
	s_delay_alu instid0(VALU_DEP_3) | instskip(SKIP_3) | instid1(VALU_DEP_1)
	v_xor_b32_e32 v1, vcc_lo, v1
	ds_load_b32 v47, v3 offset:64
	v_add_nc_u32_e32 v49, 64, v3
	; wave barrier
	v_and_b32_e32 v0, v0, v1
	v_mbcnt_lo_u32_b32 v48, v0, 0
	v_cmp_ne_u32_e64 s10, 0, v0
	s_delay_alu instid0(VALU_DEP_2) | instskip(NEXT) | instid1(VALU_DEP_2)
	v_cmp_eq_u32_e32 vcc_lo, 0, v48
	s_and_b32 s15, s10, vcc_lo
	s_delay_alu instid0(SALU_CYCLE_1)
	s_and_saveexec_b32 s10, s15
	s_cbranch_execz .LBB47_12
; %bb.11:                               ;   in Loop: Header=BB47_4 Depth=2
	s_waitcnt lgkmcnt(0)
	v_bcnt_u32_b32 v0, v0, v47
	ds_store_b32 v49, v0
.LBB47_12:                              ;   in Loop: Header=BB47_4 Depth=2
	s_or_b32 exec_lo, exec_lo, s10
	v_bfe_u32 v0, v35, s14, 1
	v_lshrrev_b32_e32 v1, s14, v35
	; wave barrier
	s_delay_alu instid0(VALU_DEP_2) | instskip(NEXT) | instid1(VALU_DEP_1)
	v_add_co_u32 v0, s10, v0, -1
	v_cndmask_b32_e64 v2, 0, 1, s10
	s_delay_alu instid0(VALU_DEP_3)
	v_lshlrev_b32_e32 v3, 30, v1
	v_lshlrev_b32_e32 v4, 29, v1
	;; [unrolled: 1-line block ×4, first 2 shown]
	v_cmp_ne_u32_e32 vcc_lo, 0, v2
	v_not_b32_e32 v2, v3
	v_cmp_gt_i32_e64 s10, 0, v3
	v_not_b32_e32 v3, v4
	v_lshlrev_b32_e32 v7, 26, v1
	v_xor_b32_e32 v0, vcc_lo, v0
	v_ashrrev_i32_e32 v2, 31, v2
	v_cmp_gt_i32_e32 vcc_lo, 0, v4
	v_not_b32_e32 v4, v5
	v_ashrrev_i32_e32 v3, 31, v3
	v_and_b32_e32 v0, exec_lo, v0
	v_xor_b32_e32 v2, s10, v2
	v_cmp_gt_i32_e64 s10, 0, v5
	v_not_b32_e32 v5, v6
	v_ashrrev_i32_e32 v4, 31, v4
	v_xor_b32_e32 v3, vcc_lo, v3
	v_and_b32_e32 v0, v0, v2
	v_cmp_gt_i32_e32 vcc_lo, 0, v6
	v_not_b32_e32 v2, v7
	v_ashrrev_i32_e32 v5, 31, v5
	v_xor_b32_e32 v4, s10, v4
	v_and_b32_e32 v0, v0, v3
	v_lshlrev_b32_e32 v3, 25, v1
	v_cmp_gt_i32_e64 s10, 0, v7
	v_ashrrev_i32_e32 v2, 31, v2
	v_xor_b32_e32 v5, vcc_lo, v5
	v_and_b32_e32 v0, v0, v4
	v_not_b32_e32 v6, v3
	v_lshlrev_b32_e32 v1, 24, v1
	v_bfe_u32 v4, v35, s14, 8
	v_xor_b32_e32 v2, s10, v2
	v_and_b32_e32 v0, v0, v5
	v_cmp_gt_i32_e32 vcc_lo, 0, v3
	v_ashrrev_i32_e32 v3, 31, v6
	v_not_b32_e32 v5, v1
	v_lshlrev_b32_e32 v4, 4, v4
	v_and_b32_e32 v0, v0, v2
	s_delay_alu instid0(VALU_DEP_4) | instskip(SKIP_3) | instid1(VALU_DEP_4)
	v_xor_b32_e32 v2, vcc_lo, v3
	v_cmp_gt_i32_e32 vcc_lo, 0, v1
	v_ashrrev_i32_e32 v1, 31, v5
	v_add_lshl_u32 v3, v4, v30, 2
	v_and_b32_e32 v0, v0, v2
	s_delay_alu instid0(VALU_DEP_3) | instskip(SKIP_3) | instid1(VALU_DEP_1)
	v_xor_b32_e32 v1, vcc_lo, v1
	ds_load_b32 v50, v3 offset:64
	v_add_nc_u32_e32 v52, 64, v3
	; wave barrier
	v_and_b32_e32 v0, v0, v1
	v_mbcnt_lo_u32_b32 v51, v0, 0
	v_cmp_ne_u32_e64 s10, 0, v0
	s_delay_alu instid0(VALU_DEP_2) | instskip(NEXT) | instid1(VALU_DEP_2)
	v_cmp_eq_u32_e32 vcc_lo, 0, v51
	s_and_b32 s15, s10, vcc_lo
	s_delay_alu instid0(SALU_CYCLE_1)
	s_and_saveexec_b32 s10, s15
	s_cbranch_execz .LBB47_14
; %bb.13:                               ;   in Loop: Header=BB47_4 Depth=2
	s_waitcnt lgkmcnt(0)
	v_bcnt_u32_b32 v0, v0, v50
	ds_store_b32 v52, v0
.LBB47_14:                              ;   in Loop: Header=BB47_4 Depth=2
	s_or_b32 exec_lo, exec_lo, s10
	v_bfe_u32 v0, v34, s14, 1
	v_lshrrev_b32_e32 v1, s14, v34
	; wave barrier
	s_delay_alu instid0(VALU_DEP_2) | instskip(NEXT) | instid1(VALU_DEP_1)
	v_add_co_u32 v0, s10, v0, -1
	v_cndmask_b32_e64 v2, 0, 1, s10
	s_delay_alu instid0(VALU_DEP_3)
	v_lshlrev_b32_e32 v3, 30, v1
	v_lshlrev_b32_e32 v4, 29, v1
	;; [unrolled: 1-line block ×4, first 2 shown]
	v_cmp_ne_u32_e32 vcc_lo, 0, v2
	v_not_b32_e32 v2, v3
	v_cmp_gt_i32_e64 s10, 0, v3
	v_not_b32_e32 v3, v4
	v_lshlrev_b32_e32 v7, 26, v1
	v_xor_b32_e32 v0, vcc_lo, v0
	v_ashrrev_i32_e32 v2, 31, v2
	v_cmp_gt_i32_e32 vcc_lo, 0, v4
	v_not_b32_e32 v4, v5
	v_ashrrev_i32_e32 v3, 31, v3
	v_and_b32_e32 v0, exec_lo, v0
	v_xor_b32_e32 v2, s10, v2
	v_cmp_gt_i32_e64 s10, 0, v5
	v_not_b32_e32 v5, v6
	v_ashrrev_i32_e32 v4, 31, v4
	v_xor_b32_e32 v3, vcc_lo, v3
	v_and_b32_e32 v0, v0, v2
	v_cmp_gt_i32_e32 vcc_lo, 0, v6
	v_not_b32_e32 v2, v7
	v_ashrrev_i32_e32 v5, 31, v5
	v_xor_b32_e32 v4, s10, v4
	v_and_b32_e32 v0, v0, v3
	v_lshlrev_b32_e32 v3, 25, v1
	v_cmp_gt_i32_e64 s10, 0, v7
	v_ashrrev_i32_e32 v2, 31, v2
	v_xor_b32_e32 v5, vcc_lo, v5
	v_and_b32_e32 v0, v0, v4
	v_not_b32_e32 v6, v3
	v_lshlrev_b32_e32 v1, 24, v1
	v_bfe_u32 v4, v34, s14, 8
	v_xor_b32_e32 v2, s10, v2
	v_and_b32_e32 v0, v0, v5
	v_cmp_gt_i32_e32 vcc_lo, 0, v3
	v_ashrrev_i32_e32 v3, 31, v6
	v_not_b32_e32 v5, v1
	v_lshlrev_b32_e32 v4, 4, v4
	v_and_b32_e32 v0, v0, v2
	s_delay_alu instid0(VALU_DEP_4) | instskip(SKIP_3) | instid1(VALU_DEP_4)
	v_xor_b32_e32 v2, vcc_lo, v3
	v_cmp_gt_i32_e32 vcc_lo, 0, v1
	v_ashrrev_i32_e32 v1, 31, v5
	v_add_lshl_u32 v3, v4, v30, 2
	v_and_b32_e32 v0, v0, v2
	s_delay_alu instid0(VALU_DEP_3) | instskip(SKIP_3) | instid1(VALU_DEP_1)
	v_xor_b32_e32 v1, vcc_lo, v1
	ds_load_b32 v53, v3 offset:64
	v_add_nc_u32_e32 v55, 64, v3
	; wave barrier
	v_and_b32_e32 v0, v0, v1
	v_mbcnt_lo_u32_b32 v54, v0, 0
	v_cmp_ne_u32_e64 s10, 0, v0
	s_delay_alu instid0(VALU_DEP_2) | instskip(NEXT) | instid1(VALU_DEP_2)
	v_cmp_eq_u32_e32 vcc_lo, 0, v54
	s_and_b32 s15, s10, vcc_lo
	s_delay_alu instid0(SALU_CYCLE_1)
	s_and_saveexec_b32 s10, s15
	s_cbranch_execz .LBB47_16
; %bb.15:                               ;   in Loop: Header=BB47_4 Depth=2
	s_waitcnt lgkmcnt(0)
	v_bcnt_u32_b32 v0, v0, v53
	ds_store_b32 v55, v0
.LBB47_16:                              ;   in Loop: Header=BB47_4 Depth=2
	s_or_b32 exec_lo, exec_lo, s10
	v_bfe_u32 v0, v32, s14, 1
	v_lshrrev_b32_e32 v1, s14, v32
	; wave barrier
	s_delay_alu instid0(VALU_DEP_2) | instskip(NEXT) | instid1(VALU_DEP_1)
	v_add_co_u32 v0, s10, v0, -1
	v_cndmask_b32_e64 v2, 0, 1, s10
	s_delay_alu instid0(VALU_DEP_3)
	v_lshlrev_b32_e32 v3, 30, v1
	v_lshlrev_b32_e32 v4, 29, v1
	;; [unrolled: 1-line block ×4, first 2 shown]
	v_cmp_ne_u32_e32 vcc_lo, 0, v2
	v_not_b32_e32 v2, v3
	v_cmp_gt_i32_e64 s10, 0, v3
	v_not_b32_e32 v3, v4
	v_lshlrev_b32_e32 v7, 26, v1
	v_xor_b32_e32 v0, vcc_lo, v0
	v_ashrrev_i32_e32 v2, 31, v2
	v_cmp_gt_i32_e32 vcc_lo, 0, v4
	v_not_b32_e32 v4, v5
	v_ashrrev_i32_e32 v3, 31, v3
	v_and_b32_e32 v0, exec_lo, v0
	v_xor_b32_e32 v2, s10, v2
	v_cmp_gt_i32_e64 s10, 0, v5
	v_not_b32_e32 v5, v6
	v_ashrrev_i32_e32 v4, 31, v4
	v_xor_b32_e32 v3, vcc_lo, v3
	v_and_b32_e32 v0, v0, v2
	v_cmp_gt_i32_e32 vcc_lo, 0, v6
	v_not_b32_e32 v2, v7
	v_ashrrev_i32_e32 v5, 31, v5
	v_xor_b32_e32 v4, s10, v4
	v_and_b32_e32 v0, v0, v3
	v_lshlrev_b32_e32 v3, 25, v1
	v_cmp_gt_i32_e64 s10, 0, v7
	v_ashrrev_i32_e32 v2, 31, v2
	v_xor_b32_e32 v5, vcc_lo, v5
	v_and_b32_e32 v0, v0, v4
	v_not_b32_e32 v6, v3
	v_lshlrev_b32_e32 v1, 24, v1
	v_bfe_u32 v4, v32, s14, 8
	v_xor_b32_e32 v2, s10, v2
	v_and_b32_e32 v0, v0, v5
	v_cmp_gt_i32_e32 vcc_lo, 0, v3
	v_ashrrev_i32_e32 v3, 31, v6
	v_not_b32_e32 v5, v1
	v_lshlrev_b32_e32 v4, 4, v4
	v_and_b32_e32 v0, v0, v2
	s_delay_alu instid0(VALU_DEP_4) | instskip(SKIP_3) | instid1(VALU_DEP_4)
	v_xor_b32_e32 v2, vcc_lo, v3
	v_cmp_gt_i32_e32 vcc_lo, 0, v1
	v_ashrrev_i32_e32 v1, 31, v5
	v_add_lshl_u32 v3, v4, v30, 2
	v_and_b32_e32 v0, v0, v2
	s_delay_alu instid0(VALU_DEP_3) | instskip(SKIP_3) | instid1(VALU_DEP_1)
	v_xor_b32_e32 v1, vcc_lo, v1
	ds_load_b32 v56, v3 offset:64
	v_add_nc_u32_e32 v58, 64, v3
	; wave barrier
	v_and_b32_e32 v0, v0, v1
	v_mbcnt_lo_u32_b32 v57, v0, 0
	v_cmp_ne_u32_e64 s10, 0, v0
	s_delay_alu instid0(VALU_DEP_2) | instskip(NEXT) | instid1(VALU_DEP_2)
	v_cmp_eq_u32_e32 vcc_lo, 0, v57
	s_and_b32 s15, s10, vcc_lo
	s_delay_alu instid0(SALU_CYCLE_1)
	s_and_saveexec_b32 s10, s15
	s_cbranch_execz .LBB47_18
; %bb.17:                               ;   in Loop: Header=BB47_4 Depth=2
	s_waitcnt lgkmcnt(0)
	v_bcnt_u32_b32 v0, v0, v56
	ds_store_b32 v58, v0
.LBB47_18:                              ;   in Loop: Header=BB47_4 Depth=2
	s_or_b32 exec_lo, exec_lo, s10
	v_bfe_u32 v0, v31, s14, 1
	v_lshrrev_b32_e32 v1, s14, v31
	; wave barrier
	s_delay_alu instid0(VALU_DEP_2) | instskip(NEXT) | instid1(VALU_DEP_1)
	v_add_co_u32 v0, s10, v0, -1
	v_cndmask_b32_e64 v2, 0, 1, s10
	s_delay_alu instid0(VALU_DEP_3)
	v_lshlrev_b32_e32 v3, 30, v1
	v_lshlrev_b32_e32 v4, 29, v1
	;; [unrolled: 1-line block ×4, first 2 shown]
	v_cmp_ne_u32_e32 vcc_lo, 0, v2
	v_not_b32_e32 v2, v3
	v_cmp_gt_i32_e64 s10, 0, v3
	v_not_b32_e32 v3, v4
	v_lshlrev_b32_e32 v7, 26, v1
	v_xor_b32_e32 v0, vcc_lo, v0
	v_ashrrev_i32_e32 v2, 31, v2
	v_cmp_gt_i32_e32 vcc_lo, 0, v4
	v_not_b32_e32 v4, v5
	v_ashrrev_i32_e32 v3, 31, v3
	v_and_b32_e32 v0, exec_lo, v0
	v_xor_b32_e32 v2, s10, v2
	v_cmp_gt_i32_e64 s10, 0, v5
	v_not_b32_e32 v5, v6
	v_ashrrev_i32_e32 v4, 31, v4
	v_xor_b32_e32 v3, vcc_lo, v3
	v_and_b32_e32 v0, v0, v2
	v_cmp_gt_i32_e32 vcc_lo, 0, v6
	v_not_b32_e32 v2, v7
	v_ashrrev_i32_e32 v5, 31, v5
	v_xor_b32_e32 v4, s10, v4
	v_and_b32_e32 v0, v0, v3
	v_lshlrev_b32_e32 v3, 25, v1
	v_cmp_gt_i32_e64 s10, 0, v7
	v_ashrrev_i32_e32 v2, 31, v2
	v_xor_b32_e32 v5, vcc_lo, v5
	v_and_b32_e32 v0, v0, v4
	v_not_b32_e32 v6, v3
	v_lshlrev_b32_e32 v1, 24, v1
	v_bfe_u32 v4, v31, s14, 8
	v_xor_b32_e32 v2, s10, v2
	v_and_b32_e32 v0, v0, v5
	v_cmp_gt_i32_e32 vcc_lo, 0, v3
	v_ashrrev_i32_e32 v3, 31, v6
	v_not_b32_e32 v5, v1
	v_lshlrev_b32_e32 v4, 4, v4
	v_and_b32_e32 v0, v0, v2
	s_delay_alu instid0(VALU_DEP_4) | instskip(SKIP_3) | instid1(VALU_DEP_4)
	v_xor_b32_e32 v2, vcc_lo, v3
	v_cmp_gt_i32_e32 vcc_lo, 0, v1
	v_ashrrev_i32_e32 v1, 31, v5
	v_add_lshl_u32 v3, v4, v30, 2
	v_and_b32_e32 v0, v0, v2
	s_delay_alu instid0(VALU_DEP_3) | instskip(SKIP_3) | instid1(VALU_DEP_1)
	v_xor_b32_e32 v1, vcc_lo, v1
	ds_load_b32 v60, v3 offset:64
	v_add_nc_u32_e32 v59, 64, v3
	; wave barrier
	v_and_b32_e32 v0, v0, v1
	v_mbcnt_lo_u32_b32 v61, v0, 0
	v_cmp_ne_u32_e64 s10, 0, v0
	s_delay_alu instid0(VALU_DEP_2) | instskip(NEXT) | instid1(VALU_DEP_2)
	v_cmp_eq_u32_e32 vcc_lo, 0, v61
	s_and_b32 s15, s10, vcc_lo
	s_delay_alu instid0(SALU_CYCLE_1)
	s_and_saveexec_b32 s10, s15
	s_cbranch_execz .LBB47_20
; %bb.19:                               ;   in Loop: Header=BB47_4 Depth=2
	s_waitcnt lgkmcnt(0)
	v_bcnt_u32_b32 v0, v0, v60
	ds_store_b32 v59, v0
.LBB47_20:                              ;   in Loop: Header=BB47_4 Depth=2
	s_or_b32 exec_lo, exec_lo, s10
	; wave barrier
	s_waitcnt lgkmcnt(0)
	s_barrier
	buffer_gl0_inv
	ds_load_2addr_b64 v[4:7], v21 offset0:8 offset1:9
	ds_load_2addr_b64 v[0:3], v22 offset0:2 offset1:3
	s_waitcnt lgkmcnt(1)
	v_add_nc_u32_e32 v62, v5, v4
	s_delay_alu instid0(VALU_DEP_1) | instskip(SKIP_1) | instid1(VALU_DEP_1)
	v_add3_u32 v62, v62, v6, v7
	s_waitcnt lgkmcnt(0)
	v_add3_u32 v62, v62, v0, v1
	s_delay_alu instid0(VALU_DEP_1) | instskip(NEXT) | instid1(VALU_DEP_1)
	v_add3_u32 v3, v62, v2, v3
	v_mov_b32_dpp v62, v3 row_shr:1 row_mask:0xf bank_mask:0xf
	s_delay_alu instid0(VALU_DEP_1) | instskip(NEXT) | instid1(VALU_DEP_1)
	v_cndmask_b32_e64 v62, v62, 0, s1
	v_add_nc_u32_e32 v3, v62, v3
	s_delay_alu instid0(VALU_DEP_1) | instskip(NEXT) | instid1(VALU_DEP_1)
	v_mov_b32_dpp v62, v3 row_shr:2 row_mask:0xf bank_mask:0xf
	v_cndmask_b32_e64 v62, 0, v62, s2
	s_delay_alu instid0(VALU_DEP_1) | instskip(NEXT) | instid1(VALU_DEP_1)
	v_add_nc_u32_e32 v3, v3, v62
	v_mov_b32_dpp v62, v3 row_shr:4 row_mask:0xf bank_mask:0xf
	s_delay_alu instid0(VALU_DEP_1) | instskip(NEXT) | instid1(VALU_DEP_1)
	v_cndmask_b32_e64 v62, 0, v62, s3
	v_add_nc_u32_e32 v3, v3, v62
	s_delay_alu instid0(VALU_DEP_1) | instskip(NEXT) | instid1(VALU_DEP_1)
	v_mov_b32_dpp v62, v3 row_shr:8 row_mask:0xf bank_mask:0xf
	v_cndmask_b32_e64 v62, 0, v62, s4
	s_delay_alu instid0(VALU_DEP_1) | instskip(SKIP_3) | instid1(VALU_DEP_1)
	v_add_nc_u32_e32 v3, v3, v62
	ds_swizzle_b32 v62, v3 offset:swizzle(BROADCAST,32,15)
	s_waitcnt lgkmcnt(0)
	v_cndmask_b32_e64 v62, v62, 0, s5
	v_add_nc_u32_e32 v3, v3, v62
	s_and_saveexec_b32 s10, s9
	s_cbranch_execz .LBB47_22
; %bb.21:                               ;   in Loop: Header=BB47_4 Depth=2
	ds_store_b32 v24, v3
.LBB47_22:                              ;   in Loop: Header=BB47_4 Depth=2
	s_or_b32 exec_lo, exec_lo, s10
	s_waitcnt lgkmcnt(0)
	s_barrier
	buffer_gl0_inv
	s_and_saveexec_b32 s10, s6
	s_cbranch_execz .LBB47_24
; %bb.23:                               ;   in Loop: Header=BB47_4 Depth=2
	ds_load_b32 v62, v25
	s_waitcnt lgkmcnt(0)
	v_mov_b32_dpp v63, v62 row_shr:1 row_mask:0xf bank_mask:0xf
	s_delay_alu instid0(VALU_DEP_1) | instskip(NEXT) | instid1(VALU_DEP_1)
	v_cndmask_b32_e64 v63, v63, 0, s1
	v_add_nc_u32_e32 v62, v63, v62
	s_delay_alu instid0(VALU_DEP_1) | instskip(NEXT) | instid1(VALU_DEP_1)
	v_mov_b32_dpp v63, v62 row_shr:2 row_mask:0xf bank_mask:0xf
	v_cndmask_b32_e64 v63, 0, v63, s2
	s_delay_alu instid0(VALU_DEP_1) | instskip(NEXT) | instid1(VALU_DEP_1)
	v_add_nc_u32_e32 v62, v62, v63
	v_mov_b32_dpp v63, v62 row_shr:4 row_mask:0xf bank_mask:0xf
	s_delay_alu instid0(VALU_DEP_1) | instskip(NEXT) | instid1(VALU_DEP_1)
	v_cndmask_b32_e64 v63, 0, v63, s3
	v_add_nc_u32_e32 v62, v62, v63
	s_delay_alu instid0(VALU_DEP_1) | instskip(NEXT) | instid1(VALU_DEP_1)
	v_mov_b32_dpp v63, v62 row_shr:8 row_mask:0xf bank_mask:0xf
	v_cndmask_b32_e64 v63, 0, v63, s4
	s_delay_alu instid0(VALU_DEP_1)
	v_add_nc_u32_e32 v62, v62, v63
	ds_store_b32 v25, v62
.LBB47_24:                              ;   in Loop: Header=BB47_4 Depth=2
	s_or_b32 exec_lo, exec_lo, s10
	v_mov_b32_e32 v62, 0
	s_waitcnt lgkmcnt(0)
	s_barrier
	buffer_gl0_inv
	s_and_saveexec_b32 s10, s7
	s_cbranch_execz .LBB47_26
; %bb.25:                               ;   in Loop: Header=BB47_4 Depth=2
	ds_load_b32 v62, v28
.LBB47_26:                              ;   in Loop: Header=BB47_4 Depth=2
	s_or_b32 exec_lo, exec_lo, s10
	s_waitcnt lgkmcnt(0)
	v_add_nc_u32_e32 v3, v62, v3
	s_cmp_gt_u32 s14, 23
	ds_bpermute_b32 v3, v23, v3
	s_waitcnt lgkmcnt(0)
	v_cndmask_b32_e64 v3, v3, v62, s0
	s_delay_alu instid0(VALU_DEP_1) | instskip(NEXT) | instid1(VALU_DEP_1)
	v_cndmask_b32_e64 v3, v3, 0, s8
	v_add_nc_u32_e32 v4, v3, v4
	s_delay_alu instid0(VALU_DEP_1) | instskip(NEXT) | instid1(VALU_DEP_1)
	v_add_nc_u32_e32 v5, v4, v5
	v_add_nc_u32_e32 v6, v5, v6
	s_delay_alu instid0(VALU_DEP_1) | instskip(NEXT) | instid1(VALU_DEP_1)
	v_add_nc_u32_e32 v62, v6, v7
	;; [unrolled: 3-line block ×3, first 2 shown]
	v_add_nc_u32_e32 v1, v0, v2
	ds_store_2addr_b64 v21, v[3:4], v[5:6] offset0:8 offset1:9
	ds_store_2addr_b64 v22, v[62:63], v[0:1] offset0:2 offset1:3
	s_waitcnt lgkmcnt(0)
	s_barrier
	buffer_gl0_inv
	ds_load_b32 v0, v14
	ds_load_b32 v1, v17
	;; [unrolled: 1-line block ×8, first 2 shown]
	s_waitcnt lgkmcnt(7)
	v_add_nc_u32_e32 v59, v0, v13
	s_waitcnt lgkmcnt(6)
	v_add3_u32 v58, v16, v15, v1
	s_waitcnt lgkmcnt(5)
	v_add3_u32 v55, v19, v18, v2
	;; [unrolled: 2-line block ×7, first 2 shown]
	s_cbranch_scc0 .LBB47_3
; %bb.27:                               ;   in Loop: Header=BB47_2 Depth=1
                                        ; implicit-def: $vgpr20
                                        ; implicit-def: $vgpr18
                                        ; implicit-def: $vgpr16
                                        ; implicit-def: $vgpr14
                                        ; implicit-def: $vgpr7
                                        ; implicit-def: $vgpr5
                                        ; implicit-def: $vgpr3
                                        ; implicit-def: $vgpr1
                                        ; implicit-def: $sgpr14
	s_branch .LBB47_1
.LBB47_28:
	v_lshlrev_b32_e32 v8, 2, v8
	s_add_u32 s0, s18, s12
	s_waitcnt lgkmcnt(1)
	v_add_nc_u32_e32 v12, v18, v7
	s_addc_u32 s1, s19, s13
	v_add_nc_u32_e32 v10, v16, v5
	v_add_co_u32 v7, s2, s0, v8
	s_delay_alu instid0(VALU_DEP_1)
	v_add_co_ci_u32_e64 v16, null, s1, 0, s2
	v_add_nc_u32_e32 v11, v17, v6
	s_waitcnt lgkmcnt(0)
	v_add_nc_u32_e32 v6, v19, v0
	v_add_co_u32 v0, vcc_lo, 0x1000, v7
	v_add_nc_u32_e32 v9, v15, v4
	v_add_nc_u32_e32 v15, v20, v1
	v_add_co_ci_u32_e32 v1, vcc_lo, 0, v16, vcc_lo
	v_add_nc_u32_e32 v14, v14, v2
	v_add_co_u32 v2, vcc_lo, v7, 0x2000
	v_add_nc_u32_e32 v13, v13, v3
	v_add_co_ci_u32_e32 v3, vcc_lo, 0, v16, vcc_lo
	v_add_co_u32 v4, vcc_lo, 0x2000, v7
	v_add_co_ci_u32_e32 v5, vcc_lo, 0, v16, vcc_lo
	global_store_b32 v[2:3], v6, off
	v_add_co_u32 v6, vcc_lo, 0x3000, v7
	v_add_co_ci_u32_e32 v7, vcc_lo, 0, v16, vcc_lo
	s_clause 0x6
	global_store_b32 v8, v9, s[0:1]
	global_store_b32 v8, v10, s[0:1] offset:2048
	global_store_b32 v[0:1], v12, off offset:2048
	global_store_b32 v[4:5], v15, off offset:2048
	global_store_b32 v[6:7], v14, off
	global_store_b32 v[2:3], v11, off offset:-4096
	global_store_b32 v[6:7], v13, off offset:2048
	s_nop 0
	s_sendmsg sendmsg(MSG_DEALLOC_VGPRS)
	s_endpgm
	.section	.rodata,"a",@progbits
	.p2align	6, 0x0
	.amdhsa_kernel _Z17sort_pairs_kernelI22helper_blocked_blockediLj512ELj8ELj10EEvPKT0_PS1_
		.amdhsa_group_segment_fixed_size 16448
		.amdhsa_private_segment_fixed_size 0
		.amdhsa_kernarg_size 272
		.amdhsa_user_sgpr_count 15
		.amdhsa_user_sgpr_dispatch_ptr 0
		.amdhsa_user_sgpr_queue_ptr 0
		.amdhsa_user_sgpr_kernarg_segment_ptr 1
		.amdhsa_user_sgpr_dispatch_id 0
		.amdhsa_user_sgpr_private_segment_size 0
		.amdhsa_wavefront_size32 1
		.amdhsa_uses_dynamic_stack 0
		.amdhsa_enable_private_segment 0
		.amdhsa_system_sgpr_workgroup_id_x 1
		.amdhsa_system_sgpr_workgroup_id_y 0
		.amdhsa_system_sgpr_workgroup_id_z 0
		.amdhsa_system_sgpr_workgroup_info 0
		.amdhsa_system_vgpr_workitem_id 2
		.amdhsa_next_free_vgpr 64
		.amdhsa_next_free_sgpr 20
		.amdhsa_reserve_vcc 1
		.amdhsa_float_round_mode_32 0
		.amdhsa_float_round_mode_16_64 0
		.amdhsa_float_denorm_mode_32 3
		.amdhsa_float_denorm_mode_16_64 3
		.amdhsa_dx10_clamp 1
		.amdhsa_ieee_mode 1
		.amdhsa_fp16_overflow 0
		.amdhsa_workgroup_processor_mode 1
		.amdhsa_memory_ordered 1
		.amdhsa_forward_progress 0
		.amdhsa_shared_vgpr_count 0
		.amdhsa_exception_fp_ieee_invalid_op 0
		.amdhsa_exception_fp_denorm_src 0
		.amdhsa_exception_fp_ieee_div_zero 0
		.amdhsa_exception_fp_ieee_overflow 0
		.amdhsa_exception_fp_ieee_underflow 0
		.amdhsa_exception_fp_ieee_inexact 0
		.amdhsa_exception_int_div_zero 0
	.end_amdhsa_kernel
	.section	.text._Z17sort_pairs_kernelI22helper_blocked_blockediLj512ELj8ELj10EEvPKT0_PS1_,"axG",@progbits,_Z17sort_pairs_kernelI22helper_blocked_blockediLj512ELj8ELj10EEvPKT0_PS1_,comdat
.Lfunc_end47:
	.size	_Z17sort_pairs_kernelI22helper_blocked_blockediLj512ELj8ELj10EEvPKT0_PS1_, .Lfunc_end47-_Z17sort_pairs_kernelI22helper_blocked_blockediLj512ELj8ELj10EEvPKT0_PS1_
                                        ; -- End function
	.section	.AMDGPU.csdata,"",@progbits
; Kernel info:
; codeLenInByte = 5020
; NumSgprs: 22
; NumVgprs: 64
; ScratchSize: 0
; MemoryBound: 0
; FloatMode: 240
; IeeeMode: 1
; LDSByteSize: 16448 bytes/workgroup (compile time only)
; SGPRBlocks: 2
; VGPRBlocks: 7
; NumSGPRsForWavesPerEU: 22
; NumVGPRsForWavesPerEU: 64
; Occupancy: 16
; WaveLimiterHint : 1
; COMPUTE_PGM_RSRC2:SCRATCH_EN: 0
; COMPUTE_PGM_RSRC2:USER_SGPR: 15
; COMPUTE_PGM_RSRC2:TRAP_HANDLER: 0
; COMPUTE_PGM_RSRC2:TGID_X_EN: 1
; COMPUTE_PGM_RSRC2:TGID_Y_EN: 0
; COMPUTE_PGM_RSRC2:TGID_Z_EN: 0
; COMPUTE_PGM_RSRC2:TIDIG_COMP_CNT: 2
	.section	.text._Z16sort_keys_kernelI22helper_blocked_blockedaLj64ELj1ELj10EEvPKT0_PS1_,"axG",@progbits,_Z16sort_keys_kernelI22helper_blocked_blockedaLj64ELj1ELj10EEvPKT0_PS1_,comdat
	.protected	_Z16sort_keys_kernelI22helper_blocked_blockedaLj64ELj1ELj10EEvPKT0_PS1_ ; -- Begin function _Z16sort_keys_kernelI22helper_blocked_blockedaLj64ELj1ELj10EEvPKT0_PS1_
	.globl	_Z16sort_keys_kernelI22helper_blocked_blockedaLj64ELj1ELj10EEvPKT0_PS1_
	.p2align	8
	.type	_Z16sort_keys_kernelI22helper_blocked_blockedaLj64ELj1ELj10EEvPKT0_PS1_,@function
_Z16sort_keys_kernelI22helper_blocked_blockedaLj64ELj1ELj10EEvPKT0_PS1_: ; @_Z16sort_keys_kernelI22helper_blocked_blockedaLj64ELj1ELj10EEvPKT0_PS1_
; %bb.0:
	s_clause 0x1
	s_load_b128 s[16:19], s[0:1], 0x0
	s_load_b32 s8, s[0:1], 0x1c
	s_lshl_b32 s13, s15, 6
	v_and_b32_e32 v8, 0x3ff, v0
	v_mbcnt_lo_u32_b32 v1, -1, 0
	v_bfe_u32 v3, v0, 10, 10
	v_bfe_u32 v0, v0, 20, 10
	s_mov_b32 s14, 10
	s_delay_alu instid0(VALU_DEP_3)
	v_add_nc_u32_e32 v6, -1, v1
	v_and_b32_e32 v4, 15, v1
	v_cmp_eq_u32_e32 vcc_lo, 0, v1
	v_and_b32_e32 v7, 1, v1
	v_and_b32_e32 v5, 16, v1
	v_cmp_gt_i32_e64 s7, 0, v6
	s_delay_alu instid0(VALU_DEP_2) | instskip(NEXT) | instid1(VALU_DEP_2)
	v_cmp_eq_u32_e64 s4, 0, v5
	v_cndmask_b32_e64 v5, v6, v1, s7
	s_waitcnt lgkmcnt(0)
	s_add_u32 s0, s16, s13
	s_addc_u32 s1, s17, 0
	s_lshr_b32 s9, s8, 16
	global_load_u8 v2, v8, s[0:1]
	s_mov_b32 s0, 0
	v_mad_u32_u24 v3, v0, s9, v3
	s_mov_b32 s3, s0
	s_mov_b32 s1, s0
	;; [unrolled: 1-line block ×3, first 2 shown]
	v_mov_b32_e32 v12, s3
	v_dual_mov_b32 v10, s1 :: v_dual_mov_b32 v11, s2
	v_mov_b32_e32 v9, s0
	v_lshrrev_b32_e32 v6, 3, v8
	s_and_b32 s8, s8, 0xffff
	v_lshlrev_b32_e32 v13, 5, v8
	v_cmp_eq_u32_e64 s0, 0, v4
	v_mad_u64_u32 v[0:1], null, v3, s8, v[8:9]
	v_cmp_lt_u32_e64 s1, 1, v4
	v_cmp_lt_u32_e64 s2, 3, v4
	;; [unrolled: 1-line block ×3, first 2 shown]
	v_or_b32_e32 v4, 31, v8
	v_mul_u32_u24_e32 v1, 3, v8
	v_and_b32_e32 v14, 4, v6
	v_cmp_gt_u32_e64 s5, 2, v8
	v_cmp_lt_u32_e64 s6, 31, v8
	v_cmp_eq_u32_e64 s7, 0, v8
	v_cmp_eq_u32_e64 s8, 0, v7
	v_or_b32_e32 v15, 8, v13
	v_cmp_eq_u32_e64 s9, v4, v8
	v_lshlrev_b32_e32 v16, 2, v5
	v_add_nc_u32_e32 v17, -4, v14
	v_lshrrev_b32_e32 v18, 5, v0
	v_add_nc_u32_e32 v19, v8, v1
	s_waitcnt vmcnt(0)
	v_xor_b32_e32 v20, 0xffffff80, v2
	s_branch .LBB48_2
.LBB48_1:                               ;   in Loop: Header=BB48_2 Depth=1
	s_or_b32 exec_lo, exec_lo, s10
	s_waitcnt lgkmcnt(0)
	v_add_nc_u32_e32 v3, v23, v3
	s_add_i32 s14, s14, -1
	s_delay_alu instid0(SALU_CYCLE_1) | instskip(SKIP_3) | instid1(VALU_DEP_1)
	s_cmp_eq_u32 s14, 0
	ds_bpermute_b32 v3, v16, v3
	s_waitcnt lgkmcnt(0)
	v_cndmask_b32_e32 v3, v3, v23, vcc_lo
	v_cndmask_b32_e64 v3, v3, 0, s7
	s_delay_alu instid0(VALU_DEP_1) | instskip(NEXT) | instid1(VALU_DEP_1)
	v_add_nc_u32_e32 v4, v3, v4
	v_add_nc_u32_e32 v5, v4, v5
	s_delay_alu instid0(VALU_DEP_1) | instskip(NEXT) | instid1(VALU_DEP_1)
	v_add_nc_u32_e32 v6, v5, v6
	v_add_nc_u32_e32 v23, v6, v7
	;; [unrolled: 3-line block ×3, first 2 shown]
	s_delay_alu instid0(VALU_DEP_1)
	v_add_nc_u32_e32 v1, v0, v2
	ds_store_2addr_b64 v13, v[3:4], v[5:6] offset0:1 offset1:2
	ds_store_2addr_b64 v15, v[23:24], v[0:1] offset0:2 offset1:3
	s_waitcnt lgkmcnt(0)
	s_barrier
	buffer_gl0_inv
	ds_load_b32 v0, v22
	s_waitcnt lgkmcnt(0)
	s_barrier
	buffer_gl0_inv
	v_add_nc_u32_e32 v0, v0, v21
	ds_store_b8 v0, v20
	s_waitcnt lgkmcnt(0)
	s_barrier
	buffer_gl0_inv
	ds_load_u8 v20, v8
	s_cbranch_scc1 .LBB48_10
.LBB48_2:                               ; =>This Inner Loop Header: Depth=1
	s_waitcnt lgkmcnt(0)
	s_delay_alu instid0(VALU_DEP_1)
	v_and_b32_e32 v0, 1, v20
	v_lshlrev_b32_e32 v1, 30, v20
	v_lshlrev_b32_e32 v2, 29, v20
	;; [unrolled: 1-line block ×4, first 2 shown]
	v_add_co_u32 v0, s10, v0, -1
	s_delay_alu instid0(VALU_DEP_1)
	v_cndmask_b32_e64 v3, 0, 1, s10
	v_not_b32_e32 v7, v1
	v_cmp_gt_i32_e64 s11, 0, v1
	v_not_b32_e32 v1, v2
	v_lshlrev_b32_e32 v6, 26, v20
	v_cmp_ne_u32_e64 s10, 0, v3
	v_ashrrev_i32_e32 v7, 31, v7
	v_lshlrev_b32_e32 v3, 25, v20
	v_ashrrev_i32_e32 v1, 31, v1
	v_cmp_gt_i32_e64 s12, 0, v5
	v_xor_b32_e32 v0, s10, v0
	v_cmp_gt_i32_e64 s10, 0, v2
	v_not_b32_e32 v2, v4
	v_xor_b32_e32 v7, s11, v7
	v_cmp_gt_i32_e64 s11, 0, v4
	v_and_b32_e32 v0, exec_lo, v0
	v_xor_b32_e32 v1, s10, v1
	v_ashrrev_i32_e32 v2, 31, v2
	v_not_b32_e32 v4, v5
	v_not_b32_e32 v5, v6
	v_and_b32_e32 v0, v0, v7
	v_cmp_gt_i32_e64 s10, 0, v6
	v_xor_b32_e32 v2, s11, v2
	v_not_b32_e32 v6, v3
	ds_store_2addr_b64 v13, v[9:10], v[11:12] offset0:1 offset1:2
	ds_store_2addr_b64 v15, v[9:10], v[11:12] offset0:2 offset1:3
	v_and_b32_e32 v0, v0, v1
	v_ashrrev_i32_e32 v1, 31, v4
	v_ashrrev_i32_e32 v4, 31, v5
	v_lshlrev_b32_e32 v5, 24, v20
	s_waitcnt lgkmcnt(0)
	v_and_b32_e32 v0, v0, v2
	v_xor_b32_e32 v1, s12, v1
	v_xor_b32_e32 v2, s10, v4
	v_cmp_gt_i32_e64 s10, 0, v3
	v_not_b32_e32 v3, v5
	v_ashrrev_i32_e32 v4, 31, v6
	v_and_b32_e32 v0, v0, v1
	v_cmp_gt_i32_e64 s11, 0, v5
	s_barrier
	v_ashrrev_i32_e32 v1, 31, v3
	v_xor_b32_e32 v3, s10, v4
	v_and_b32_e32 v0, v0, v2
	buffer_gl0_inv
	v_xor_b32_e32 v1, s11, v1
	; wave barrier
	v_and_b32_e32 v0, v0, v3
	s_delay_alu instid0(VALU_DEP_1) | instskip(SKIP_1) | instid1(VALU_DEP_2)
	v_and_b32_e32 v0, v0, v1
	v_and_b32_e32 v1, 0xff, v20
	v_mbcnt_lo_u32_b32 v21, v0, 0
	s_delay_alu instid0(VALU_DEP_2) | instskip(SKIP_1) | instid1(VALU_DEP_3)
	v_lshl_add_u32 v1, v1, 1, v18
	v_cmp_ne_u32_e64 s11, 0, v0
	v_cmp_eq_u32_e64 s10, 0, v21
	s_delay_alu instid0(VALU_DEP_3) | instskip(NEXT) | instid1(VALU_DEP_2)
	v_lshl_add_u32 v22, v1, 2, 8
	s_and_b32 s11, s11, s10
	s_delay_alu instid0(SALU_CYCLE_1)
	s_and_saveexec_b32 s10, s11
	s_cbranch_execz .LBB48_4
; %bb.3:                                ;   in Loop: Header=BB48_2 Depth=1
	v_bcnt_u32_b32 v0, v0, 0
	ds_store_b32 v22, v0
.LBB48_4:                               ;   in Loop: Header=BB48_2 Depth=1
	s_or_b32 exec_lo, exec_lo, s10
	; wave barrier
	s_waitcnt lgkmcnt(0)
	s_barrier
	buffer_gl0_inv
	ds_load_2addr_b64 v[4:7], v13 offset0:1 offset1:2
	ds_load_2addr_b64 v[0:3], v15 offset0:2 offset1:3
	s_waitcnt lgkmcnt(1)
	v_add_nc_u32_e32 v23, v5, v4
	s_delay_alu instid0(VALU_DEP_1) | instskip(SKIP_1) | instid1(VALU_DEP_1)
	v_add3_u32 v23, v23, v6, v7
	s_waitcnt lgkmcnt(0)
	v_add3_u32 v23, v23, v0, v1
	s_delay_alu instid0(VALU_DEP_1) | instskip(NEXT) | instid1(VALU_DEP_1)
	v_add3_u32 v3, v23, v2, v3
	v_mov_b32_dpp v23, v3 row_shr:1 row_mask:0xf bank_mask:0xf
	s_delay_alu instid0(VALU_DEP_1) | instskip(NEXT) | instid1(VALU_DEP_1)
	v_cndmask_b32_e64 v23, v23, 0, s0
	v_add_nc_u32_e32 v3, v23, v3
	s_delay_alu instid0(VALU_DEP_1) | instskip(NEXT) | instid1(VALU_DEP_1)
	v_mov_b32_dpp v23, v3 row_shr:2 row_mask:0xf bank_mask:0xf
	v_cndmask_b32_e64 v23, 0, v23, s1
	s_delay_alu instid0(VALU_DEP_1) | instskip(NEXT) | instid1(VALU_DEP_1)
	v_add_nc_u32_e32 v3, v3, v23
	v_mov_b32_dpp v23, v3 row_shr:4 row_mask:0xf bank_mask:0xf
	s_delay_alu instid0(VALU_DEP_1) | instskip(NEXT) | instid1(VALU_DEP_1)
	v_cndmask_b32_e64 v23, 0, v23, s2
	v_add_nc_u32_e32 v3, v3, v23
	s_delay_alu instid0(VALU_DEP_1) | instskip(NEXT) | instid1(VALU_DEP_1)
	v_mov_b32_dpp v23, v3 row_shr:8 row_mask:0xf bank_mask:0xf
	v_cndmask_b32_e64 v23, 0, v23, s3
	s_delay_alu instid0(VALU_DEP_1) | instskip(SKIP_3) | instid1(VALU_DEP_1)
	v_add_nc_u32_e32 v3, v3, v23
	ds_swizzle_b32 v23, v3 offset:swizzle(BROADCAST,32,15)
	s_waitcnt lgkmcnt(0)
	v_cndmask_b32_e64 v23, v23, 0, s4
	v_add_nc_u32_e32 v3, v3, v23
	s_and_saveexec_b32 s10, s9
	s_cbranch_execz .LBB48_6
; %bb.5:                                ;   in Loop: Header=BB48_2 Depth=1
	ds_store_b32 v14, v3
.LBB48_6:                               ;   in Loop: Header=BB48_2 Depth=1
	s_or_b32 exec_lo, exec_lo, s10
	s_waitcnt lgkmcnt(0)
	s_barrier
	buffer_gl0_inv
	s_and_saveexec_b32 s10, s5
	s_cbranch_execz .LBB48_8
; %bb.7:                                ;   in Loop: Header=BB48_2 Depth=1
	ds_load_b32 v23, v19
	s_waitcnt lgkmcnt(0)
	v_mov_b32_dpp v24, v23 row_shr:1 row_mask:0xf bank_mask:0xf
	s_delay_alu instid0(VALU_DEP_1) | instskip(NEXT) | instid1(VALU_DEP_1)
	v_cndmask_b32_e64 v24, v24, 0, s8
	v_add_nc_u32_e32 v23, v24, v23
	ds_store_b32 v19, v23
.LBB48_8:                               ;   in Loop: Header=BB48_2 Depth=1
	s_or_b32 exec_lo, exec_lo, s10
	v_mov_b32_e32 v23, 0
	s_waitcnt lgkmcnt(0)
	s_barrier
	buffer_gl0_inv
	s_and_saveexec_b32 s10, s6
	s_cbranch_execz .LBB48_1
; %bb.9:                                ;   in Loop: Header=BB48_2 Depth=1
	ds_load_b32 v23, v17
	s_branch .LBB48_1
.LBB48_10:
	s_add_u32 s0, s18, s13
	s_addc_u32 s1, s19, 0
	v_add_co_u32 v0, s0, s0, v8
	s_waitcnt lgkmcnt(0)
	v_xor_b32_e32 v2, 0x80, v20
	v_add_co_ci_u32_e64 v1, null, s1, 0, s0
	global_store_b8 v[0:1], v2, off
	s_nop 0
	s_sendmsg sendmsg(MSG_DEALLOC_VGPRS)
	s_endpgm
	.section	.rodata,"a",@progbits
	.p2align	6, 0x0
	.amdhsa_kernel _Z16sort_keys_kernelI22helper_blocked_blockedaLj64ELj1ELj10EEvPKT0_PS1_
		.amdhsa_group_segment_fixed_size 2064
		.amdhsa_private_segment_fixed_size 0
		.amdhsa_kernarg_size 272
		.amdhsa_user_sgpr_count 15
		.amdhsa_user_sgpr_dispatch_ptr 0
		.amdhsa_user_sgpr_queue_ptr 0
		.amdhsa_user_sgpr_kernarg_segment_ptr 1
		.amdhsa_user_sgpr_dispatch_id 0
		.amdhsa_user_sgpr_private_segment_size 0
		.amdhsa_wavefront_size32 1
		.amdhsa_uses_dynamic_stack 0
		.amdhsa_enable_private_segment 0
		.amdhsa_system_sgpr_workgroup_id_x 1
		.amdhsa_system_sgpr_workgroup_id_y 0
		.amdhsa_system_sgpr_workgroup_id_z 0
		.amdhsa_system_sgpr_workgroup_info 0
		.amdhsa_system_vgpr_workitem_id 2
		.amdhsa_next_free_vgpr 25
		.amdhsa_next_free_sgpr 20
		.amdhsa_reserve_vcc 1
		.amdhsa_float_round_mode_32 0
		.amdhsa_float_round_mode_16_64 0
		.amdhsa_float_denorm_mode_32 3
		.amdhsa_float_denorm_mode_16_64 3
		.amdhsa_dx10_clamp 1
		.amdhsa_ieee_mode 1
		.amdhsa_fp16_overflow 0
		.amdhsa_workgroup_processor_mode 1
		.amdhsa_memory_ordered 1
		.amdhsa_forward_progress 0
		.amdhsa_shared_vgpr_count 0
		.amdhsa_exception_fp_ieee_invalid_op 0
		.amdhsa_exception_fp_denorm_src 0
		.amdhsa_exception_fp_ieee_div_zero 0
		.amdhsa_exception_fp_ieee_overflow 0
		.amdhsa_exception_fp_ieee_underflow 0
		.amdhsa_exception_fp_ieee_inexact 0
		.amdhsa_exception_int_div_zero 0
	.end_amdhsa_kernel
	.section	.text._Z16sort_keys_kernelI22helper_blocked_blockedaLj64ELj1ELj10EEvPKT0_PS1_,"axG",@progbits,_Z16sort_keys_kernelI22helper_blocked_blockedaLj64ELj1ELj10EEvPKT0_PS1_,comdat
.Lfunc_end48:
	.size	_Z16sort_keys_kernelI22helper_blocked_blockedaLj64ELj1ELj10EEvPKT0_PS1_, .Lfunc_end48-_Z16sort_keys_kernelI22helper_blocked_blockedaLj64ELj1ELj10EEvPKT0_PS1_
                                        ; -- End function
	.section	.AMDGPU.csdata,"",@progbits
; Kernel info:
; codeLenInByte = 1272
; NumSgprs: 22
; NumVgprs: 25
; ScratchSize: 0
; MemoryBound: 0
; FloatMode: 240
; IeeeMode: 1
; LDSByteSize: 2064 bytes/workgroup (compile time only)
; SGPRBlocks: 2
; VGPRBlocks: 3
; NumSGPRsForWavesPerEU: 22
; NumVGPRsForWavesPerEU: 25
; Occupancy: 16
; WaveLimiterHint : 0
; COMPUTE_PGM_RSRC2:SCRATCH_EN: 0
; COMPUTE_PGM_RSRC2:USER_SGPR: 15
; COMPUTE_PGM_RSRC2:TRAP_HANDLER: 0
; COMPUTE_PGM_RSRC2:TGID_X_EN: 1
; COMPUTE_PGM_RSRC2:TGID_Y_EN: 0
; COMPUTE_PGM_RSRC2:TGID_Z_EN: 0
; COMPUTE_PGM_RSRC2:TIDIG_COMP_CNT: 2
	.section	.text._Z17sort_pairs_kernelI22helper_blocked_blockedaLj64ELj1ELj10EEvPKT0_PS1_,"axG",@progbits,_Z17sort_pairs_kernelI22helper_blocked_blockedaLj64ELj1ELj10EEvPKT0_PS1_,comdat
	.protected	_Z17sort_pairs_kernelI22helper_blocked_blockedaLj64ELj1ELj10EEvPKT0_PS1_ ; -- Begin function _Z17sort_pairs_kernelI22helper_blocked_blockedaLj64ELj1ELj10EEvPKT0_PS1_
	.globl	_Z17sort_pairs_kernelI22helper_blocked_blockedaLj64ELj1ELj10EEvPKT0_PS1_
	.p2align	8
	.type	_Z17sort_pairs_kernelI22helper_blocked_blockedaLj64ELj1ELj10EEvPKT0_PS1_,@function
_Z17sort_pairs_kernelI22helper_blocked_blockedaLj64ELj1ELj10EEvPKT0_PS1_: ; @_Z17sort_pairs_kernelI22helper_blocked_blockedaLj64ELj1ELj10EEvPKT0_PS1_
; %bb.0:
	s_clause 0x1
	s_load_b128 s[16:19], s[0:1], 0x0
	s_load_b32 s8, s[0:1], 0x1c
	s_lshl_b32 s13, s15, 6
	v_and_b32_e32 v8, 0x3ff, v0
	v_mbcnt_lo_u32_b32 v1, -1, 0
	v_bfe_u32 v3, v0, 10, 10
	v_bfe_u32 v0, v0, 20, 10
	s_mov_b32 s14, 10
	s_delay_alu instid0(VALU_DEP_3)
	v_add_nc_u32_e32 v6, -1, v1
	v_and_b32_e32 v4, 15, v1
	v_cmp_eq_u32_e32 vcc_lo, 0, v1
	v_and_b32_e32 v7, 1, v1
	v_and_b32_e32 v5, 16, v1
	v_cmp_gt_i32_e64 s7, 0, v6
	s_delay_alu instid0(VALU_DEP_2) | instskip(NEXT) | instid1(VALU_DEP_2)
	v_cmp_eq_u32_e64 s4, 0, v5
	v_cndmask_b32_e64 v5, v6, v1, s7
	s_waitcnt lgkmcnt(0)
	s_add_u32 s0, s16, s13
	s_addc_u32 s1, s17, 0
	s_lshr_b32 s9, s8, 16
	global_load_u8 v2, v8, s[0:1]
	s_mov_b32 s0, 0
	v_mad_u32_u24 v3, v0, s9, v3
	s_mov_b32 s3, s0
	s_mov_b32 s1, s0
	;; [unrolled: 1-line block ×3, first 2 shown]
	v_mov_b32_e32 v12, s3
	v_dual_mov_b32 v10, s1 :: v_dual_mov_b32 v11, s2
	v_mov_b32_e32 v9, s0
	v_lshrrev_b32_e32 v6, 3, v8
	s_and_b32 s8, s8, 0xffff
	v_lshlrev_b32_e32 v13, 5, v8
	v_cmp_eq_u32_e64 s0, 0, v4
	v_mad_u64_u32 v[0:1], null, v3, s8, v[8:9]
	v_cmp_lt_u32_e64 s1, 1, v4
	v_cmp_lt_u32_e64 s2, 3, v4
	;; [unrolled: 1-line block ×3, first 2 shown]
	v_or_b32_e32 v4, 31, v8
	v_mul_u32_u24_e32 v1, 3, v8
	v_and_b32_e32 v14, 4, v6
	v_cmp_gt_u32_e64 s5, 2, v8
	v_cmp_lt_u32_e64 s6, 31, v8
	v_cmp_eq_u32_e64 s7, 0, v8
	v_cmp_eq_u32_e64 s8, 0, v7
	v_or_b32_e32 v15, 8, v13
	v_cmp_eq_u32_e64 s9, v4, v8
	v_lshlrev_b32_e32 v16, 2, v5
	v_add_nc_u32_e32 v17, -4, v14
	v_lshrrev_b32_e32 v18, 5, v0
	v_add_nc_u32_e32 v19, v8, v1
	s_waitcnt vmcnt(0)
	v_add_nc_u16 v20, v2, 1
	v_xor_b32_e32 v21, 0xffffff80, v2
	s_branch .LBB49_2
.LBB49_1:                               ;   in Loop: Header=BB49_2 Depth=1
	s_or_b32 exec_lo, exec_lo, s10
	s_waitcnt lgkmcnt(0)
	v_add_nc_u32_e32 v3, v24, v3
	s_add_i32 s14, s14, -1
	s_delay_alu instid0(SALU_CYCLE_1) | instskip(SKIP_3) | instid1(VALU_DEP_1)
	s_cmp_lg_u32 s14, 0
	ds_bpermute_b32 v3, v16, v3
	s_waitcnt lgkmcnt(0)
	v_cndmask_b32_e32 v3, v3, v24, vcc_lo
	v_cndmask_b32_e64 v3, v3, 0, s7
	s_delay_alu instid0(VALU_DEP_1) | instskip(NEXT) | instid1(VALU_DEP_1)
	v_add_nc_u32_e32 v4, v3, v4
	v_add_nc_u32_e32 v5, v4, v5
	s_delay_alu instid0(VALU_DEP_1) | instskip(NEXT) | instid1(VALU_DEP_1)
	v_add_nc_u32_e32 v6, v5, v6
	v_add_nc_u32_e32 v24, v6, v7
	;; [unrolled: 3-line block ×3, first 2 shown]
	s_delay_alu instid0(VALU_DEP_1)
	v_add_nc_u32_e32 v1, v0, v2
	ds_store_2addr_b64 v13, v[3:4], v[5:6] offset0:1 offset1:2
	ds_store_2addr_b64 v15, v[24:25], v[0:1] offset0:2 offset1:3
	s_waitcnt lgkmcnt(0)
	s_barrier
	buffer_gl0_inv
	ds_load_b32 v0, v23
	s_waitcnt lgkmcnt(0)
	s_barrier
	buffer_gl0_inv
	v_add_nc_u32_e32 v0, v0, v22
	ds_store_b8 v0, v21
	s_waitcnt lgkmcnt(0)
	s_barrier
	buffer_gl0_inv
	ds_load_u8 v21, v8
	s_waitcnt lgkmcnt(0)
	s_barrier
	buffer_gl0_inv
	ds_store_b8 v0, v20
	s_waitcnt lgkmcnt(0)
	s_barrier
	buffer_gl0_inv
	ds_load_u8 v20, v8
	s_cbranch_scc0 .LBB49_10
.LBB49_2:                               ; =>This Inner Loop Header: Depth=1
	s_delay_alu instid0(VALU_DEP_1)
	v_and_b32_e32 v0, 1, v21
	v_lshlrev_b32_e32 v1, 30, v21
	v_lshlrev_b32_e32 v2, 29, v21
	;; [unrolled: 1-line block ×4, first 2 shown]
	v_add_co_u32 v0, s10, v0, -1
	s_delay_alu instid0(VALU_DEP_1)
	v_cndmask_b32_e64 v3, 0, 1, s10
	v_not_b32_e32 v7, v1
	v_cmp_gt_i32_e64 s11, 0, v1
	v_not_b32_e32 v1, v2
	v_lshlrev_b32_e32 v6, 26, v21
	v_cmp_ne_u32_e64 s10, 0, v3
	v_ashrrev_i32_e32 v7, 31, v7
	v_lshlrev_b32_e32 v3, 25, v21
	v_ashrrev_i32_e32 v1, 31, v1
	v_cmp_gt_i32_e64 s12, 0, v5
	v_xor_b32_e32 v0, s10, v0
	v_cmp_gt_i32_e64 s10, 0, v2
	v_not_b32_e32 v2, v4
	v_xor_b32_e32 v7, s11, v7
	v_cmp_gt_i32_e64 s11, 0, v4
	v_and_b32_e32 v0, exec_lo, v0
	v_xor_b32_e32 v1, s10, v1
	v_ashrrev_i32_e32 v2, 31, v2
	v_not_b32_e32 v4, v5
	v_not_b32_e32 v5, v6
	v_and_b32_e32 v0, v0, v7
	v_cmp_gt_i32_e64 s10, 0, v6
	v_xor_b32_e32 v2, s11, v2
	v_not_b32_e32 v6, v3
	ds_store_2addr_b64 v13, v[9:10], v[11:12] offset0:1 offset1:2
	ds_store_2addr_b64 v15, v[9:10], v[11:12] offset0:2 offset1:3
	v_and_b32_e32 v0, v0, v1
	v_ashrrev_i32_e32 v1, 31, v4
	v_ashrrev_i32_e32 v4, 31, v5
	v_lshlrev_b32_e32 v5, 24, v21
	s_waitcnt lgkmcnt(0)
	v_and_b32_e32 v0, v0, v2
	v_xor_b32_e32 v1, s12, v1
	v_xor_b32_e32 v2, s10, v4
	v_cmp_gt_i32_e64 s10, 0, v3
	v_not_b32_e32 v3, v5
	v_ashrrev_i32_e32 v4, 31, v6
	v_and_b32_e32 v0, v0, v1
	v_cmp_gt_i32_e64 s11, 0, v5
	s_barrier
	v_ashrrev_i32_e32 v1, 31, v3
	v_xor_b32_e32 v3, s10, v4
	v_and_b32_e32 v0, v0, v2
	buffer_gl0_inv
	v_xor_b32_e32 v1, s11, v1
	; wave barrier
	v_and_b32_e32 v0, v0, v3
	s_delay_alu instid0(VALU_DEP_1) | instskip(SKIP_1) | instid1(VALU_DEP_2)
	v_and_b32_e32 v0, v0, v1
	v_and_b32_e32 v1, 0xff, v21
	v_mbcnt_lo_u32_b32 v22, v0, 0
	s_delay_alu instid0(VALU_DEP_2) | instskip(SKIP_1) | instid1(VALU_DEP_3)
	v_lshl_add_u32 v1, v1, 1, v18
	v_cmp_ne_u32_e64 s11, 0, v0
	v_cmp_eq_u32_e64 s10, 0, v22
	s_delay_alu instid0(VALU_DEP_3) | instskip(NEXT) | instid1(VALU_DEP_2)
	v_lshl_add_u32 v23, v1, 2, 8
	s_and_b32 s11, s11, s10
	s_delay_alu instid0(SALU_CYCLE_1)
	s_and_saveexec_b32 s10, s11
	s_cbranch_execz .LBB49_4
; %bb.3:                                ;   in Loop: Header=BB49_2 Depth=1
	v_bcnt_u32_b32 v0, v0, 0
	ds_store_b32 v23, v0
.LBB49_4:                               ;   in Loop: Header=BB49_2 Depth=1
	s_or_b32 exec_lo, exec_lo, s10
	; wave barrier
	s_waitcnt lgkmcnt(0)
	s_barrier
	buffer_gl0_inv
	ds_load_2addr_b64 v[4:7], v13 offset0:1 offset1:2
	ds_load_2addr_b64 v[0:3], v15 offset0:2 offset1:3
	s_waitcnt lgkmcnt(1)
	v_add_nc_u32_e32 v24, v5, v4
	s_delay_alu instid0(VALU_DEP_1) | instskip(SKIP_1) | instid1(VALU_DEP_1)
	v_add3_u32 v24, v24, v6, v7
	s_waitcnt lgkmcnt(0)
	v_add3_u32 v24, v24, v0, v1
	s_delay_alu instid0(VALU_DEP_1) | instskip(NEXT) | instid1(VALU_DEP_1)
	v_add3_u32 v3, v24, v2, v3
	v_mov_b32_dpp v24, v3 row_shr:1 row_mask:0xf bank_mask:0xf
	s_delay_alu instid0(VALU_DEP_1) | instskip(NEXT) | instid1(VALU_DEP_1)
	v_cndmask_b32_e64 v24, v24, 0, s0
	v_add_nc_u32_e32 v3, v24, v3
	s_delay_alu instid0(VALU_DEP_1) | instskip(NEXT) | instid1(VALU_DEP_1)
	v_mov_b32_dpp v24, v3 row_shr:2 row_mask:0xf bank_mask:0xf
	v_cndmask_b32_e64 v24, 0, v24, s1
	s_delay_alu instid0(VALU_DEP_1) | instskip(NEXT) | instid1(VALU_DEP_1)
	v_add_nc_u32_e32 v3, v3, v24
	v_mov_b32_dpp v24, v3 row_shr:4 row_mask:0xf bank_mask:0xf
	s_delay_alu instid0(VALU_DEP_1) | instskip(NEXT) | instid1(VALU_DEP_1)
	v_cndmask_b32_e64 v24, 0, v24, s2
	v_add_nc_u32_e32 v3, v3, v24
	s_delay_alu instid0(VALU_DEP_1) | instskip(NEXT) | instid1(VALU_DEP_1)
	v_mov_b32_dpp v24, v3 row_shr:8 row_mask:0xf bank_mask:0xf
	v_cndmask_b32_e64 v24, 0, v24, s3
	s_delay_alu instid0(VALU_DEP_1) | instskip(SKIP_3) | instid1(VALU_DEP_1)
	v_add_nc_u32_e32 v3, v3, v24
	ds_swizzle_b32 v24, v3 offset:swizzle(BROADCAST,32,15)
	s_waitcnt lgkmcnt(0)
	v_cndmask_b32_e64 v24, v24, 0, s4
	v_add_nc_u32_e32 v3, v3, v24
	s_and_saveexec_b32 s10, s9
	s_cbranch_execz .LBB49_6
; %bb.5:                                ;   in Loop: Header=BB49_2 Depth=1
	ds_store_b32 v14, v3
.LBB49_6:                               ;   in Loop: Header=BB49_2 Depth=1
	s_or_b32 exec_lo, exec_lo, s10
	s_waitcnt lgkmcnt(0)
	s_barrier
	buffer_gl0_inv
	s_and_saveexec_b32 s10, s5
	s_cbranch_execz .LBB49_8
; %bb.7:                                ;   in Loop: Header=BB49_2 Depth=1
	ds_load_b32 v24, v19
	s_waitcnt lgkmcnt(0)
	v_mov_b32_dpp v25, v24 row_shr:1 row_mask:0xf bank_mask:0xf
	s_delay_alu instid0(VALU_DEP_1) | instskip(NEXT) | instid1(VALU_DEP_1)
	v_cndmask_b32_e64 v25, v25, 0, s8
	v_add_nc_u32_e32 v24, v25, v24
	ds_store_b32 v19, v24
.LBB49_8:                               ;   in Loop: Header=BB49_2 Depth=1
	s_or_b32 exec_lo, exec_lo, s10
	v_mov_b32_e32 v24, 0
	s_waitcnt lgkmcnt(0)
	s_barrier
	buffer_gl0_inv
	s_and_saveexec_b32 s10, s6
	s_cbranch_execz .LBB49_1
; %bb.9:                                ;   in Loop: Header=BB49_2 Depth=1
	ds_load_b32 v24, v17
	s_branch .LBB49_1
.LBB49_10:
	s_waitcnt lgkmcnt(0)
	v_add_nc_u16 v0, v20, v21
	s_add_u32 s0, s18, s13
	s_addc_u32 s1, s19, 0
	s_delay_alu instid0(VALU_DEP_1) | instskip(SKIP_1) | instid1(VALU_DEP_1)
	v_add_nc_u16 v2, v0, 0xff80
	v_add_co_u32 v0, s0, s0, v8
	v_add_co_ci_u32_e64 v1, null, s1, 0, s0
	global_store_b8 v[0:1], v2, off
	s_nop 0
	s_sendmsg sendmsg(MSG_DEALLOC_VGPRS)
	s_endpgm
	.section	.rodata,"a",@progbits
	.p2align	6, 0x0
	.amdhsa_kernel _Z17sort_pairs_kernelI22helper_blocked_blockedaLj64ELj1ELj10EEvPKT0_PS1_
		.amdhsa_group_segment_fixed_size 2064
		.amdhsa_private_segment_fixed_size 0
		.amdhsa_kernarg_size 272
		.amdhsa_user_sgpr_count 15
		.amdhsa_user_sgpr_dispatch_ptr 0
		.amdhsa_user_sgpr_queue_ptr 0
		.amdhsa_user_sgpr_kernarg_segment_ptr 1
		.amdhsa_user_sgpr_dispatch_id 0
		.amdhsa_user_sgpr_private_segment_size 0
		.amdhsa_wavefront_size32 1
		.amdhsa_uses_dynamic_stack 0
		.amdhsa_enable_private_segment 0
		.amdhsa_system_sgpr_workgroup_id_x 1
		.amdhsa_system_sgpr_workgroup_id_y 0
		.amdhsa_system_sgpr_workgroup_id_z 0
		.amdhsa_system_sgpr_workgroup_info 0
		.amdhsa_system_vgpr_workitem_id 2
		.amdhsa_next_free_vgpr 26
		.amdhsa_next_free_sgpr 20
		.amdhsa_reserve_vcc 1
		.amdhsa_float_round_mode_32 0
		.amdhsa_float_round_mode_16_64 0
		.amdhsa_float_denorm_mode_32 3
		.amdhsa_float_denorm_mode_16_64 3
		.amdhsa_dx10_clamp 1
		.amdhsa_ieee_mode 1
		.amdhsa_fp16_overflow 0
		.amdhsa_workgroup_processor_mode 1
		.amdhsa_memory_ordered 1
		.amdhsa_forward_progress 0
		.amdhsa_shared_vgpr_count 0
		.amdhsa_exception_fp_ieee_invalid_op 0
		.amdhsa_exception_fp_denorm_src 0
		.amdhsa_exception_fp_ieee_div_zero 0
		.amdhsa_exception_fp_ieee_overflow 0
		.amdhsa_exception_fp_ieee_underflow 0
		.amdhsa_exception_fp_ieee_inexact 0
		.amdhsa_exception_int_div_zero 0
	.end_amdhsa_kernel
	.section	.text._Z17sort_pairs_kernelI22helper_blocked_blockedaLj64ELj1ELj10EEvPKT0_PS1_,"axG",@progbits,_Z17sort_pairs_kernelI22helper_blocked_blockedaLj64ELj1ELj10EEvPKT0_PS1_,comdat
.Lfunc_end49:
	.size	_Z17sort_pairs_kernelI22helper_blocked_blockedaLj64ELj1ELj10EEvPKT0_PS1_, .Lfunc_end49-_Z17sort_pairs_kernelI22helper_blocked_blockedaLj64ELj1ELj10EEvPKT0_PS1_
                                        ; -- End function
	.section	.AMDGPU.csdata,"",@progbits
; Kernel info:
; codeLenInByte = 1340
; NumSgprs: 22
; NumVgprs: 26
; ScratchSize: 0
; MemoryBound: 0
; FloatMode: 240
; IeeeMode: 1
; LDSByteSize: 2064 bytes/workgroup (compile time only)
; SGPRBlocks: 2
; VGPRBlocks: 3
; NumSGPRsForWavesPerEU: 22
; NumVGPRsForWavesPerEU: 26
; Occupancy: 16
; WaveLimiterHint : 0
; COMPUTE_PGM_RSRC2:SCRATCH_EN: 0
; COMPUTE_PGM_RSRC2:USER_SGPR: 15
; COMPUTE_PGM_RSRC2:TRAP_HANDLER: 0
; COMPUTE_PGM_RSRC2:TGID_X_EN: 1
; COMPUTE_PGM_RSRC2:TGID_Y_EN: 0
; COMPUTE_PGM_RSRC2:TGID_Z_EN: 0
; COMPUTE_PGM_RSRC2:TIDIG_COMP_CNT: 2
	.section	.text._Z16sort_keys_kernelI22helper_blocked_blockedaLj64ELj3ELj10EEvPKT0_PS1_,"axG",@progbits,_Z16sort_keys_kernelI22helper_blocked_blockedaLj64ELj3ELj10EEvPKT0_PS1_,comdat
	.protected	_Z16sort_keys_kernelI22helper_blocked_blockedaLj64ELj3ELj10EEvPKT0_PS1_ ; -- Begin function _Z16sort_keys_kernelI22helper_blocked_blockedaLj64ELj3ELj10EEvPKT0_PS1_
	.globl	_Z16sort_keys_kernelI22helper_blocked_blockedaLj64ELj3ELj10EEvPKT0_PS1_
	.p2align	8
	.type	_Z16sort_keys_kernelI22helper_blocked_blockedaLj64ELj3ELj10EEvPKT0_PS1_,@function
_Z16sort_keys_kernelI22helper_blocked_blockedaLj64ELj3ELj10EEvPKT0_PS1_: ; @_Z16sort_keys_kernelI22helper_blocked_blockedaLj64ELj3ELj10EEvPKT0_PS1_
; %bb.0:
	s_clause 0x1
	s_load_b128 s[16:19], s[0:1], 0x0
	s_load_b32 s10, s[0:1], 0x1c
	s_mul_i32 s12, s15, 0xc0
	v_and_b32_e32 v8, 0x3ff, v0
	v_mbcnt_lo_u32_b32 v4, -1, 0
	v_bfe_u32 v6, v0, 10, 10
	v_bfe_u32 v0, v0, 20, 10
	s_mov_b32 s13, 10
	s_delay_alu instid0(VALU_DEP_3)
	v_add_nc_u32_e32 v15, -1, v4
	v_mul_u32_u24_e32 v5, 3, v4
	v_and_b32_e32 v14, 16, v4
	v_and_b32_e32 v16, 1, v4
	v_cmp_eq_u32_e32 vcc_lo, 0, v4
	v_cmp_gt_i32_e64 s7, 0, v15
	v_and_b32_e32 v7, 15, v4
	v_cmp_eq_u32_e64 s4, 0, v14
	v_cmp_eq_u32_e64 s8, 0, v16
	s_delay_alu instid0(VALU_DEP_4)
	v_cndmask_b32_e64 v18, v15, v4, s7
	s_waitcnt lgkmcnt(0)
	s_add_u32 s0, s16, s12
	s_addc_u32 s1, s17, 0
	s_clause 0x2
	global_load_u8 v1, v8, s[0:1] offset:64
	global_load_u8 v2, v8, s[0:1]
	global_load_u8 v3, v8, s[0:1] offset:128
	s_mov_b32 s0, 0
	s_lshr_b32 s9, s10, 16
	s_mov_b32 s1, s0
	s_mov_b32 s2, s0
	;; [unrolled: 1-line block ×3, first 2 shown]
	v_dual_mov_b32 v10, s1 :: v_dual_mov_b32 v9, s0
	v_mad_u32_u24 v6, v0, s9, v6
	v_mov_b32_e32 v12, s3
	v_lshrrev_b32_e32 v17, 5, v8
	v_lshlrev_b32_e32 v13, 5, v8
	s_and_b32 s10, s10, 0xffff
	v_mov_b32_e32 v11, s2
	v_cmp_eq_u32_e64 s0, 0, v7
	v_cmp_lt_u32_e64 s1, 1, v7
	v_cmp_lt_u32_e64 s2, 3, v7
	;; [unrolled: 1-line block ×3, first 2 shown]
	v_or_b32_e32 v7, 31, v8
	v_mul_u32_u24_e32 v20, 0x60, v17
	v_lshlrev_b32_e32 v15, 2, v17
	v_mad_i32_i24 v17, 0xffffffe3, v8, v13
	v_cmp_gt_u32_e64 s5, 2, v8
	v_cmp_lt_u32_e64 s6, 31, v8
	v_cmp_eq_u32_e64 s7, 0, v8
	v_or_b32_e32 v14, 8, v13
	v_cmp_eq_u32_e64 s9, v7, v8
	v_lshlrev_b32_e32 v16, 2, v18
	v_or_b32_e32 v18, v4, v20
	v_add_nc_u32_e32 v19, -4, v15
	v_add_nc_u32_e32 v20, v5, v20
	v_add_nc_u32_e32 v22, v17, v8
	s_waitcnt vmcnt(2)
	v_lshlrev_b16 v1, 8, v1
	s_waitcnt vmcnt(1)
	s_delay_alu instid0(VALU_DEP_1) | instskip(SKIP_1) | instid1(VALU_DEP_2)
	v_or_b32_e32 v2, v2, v1
	v_mad_u64_u32 v[0:1], null, v6, s10, v[8:9]
	v_and_b32_e32 v1, 0xffff, v2
	s_delay_alu instid0(VALU_DEP_2) | instskip(SKIP_1) | instid1(VALU_DEP_2)
	v_lshrrev_b32_e32 v21, 5, v0
	s_waitcnt vmcnt(0)
	v_lshl_or_b32 v3, v3, 16, v1
	s_branch .LBB50_2
.LBB50_1:                               ;   in Loop: Header=BB50_2 Depth=1
	s_or_b32 exec_lo, exec_lo, s10
	s_waitcnt lgkmcnt(0)
	v_add_nc_u32_e32 v3, v34, v3
	s_add_i32 s13, s13, -1
	s_delay_alu instid0(SALU_CYCLE_1) | instskip(SKIP_3) | instid1(VALU_DEP_1)
	s_cmp_eq_u32 s13, 0
	ds_bpermute_b32 v3, v16, v3
	s_waitcnt lgkmcnt(0)
	v_cndmask_b32_e32 v3, v3, v34, vcc_lo
	v_cndmask_b32_e64 v3, v3, 0, s7
	s_delay_alu instid0(VALU_DEP_1) | instskip(NEXT) | instid1(VALU_DEP_1)
	v_add_nc_u32_e32 v4, v3, v4
	v_add_nc_u32_e32 v5, v4, v5
	s_delay_alu instid0(VALU_DEP_1) | instskip(NEXT) | instid1(VALU_DEP_1)
	v_add_nc_u32_e32 v6, v5, v6
	v_add_nc_u32_e32 v34, v6, v7
	;; [unrolled: 3-line block ×3, first 2 shown]
	s_delay_alu instid0(VALU_DEP_1)
	v_add_nc_u32_e32 v1, v0, v2
	ds_store_2addr_b64 v13, v[3:4], v[5:6] offset0:1 offset1:2
	ds_store_2addr_b64 v14, v[34:35], v[0:1] offset0:2 offset1:3
	s_waitcnt lgkmcnt(0)
	s_barrier
	buffer_gl0_inv
	ds_load_b32 v0, v27
	ds_load_b32 v1, v30
	;; [unrolled: 1-line block ×3, first 2 shown]
	s_waitcnt lgkmcnt(0)
	s_barrier
	buffer_gl0_inv
	v_add_nc_u32_e32 v0, v0, v26
	v_add3_u32 v1, v29, v28, v1
	v_add3_u32 v2, v32, v31, v2
	ds_store_b8 v0, v23
	ds_store_b8 v1, v24
	;; [unrolled: 1-line block ×3, first 2 shown]
	s_waitcnt lgkmcnt(0)
	s_barrier
	buffer_gl0_inv
	ds_load_u8 v0, v17 offset:1
	ds_load_u8 v1, v17
	ds_load_u8 v3, v17 offset:2
	s_waitcnt lgkmcnt(2)
	v_xor_b32_e32 v0, 0xffffff80, v0
	s_waitcnt lgkmcnt(1)
	v_xor_b32_e32 v2, 0xffffff80, v1
	;; [unrolled: 2-line block ×3, first 2 shown]
	v_lshlrev_b16 v3, 8, v0
	s_delay_alu instid0(VALU_DEP_3) | instskip(NEXT) | instid1(VALU_DEP_3)
	v_and_b32_e32 v4, 0xff, v2
	v_and_b32_e32 v5, 0xff, v1
	s_delay_alu instid0(VALU_DEP_2) | instskip(NEXT) | instid1(VALU_DEP_2)
	v_or_b32_e32 v3, v4, v3
	v_lshlrev_b32_e32 v4, 16, v5
	s_delay_alu instid0(VALU_DEP_2) | instskip(NEXT) | instid1(VALU_DEP_1)
	v_and_b32_e32 v3, 0xffff, v3
	v_or_b32_e32 v3, v3, v4
	s_cbranch_scc1 .LBB50_14
.LBB50_2:                               ; =>This Inner Loop Header: Depth=1
	s_delay_alu instid0(VALU_DEP_1) | instskip(SKIP_2) | instid1(VALU_DEP_3)
	v_lshrrev_b32_e32 v0, 8, v3
	v_lshrrev_b32_e32 v1, 16, v3
	v_xor_b32_e32 v2, 0x80, v3
	v_xor_b32_e32 v0, 0x80, v0
	s_delay_alu instid0(VALU_DEP_3)
	v_xor_b32_e32 v1, 0x80, v1
	ds_store_b8 v20, v2
	ds_store_b8 v20, v0 offset:1
	ds_store_b8 v20, v1 offset:2
	; wave barrier
	ds_load_u8 v23, v18
	ds_load_u8 v24, v18 offset:32
	ds_load_u8 v25, v18 offset:64
	; wave barrier
	; wave barrier
	s_waitcnt lgkmcnt(0)
	s_barrier
	buffer_gl0_inv
	ds_store_2addr_b64 v13, v[9:10], v[11:12] offset0:1 offset1:2
	ds_store_2addr_b64 v14, v[9:10], v[11:12] offset0:2 offset1:3
	s_waitcnt lgkmcnt(0)
	s_barrier
	buffer_gl0_inv
	; wave barrier
	v_and_b32_e32 v0, 1, v23
	v_lshlrev_b32_e32 v1, 30, v23
	v_lshlrev_b32_e32 v2, 29, v23
	;; [unrolled: 1-line block ×4, first 2 shown]
	v_add_co_u32 v0, s10, v0, -1
	s_delay_alu instid0(VALU_DEP_1)
	v_cndmask_b32_e64 v4, 0, 1, s10
	v_not_b32_e32 v26, v1
	v_cmp_gt_i32_e64 s11, 0, v1
	v_not_b32_e32 v1, v2
	v_lshlrev_b32_e32 v6, 26, v23
	v_cmp_ne_u32_e64 s10, 0, v4
	v_ashrrev_i32_e32 v26, 31, v26
	v_lshlrev_b32_e32 v7, 25, v23
	v_ashrrev_i32_e32 v1, 31, v1
	v_lshlrev_b32_e32 v4, 24, v23
	v_xor_b32_e32 v0, s10, v0
	v_cmp_gt_i32_e64 s10, 0, v2
	v_not_b32_e32 v2, v3
	v_xor_b32_e32 v26, s11, v26
	v_cmp_gt_i32_e64 s11, 0, v3
	v_and_b32_e32 v0, exec_lo, v0
	v_not_b32_e32 v3, v5
	v_ashrrev_i32_e32 v2, 31, v2
	v_xor_b32_e32 v1, s10, v1
	v_cmp_gt_i32_e64 s10, 0, v5
	v_and_b32_e32 v0, v0, v26
	v_not_b32_e32 v5, v6
	v_ashrrev_i32_e32 v3, 31, v3
	v_xor_b32_e32 v2, s11, v2
	v_cmp_gt_i32_e64 s11, 0, v6
	v_and_b32_e32 v0, v0, v1
	;; [unrolled: 5-line block ×4, first 2 shown]
	v_ashrrev_i32_e32 v2, 31, v2
	v_xor_b32_e32 v1, s10, v1
	s_delay_alu instid0(VALU_DEP_3) | instskip(NEXT) | instid1(VALU_DEP_3)
	v_and_b32_e32 v0, v0, v5
	v_xor_b32_e32 v2, s11, v2
	s_delay_alu instid0(VALU_DEP_2) | instskip(SKIP_1) | instid1(VALU_DEP_2)
	v_and_b32_e32 v0, v0, v1
	v_and_b32_e32 v1, 0xff, v23
	v_and_b32_e32 v0, v0, v2
	s_delay_alu instid0(VALU_DEP_2) | instskip(NEXT) | instid1(VALU_DEP_2)
	v_lshl_add_u32 v1, v1, 1, v21
	v_mbcnt_lo_u32_b32 v26, v0, 0
	v_cmp_ne_u32_e64 s11, 0, v0
	s_delay_alu instid0(VALU_DEP_3) | instskip(NEXT) | instid1(VALU_DEP_3)
	v_lshl_add_u32 v27, v1, 2, 8
	v_cmp_eq_u32_e64 s10, 0, v26
	s_delay_alu instid0(VALU_DEP_1) | instskip(NEXT) | instid1(SALU_CYCLE_1)
	s_and_b32 s11, s11, s10
	s_and_saveexec_b32 s10, s11
	s_cbranch_execz .LBB50_4
; %bb.3:                                ;   in Loop: Header=BB50_2 Depth=1
	v_bcnt_u32_b32 v0, v0, 0
	ds_store_b32 v27, v0
.LBB50_4:                               ;   in Loop: Header=BB50_2 Depth=1
	s_or_b32 exec_lo, exec_lo, s10
	v_and_b32_e32 v0, 1, v24
	v_lshlrev_b32_e32 v2, 30, v24
	v_lshlrev_b32_e32 v4, 29, v24
	;; [unrolled: 1-line block ×4, first 2 shown]
	v_add_co_u32 v0, s10, v0, -1
	s_delay_alu instid0(VALU_DEP_1)
	v_cndmask_b32_e64 v3, 0, 1, s10
	v_not_b32_e32 v7, v2
	v_cmp_gt_i32_e64 s11, 0, v2
	v_not_b32_e32 v2, v4
	v_and_b32_e32 v1, 0xff, v24
	v_cmp_ne_u32_e64 s10, 0, v3
	v_ashrrev_i32_e32 v7, 31, v7
	v_lshlrev_b32_e32 v3, 26, v24
	v_ashrrev_i32_e32 v2, 31, v2
	v_lshlrev_b32_e32 v1, 1, v1
	v_xor_b32_e32 v0, s10, v0
	v_cmp_gt_i32_e64 s10, 0, v4
	v_not_b32_e32 v4, v5
	v_xor_b32_e32 v7, s11, v7
	v_cmp_gt_i32_e64 s11, 0, v5
	v_and_b32_e32 v0, exec_lo, v0
	v_not_b32_e32 v5, v6
	v_ashrrev_i32_e32 v4, 31, v4
	v_xor_b32_e32 v2, s10, v2
	v_cmp_gt_i32_e64 s10, 0, v6
	v_and_b32_e32 v0, v0, v7
	v_lshlrev_b32_e32 v7, 25, v24
	v_ashrrev_i32_e32 v5, 31, v5
	v_xor_b32_e32 v4, s11, v4
	v_not_b32_e32 v6, v3
	v_and_b32_e32 v0, v0, v2
	v_lshlrev_b32_e32 v2, 24, v24
	v_not_b32_e32 v28, v7
	v_xor_b32_e32 v5, s10, v5
	v_cmp_gt_i32_e64 s10, 0, v3
	v_and_b32_e32 v0, v0, v4
	v_ashrrev_i32_e32 v3, 31, v6
	v_cmp_gt_i32_e64 s11, 0, v7
	v_ashrrev_i32_e32 v4, 31, v28
	v_add_lshl_u32 v1, v21, v1, 2
	v_and_b32_e32 v0, v0, v5
	v_not_b32_e32 v5, v2
	v_xor_b32_e32 v3, s10, v3
	v_xor_b32_e32 v4, s11, v4
	v_cmp_gt_i32_e64 s10, 0, v2
	s_delay_alu instid0(VALU_DEP_4) | instskip(NEXT) | instid1(VALU_DEP_4)
	v_ashrrev_i32_e32 v2, 31, v5
	v_and_b32_e32 v0, v0, v3
	; wave barrier
	ds_load_b32 v28, v1 offset:8
	v_add_nc_u32_e32 v30, 8, v1
	v_xor_b32_e32 v2, s10, v2
	v_and_b32_e32 v0, v0, v4
	; wave barrier
	s_delay_alu instid0(VALU_DEP_1) | instskip(NEXT) | instid1(VALU_DEP_1)
	v_and_b32_e32 v0, v0, v2
	v_mbcnt_lo_u32_b32 v29, v0, 0
	v_cmp_ne_u32_e64 s11, 0, v0
	s_delay_alu instid0(VALU_DEP_2) | instskip(NEXT) | instid1(VALU_DEP_1)
	v_cmp_eq_u32_e64 s10, 0, v29
	s_and_b32 s11, s11, s10
	s_delay_alu instid0(SALU_CYCLE_1)
	s_and_saveexec_b32 s10, s11
	s_cbranch_execz .LBB50_6
; %bb.5:                                ;   in Loop: Header=BB50_2 Depth=1
	s_waitcnt lgkmcnt(0)
	v_bcnt_u32_b32 v0, v0, v28
	ds_store_b32 v30, v0
.LBB50_6:                               ;   in Loop: Header=BB50_2 Depth=1
	s_or_b32 exec_lo, exec_lo, s10
	v_and_b32_e32 v0, 1, v25
	v_lshlrev_b32_e32 v2, 30, v25
	v_lshlrev_b32_e32 v4, 29, v25
	;; [unrolled: 1-line block ×4, first 2 shown]
	v_add_co_u32 v0, s10, v0, -1
	s_delay_alu instid0(VALU_DEP_1)
	v_cndmask_b32_e64 v3, 0, 1, s10
	v_not_b32_e32 v7, v2
	v_cmp_gt_i32_e64 s11, 0, v2
	v_not_b32_e32 v2, v4
	v_and_b32_e32 v1, 0xff, v25
	v_cmp_ne_u32_e64 s10, 0, v3
	v_ashrrev_i32_e32 v7, 31, v7
	v_lshlrev_b32_e32 v3, 26, v25
	v_ashrrev_i32_e32 v2, 31, v2
	v_lshlrev_b32_e32 v1, 1, v1
	v_xor_b32_e32 v0, s10, v0
	v_cmp_gt_i32_e64 s10, 0, v4
	v_not_b32_e32 v4, v5
	v_xor_b32_e32 v7, s11, v7
	v_cmp_gt_i32_e64 s11, 0, v5
	v_and_b32_e32 v0, exec_lo, v0
	v_not_b32_e32 v5, v6
	v_ashrrev_i32_e32 v4, 31, v4
	v_xor_b32_e32 v2, s10, v2
	v_cmp_gt_i32_e64 s10, 0, v6
	v_and_b32_e32 v0, v0, v7
	v_lshlrev_b32_e32 v7, 25, v25
	v_ashrrev_i32_e32 v5, 31, v5
	v_xor_b32_e32 v4, s11, v4
	v_not_b32_e32 v6, v3
	v_and_b32_e32 v0, v0, v2
	v_lshlrev_b32_e32 v2, 24, v25
	v_not_b32_e32 v31, v7
	v_xor_b32_e32 v5, s10, v5
	v_cmp_gt_i32_e64 s10, 0, v3
	v_and_b32_e32 v0, v0, v4
	v_ashrrev_i32_e32 v3, 31, v6
	v_cmp_gt_i32_e64 s11, 0, v7
	v_ashrrev_i32_e32 v4, 31, v31
	v_add_lshl_u32 v1, v21, v1, 2
	v_and_b32_e32 v0, v0, v5
	v_not_b32_e32 v5, v2
	v_xor_b32_e32 v3, s10, v3
	v_xor_b32_e32 v4, s11, v4
	v_cmp_gt_i32_e64 s10, 0, v2
	s_delay_alu instid0(VALU_DEP_4) | instskip(NEXT) | instid1(VALU_DEP_4)
	v_ashrrev_i32_e32 v2, 31, v5
	v_and_b32_e32 v0, v0, v3
	; wave barrier
	ds_load_b32 v31, v1 offset:8
	v_add_nc_u32_e32 v33, 8, v1
	v_xor_b32_e32 v2, s10, v2
	v_and_b32_e32 v0, v0, v4
	; wave barrier
	s_delay_alu instid0(VALU_DEP_1) | instskip(NEXT) | instid1(VALU_DEP_1)
	v_and_b32_e32 v0, v0, v2
	v_mbcnt_lo_u32_b32 v32, v0, 0
	v_cmp_ne_u32_e64 s11, 0, v0
	s_delay_alu instid0(VALU_DEP_2) | instskip(NEXT) | instid1(VALU_DEP_1)
	v_cmp_eq_u32_e64 s10, 0, v32
	s_and_b32 s11, s11, s10
	s_delay_alu instid0(SALU_CYCLE_1)
	s_and_saveexec_b32 s10, s11
	s_cbranch_execz .LBB50_8
; %bb.7:                                ;   in Loop: Header=BB50_2 Depth=1
	s_waitcnt lgkmcnt(0)
	v_bcnt_u32_b32 v0, v0, v31
	ds_store_b32 v33, v0
.LBB50_8:                               ;   in Loop: Header=BB50_2 Depth=1
	s_or_b32 exec_lo, exec_lo, s10
	; wave barrier
	s_waitcnt lgkmcnt(0)
	s_barrier
	buffer_gl0_inv
	ds_load_2addr_b64 v[4:7], v13 offset0:1 offset1:2
	ds_load_2addr_b64 v[0:3], v14 offset0:2 offset1:3
	s_waitcnt lgkmcnt(1)
	v_add_nc_u32_e32 v34, v5, v4
	s_delay_alu instid0(VALU_DEP_1) | instskip(SKIP_1) | instid1(VALU_DEP_1)
	v_add3_u32 v34, v34, v6, v7
	s_waitcnt lgkmcnt(0)
	v_add3_u32 v34, v34, v0, v1
	s_delay_alu instid0(VALU_DEP_1) | instskip(NEXT) | instid1(VALU_DEP_1)
	v_add3_u32 v3, v34, v2, v3
	v_mov_b32_dpp v34, v3 row_shr:1 row_mask:0xf bank_mask:0xf
	s_delay_alu instid0(VALU_DEP_1) | instskip(NEXT) | instid1(VALU_DEP_1)
	v_cndmask_b32_e64 v34, v34, 0, s0
	v_add_nc_u32_e32 v3, v34, v3
	s_delay_alu instid0(VALU_DEP_1) | instskip(NEXT) | instid1(VALU_DEP_1)
	v_mov_b32_dpp v34, v3 row_shr:2 row_mask:0xf bank_mask:0xf
	v_cndmask_b32_e64 v34, 0, v34, s1
	s_delay_alu instid0(VALU_DEP_1) | instskip(NEXT) | instid1(VALU_DEP_1)
	v_add_nc_u32_e32 v3, v3, v34
	v_mov_b32_dpp v34, v3 row_shr:4 row_mask:0xf bank_mask:0xf
	s_delay_alu instid0(VALU_DEP_1) | instskip(NEXT) | instid1(VALU_DEP_1)
	v_cndmask_b32_e64 v34, 0, v34, s2
	v_add_nc_u32_e32 v3, v3, v34
	s_delay_alu instid0(VALU_DEP_1) | instskip(NEXT) | instid1(VALU_DEP_1)
	v_mov_b32_dpp v34, v3 row_shr:8 row_mask:0xf bank_mask:0xf
	v_cndmask_b32_e64 v34, 0, v34, s3
	s_delay_alu instid0(VALU_DEP_1) | instskip(SKIP_3) | instid1(VALU_DEP_1)
	v_add_nc_u32_e32 v3, v3, v34
	ds_swizzle_b32 v34, v3 offset:swizzle(BROADCAST,32,15)
	s_waitcnt lgkmcnt(0)
	v_cndmask_b32_e64 v34, v34, 0, s4
	v_add_nc_u32_e32 v3, v3, v34
	s_and_saveexec_b32 s10, s9
	s_cbranch_execz .LBB50_10
; %bb.9:                                ;   in Loop: Header=BB50_2 Depth=1
	ds_store_b32 v15, v3
.LBB50_10:                              ;   in Loop: Header=BB50_2 Depth=1
	s_or_b32 exec_lo, exec_lo, s10
	s_waitcnt lgkmcnt(0)
	s_barrier
	buffer_gl0_inv
	s_and_saveexec_b32 s10, s5
	s_cbranch_execz .LBB50_12
; %bb.11:                               ;   in Loop: Header=BB50_2 Depth=1
	ds_load_b32 v34, v22
	s_waitcnt lgkmcnt(0)
	v_mov_b32_dpp v35, v34 row_shr:1 row_mask:0xf bank_mask:0xf
	s_delay_alu instid0(VALU_DEP_1) | instskip(NEXT) | instid1(VALU_DEP_1)
	v_cndmask_b32_e64 v35, v35, 0, s8
	v_add_nc_u32_e32 v34, v35, v34
	ds_store_b32 v22, v34
.LBB50_12:                              ;   in Loop: Header=BB50_2 Depth=1
	s_or_b32 exec_lo, exec_lo, s10
	v_mov_b32_e32 v34, 0
	s_waitcnt lgkmcnt(0)
	s_barrier
	buffer_gl0_inv
	s_and_saveexec_b32 s10, s6
	s_cbranch_execz .LBB50_1
; %bb.13:                               ;   in Loop: Header=BB50_2 Depth=1
	ds_load_b32 v34, v19
	s_branch .LBB50_1
.LBB50_14:
	s_add_u32 s0, s18, s12
	s_addc_u32 s1, s19, 0
	v_add_co_u32 v3, s0, s0, v8
	s_delay_alu instid0(VALU_DEP_1)
	v_add_co_ci_u32_e64 v4, null, s1, 0, s0
	s_clause 0x2
	global_store_b8 v[3:4], v2, off
	global_store_b8 v[3:4], v0, off offset:64
	global_store_b8 v[3:4], v1, off offset:128
	s_nop 0
	s_sendmsg sendmsg(MSG_DEALLOC_VGPRS)
	s_endpgm
	.section	.rodata,"a",@progbits
	.p2align	6, 0x0
	.amdhsa_kernel _Z16sort_keys_kernelI22helper_blocked_blockedaLj64ELj3ELj10EEvPKT0_PS1_
		.amdhsa_group_segment_fixed_size 2064
		.amdhsa_private_segment_fixed_size 0
		.amdhsa_kernarg_size 272
		.amdhsa_user_sgpr_count 15
		.amdhsa_user_sgpr_dispatch_ptr 0
		.amdhsa_user_sgpr_queue_ptr 0
		.amdhsa_user_sgpr_kernarg_segment_ptr 1
		.amdhsa_user_sgpr_dispatch_id 0
		.amdhsa_user_sgpr_private_segment_size 0
		.amdhsa_wavefront_size32 1
		.amdhsa_uses_dynamic_stack 0
		.amdhsa_enable_private_segment 0
		.amdhsa_system_sgpr_workgroup_id_x 1
		.amdhsa_system_sgpr_workgroup_id_y 0
		.amdhsa_system_sgpr_workgroup_id_z 0
		.amdhsa_system_sgpr_workgroup_info 0
		.amdhsa_system_vgpr_workitem_id 2
		.amdhsa_next_free_vgpr 36
		.amdhsa_next_free_sgpr 20
		.amdhsa_reserve_vcc 1
		.amdhsa_float_round_mode_32 0
		.amdhsa_float_round_mode_16_64 0
		.amdhsa_float_denorm_mode_32 3
		.amdhsa_float_denorm_mode_16_64 3
		.amdhsa_dx10_clamp 1
		.amdhsa_ieee_mode 1
		.amdhsa_fp16_overflow 0
		.amdhsa_workgroup_processor_mode 1
		.amdhsa_memory_ordered 1
		.amdhsa_forward_progress 0
		.amdhsa_shared_vgpr_count 0
		.amdhsa_exception_fp_ieee_invalid_op 0
		.amdhsa_exception_fp_denorm_src 0
		.amdhsa_exception_fp_ieee_div_zero 0
		.amdhsa_exception_fp_ieee_overflow 0
		.amdhsa_exception_fp_ieee_underflow 0
		.amdhsa_exception_fp_ieee_inexact 0
		.amdhsa_exception_int_div_zero 0
	.end_amdhsa_kernel
	.section	.text._Z16sort_keys_kernelI22helper_blocked_blockedaLj64ELj3ELj10EEvPKT0_PS1_,"axG",@progbits,_Z16sort_keys_kernelI22helper_blocked_blockedaLj64ELj3ELj10EEvPKT0_PS1_,comdat
.Lfunc_end50:
	.size	_Z16sort_keys_kernelI22helper_blocked_blockedaLj64ELj3ELj10EEvPKT0_PS1_, .Lfunc_end50-_Z16sort_keys_kernelI22helper_blocked_blockedaLj64ELj3ELj10EEvPKT0_PS1_
                                        ; -- End function
	.section	.AMDGPU.csdata,"",@progbits
; Kernel info:
; codeLenInByte = 2316
; NumSgprs: 22
; NumVgprs: 36
; ScratchSize: 0
; MemoryBound: 0
; FloatMode: 240
; IeeeMode: 1
; LDSByteSize: 2064 bytes/workgroup (compile time only)
; SGPRBlocks: 2
; VGPRBlocks: 4
; NumSGPRsForWavesPerEU: 22
; NumVGPRsForWavesPerEU: 36
; Occupancy: 16
; WaveLimiterHint : 0
; COMPUTE_PGM_RSRC2:SCRATCH_EN: 0
; COMPUTE_PGM_RSRC2:USER_SGPR: 15
; COMPUTE_PGM_RSRC2:TRAP_HANDLER: 0
; COMPUTE_PGM_RSRC2:TGID_X_EN: 1
; COMPUTE_PGM_RSRC2:TGID_Y_EN: 0
; COMPUTE_PGM_RSRC2:TGID_Z_EN: 0
; COMPUTE_PGM_RSRC2:TIDIG_COMP_CNT: 2
	.section	.text._Z17sort_pairs_kernelI22helper_blocked_blockedaLj64ELj3ELj10EEvPKT0_PS1_,"axG",@progbits,_Z17sort_pairs_kernelI22helper_blocked_blockedaLj64ELj3ELj10EEvPKT0_PS1_,comdat
	.protected	_Z17sort_pairs_kernelI22helper_blocked_blockedaLj64ELj3ELj10EEvPKT0_PS1_ ; -- Begin function _Z17sort_pairs_kernelI22helper_blocked_blockedaLj64ELj3ELj10EEvPKT0_PS1_
	.globl	_Z17sort_pairs_kernelI22helper_blocked_blockedaLj64ELj3ELj10EEvPKT0_PS1_
	.p2align	8
	.type	_Z17sort_pairs_kernelI22helper_blocked_blockedaLj64ELj3ELj10EEvPKT0_PS1_,@function
_Z17sort_pairs_kernelI22helper_blocked_blockedaLj64ELj3ELj10EEvPKT0_PS1_: ; @_Z17sort_pairs_kernelI22helper_blocked_blockedaLj64ELj3ELj10EEvPKT0_PS1_
; %bb.0:
	s_clause 0x1
	s_load_b128 s[16:19], s[0:1], 0x0
	s_load_b32 s10, s[0:1], 0x1c
	s_mul_i32 s12, s15, 0xc0
	v_and_b32_e32 v8, 0x3ff, v0
	v_mbcnt_lo_u32_b32 v4, -1, 0
	v_bfe_u32 v6, v0, 10, 10
	v_bfe_u32 v0, v0, 20, 10
	s_mov_b32 s13, 10
	s_delay_alu instid0(VALU_DEP_3)
	v_add_nc_u32_e32 v15, -1, v4
	v_and_b32_e32 v16, 1, v4
	v_mul_u32_u24_e32 v5, 3, v4
	v_and_b32_e32 v14, 16, v4
	v_cmp_eq_u32_e32 vcc_lo, 0, v4
	v_cmp_gt_i32_e64 s7, 0, v15
	v_cmp_eq_u32_e64 s8, 0, v16
	v_and_b32_e32 v7, 15, v4
	v_cmp_eq_u32_e64 s4, 0, v14
	s_delay_alu instid0(VALU_DEP_4)
	v_cndmask_b32_e64 v15, v15, v4, s7
	s_waitcnt lgkmcnt(0)
	s_add_u32 s0, s16, s12
	s_addc_u32 s1, s17, 0
	s_clause 0x2
	global_load_u8 v2, v8, s[0:1]
	global_load_u8 v1, v8, s[0:1] offset:64
	global_load_u8 v3, v8, s[0:1] offset:128
	s_mov_b32 s0, 0
	s_lshr_b32 s11, s10, 16
	s_mov_b32 s3, s0
	s_mov_b32 s2, s0
	v_mov_b32_e32 v12, s3
	s_mov_b32 s1, s0
	s_delay_alu instid0(SALU_CYCLE_1)
	v_dual_mov_b32 v11, s2 :: v_dual_mov_b32 v10, s1
	v_mov_b32_e32 v9, s0
	v_cmp_eq_u32_e64 s0, 0, v7
	v_cmp_lt_u32_e64 s1, 1, v7
	v_cmp_lt_u32_e64 s2, 3, v7
	v_cmp_lt_u32_e64 s3, 7, v7
	v_or_b32_e32 v7, 31, v8
	v_mad_u32_u24 v6, v0, s11, v6
	v_lshrrev_b32_e32 v17, 5, v8
	s_and_b32 s10, s10, 0xffff
	v_lshlrev_b32_e32 v13, 5, v8
	v_cmp_eq_u32_e64 s9, v7, v8
	v_cmp_gt_u32_e64 s5, 2, v8
	v_mul_u32_u24_e32 v20, 0x60, v17
	v_lshlrev_b32_e32 v17, 2, v17
	v_mad_i32_i24 v16, 0xffffffe3, v8, v13
	v_cmp_lt_u32_e64 s6, 31, v8
	v_cmp_eq_u32_e64 s7, 0, v8
	v_or_b32_e32 v14, 8, v13
	v_lshlrev_b32_e32 v15, 2, v15
	v_add_nc_u32_e32 v22, v16, v8
	s_waitcnt vmcnt(2)
	v_add_nc_u16 v7, v2, 1
	s_waitcnt vmcnt(1)
	v_lshlrev_b16 v18, 8, v1
	s_delay_alu instid0(VALU_DEP_2) | instskip(SKIP_3) | instid1(VALU_DEP_3)
	v_and_b32_e32 v1, 0xff, v7
	s_waitcnt vmcnt(0)
	v_add_nc_u16 v7, v3, 1
	v_lshlrev_b32_e32 v3, 16, v3
	v_or_b32_e32 v19, v18, v1
	v_mad_u64_u32 v[0:1], null, v6, s10, v[8:9]
	v_or_b32_e32 v1, v2, v18
	v_and_b32_e32 v2, 0xff, v7
	s_delay_alu instid0(VALU_DEP_4)
	v_add_nc_u16 v6, v19, 0x100
	v_or_b32_e32 v18, v4, v20
	v_add_nc_u32_e32 v19, -4, v17
	v_and_b32_e32 v1, 0xffff, v1
	v_lshlrev_b32_e32 v2, 16, v2
	v_and_b32_e32 v4, 0xffff, v6
	v_add_nc_u32_e32 v20, v5, v20
	v_lshrrev_b32_e32 v21, 5, v0
	v_or_b32_e32 v7, v1, v3
	s_delay_alu instid0(VALU_DEP_4)
	v_or_b32_e32 v0, v4, v2
	s_branch .LBB51_2
.LBB51_1:                               ;   in Loop: Header=BB51_2 Depth=1
	s_or_b32 exec_lo, exec_lo, s10
	s_waitcnt lgkmcnt(0)
	v_add_nc_u32_e32 v3, v37, v3
	s_add_i32 s13, s13, -1
	s_delay_alu instid0(SALU_CYCLE_1) | instskip(SKIP_3) | instid1(VALU_DEP_1)
	s_cmp_eq_u32 s13, 0
	ds_bpermute_b32 v3, v15, v3
	s_waitcnt lgkmcnt(0)
	v_cndmask_b32_e32 v3, v3, v37, vcc_lo
	v_cndmask_b32_e64 v3, v3, 0, s7
	s_delay_alu instid0(VALU_DEP_1) | instskip(NEXT) | instid1(VALU_DEP_1)
	v_add_nc_u32_e32 v4, v3, v4
	v_add_nc_u32_e32 v5, v4, v5
	s_delay_alu instid0(VALU_DEP_1) | instskip(NEXT) | instid1(VALU_DEP_1)
	v_add_nc_u32_e32 v6, v5, v6
	v_add_nc_u32_e32 v37, v6, v7
	s_delay_alu instid0(VALU_DEP_1) | instskip(NEXT) | instid1(VALU_DEP_1)
	v_add_nc_u32_e32 v38, v37, v0
	v_add_nc_u32_e32 v0, v38, v1
	s_delay_alu instid0(VALU_DEP_1)
	v_add_nc_u32_e32 v1, v0, v2
	ds_store_2addr_b64 v13, v[3:4], v[5:6] offset0:1 offset1:2
	ds_store_2addr_b64 v14, v[37:38], v[0:1] offset0:2 offset1:3
	s_waitcnt lgkmcnt(0)
	s_barrier
	buffer_gl0_inv
	ds_load_b32 v0, v30
	ds_load_b32 v1, v33
	ds_load_b32 v2, v36
	s_waitcnt lgkmcnt(0)
	s_barrier
	buffer_gl0_inv
	v_add_nc_u32_e32 v0, v0, v29
	v_add3_u32 v1, v32, v31, v1
	v_add3_u32 v2, v35, v34, v2
	ds_store_b8 v0, v23
	ds_store_b8 v1, v24
	;; [unrolled: 1-line block ×3, first 2 shown]
	s_waitcnt lgkmcnt(0)
	s_barrier
	buffer_gl0_inv
	ds_load_u8 v5, v16
	ds_load_u8 v4, v16 offset:1
	ds_load_u8 v7, v16 offset:2
	s_waitcnt lgkmcnt(0)
	s_barrier
	buffer_gl0_inv
	ds_store_b8 v0, v26
	ds_store_b8 v1, v27
	;; [unrolled: 1-line block ×3, first 2 shown]
	s_waitcnt lgkmcnt(0)
	s_barrier
	buffer_gl0_inv
	ds_load_u8 v1, v16 offset:1
	ds_load_u8 v3, v16
	ds_load_u8 v2, v16 offset:2
	v_xor_b32_e32 v6, 0xffffff80, v5
	v_xor_b32_e32 v4, 0xffffff80, v4
	;; [unrolled: 1-line block ×3, first 2 shown]
	s_delay_alu instid0(VALU_DEP_3) | instskip(NEXT) | instid1(VALU_DEP_3)
	v_and_b32_e32 v23, 0xff, v6
	v_lshlrev_b16 v7, 8, v4
	s_delay_alu instid0(VALU_DEP_3) | instskip(SKIP_2) | instid1(VALU_DEP_3)
	v_and_b32_e32 v24, 0xff, v5
	s_waitcnt lgkmcnt(2)
	v_lshlrev_b16 v0, 8, v1
	v_or_b32_e32 v7, v23, v7
	s_waitcnt lgkmcnt(0)
	v_lshlrev_b32_e32 v23, 16, v2
	s_delay_alu instid0(VALU_DEP_3) | instskip(SKIP_2) | instid1(VALU_DEP_3)
	v_or_b32_e32 v0, v3, v0
	v_lshlrev_b32_e32 v24, 16, v24
	v_and_b32_e32 v7, 0xffff, v7
	v_and_b32_e32 v0, 0xffff, v0
	s_delay_alu instid0(VALU_DEP_2) | instskip(NEXT) | instid1(VALU_DEP_2)
	v_or_b32_e32 v7, v7, v24
	v_or_b32_e32 v0, v0, v23
	s_cbranch_scc1 .LBB51_14
.LBB51_2:                               ; =>This Inner Loop Header: Depth=1
	s_delay_alu instid0(VALU_DEP_2) | instskip(SKIP_2) | instid1(VALU_DEP_3)
	v_lshrrev_b32_e32 v1, 8, v7
	v_lshrrev_b32_e32 v2, 16, v7
	v_xor_b32_e32 v3, 0x80, v7
	v_xor_b32_e32 v1, 0x80, v1
	s_delay_alu instid0(VALU_DEP_3)
	v_xor_b32_e32 v2, 0x80, v2
	ds_store_b8 v20, v3
	ds_store_b8 v20, v1 offset:1
	ds_store_b8 v20, v2 offset:2
	; wave barrier
	ds_load_u8 v23, v18
	v_lshrrev_b32_e32 v1, 8, v0
	ds_load_u8 v24, v18 offset:32
	ds_load_u8 v25, v18 offset:64
	; wave barrier
	ds_store_b8 v20, v0
	ds_store_b8 v20, v1 offset:1
	ds_store_b8_d16_hi v20, v0 offset:2
	; wave barrier
	s_waitcnt lgkmcnt(5)
	v_and_b32_e32 v2, 1, v23
	v_lshlrev_b32_e32 v3, 30, v23
	v_lshlrev_b32_e32 v4, 29, v23
	;; [unrolled: 1-line block ×4, first 2 shown]
	v_add_co_u32 v2, s10, v2, -1
	s_delay_alu instid0(VALU_DEP_1)
	v_cndmask_b32_e64 v6, 0, 1, s10
	v_not_b32_e32 v28, v3
	v_cmp_gt_i32_e64 s11, 0, v3
	v_not_b32_e32 v3, v4
	v_lshlrev_b32_e32 v26, 26, v23
	v_cmp_ne_u32_e64 s10, 0, v6
	v_ashrrev_i32_e32 v28, 31, v28
	v_lshlrev_b32_e32 v27, 25, v23
	v_ashrrev_i32_e32 v3, 31, v3
	v_lshlrev_b32_e32 v6, 24, v23
	v_xor_b32_e32 v2, s10, v2
	v_cmp_gt_i32_e64 s10, 0, v4
	v_not_b32_e32 v4, v5
	v_xor_b32_e32 v28, s11, v28
	v_cmp_gt_i32_e64 s11, 0, v5
	v_and_b32_e32 v2, exec_lo, v2
	v_not_b32_e32 v5, v7
	v_ashrrev_i32_e32 v4, 31, v4
	v_xor_b32_e32 v3, s10, v3
	v_cmp_gt_i32_e64 s10, 0, v7
	v_and_b32_e32 v2, v2, v28
	v_not_b32_e32 v7, v26
	v_ashrrev_i32_e32 v5, 31, v5
	v_xor_b32_e32 v4, s11, v4
	v_cmp_gt_i32_e64 s11, 0, v26
	v_and_b32_e32 v2, v2, v3
	;; [unrolled: 5-line block ×4, first 2 shown]
	v_ashrrev_i32_e32 v4, 31, v4
	v_xor_b32_e32 v3, s10, v3
	ds_load_u8 v26, v18
	ds_load_u8 v27, v18 offset:32
	ds_load_u8 v28, v18 offset:64
	s_waitcnt lgkmcnt(0)
	v_and_b32_e32 v2, v2, v7
	v_xor_b32_e32 v0, s11, v4
	s_barrier
	buffer_gl0_inv
	ds_store_2addr_b64 v13, v[9:10], v[11:12] offset0:1 offset1:2
	ds_store_2addr_b64 v14, v[9:10], v[11:12] offset0:2 offset1:3
	v_and_b32_e32 v1, v2, v3
	s_waitcnt lgkmcnt(0)
	s_barrier
	buffer_gl0_inv
	v_and_b32_e32 v0, v1, v0
	v_and_b32_e32 v1, 0xff, v23
	; wave barrier
	s_delay_alu instid0(VALU_DEP_2) | instskip(NEXT) | instid1(VALU_DEP_2)
	v_mbcnt_lo_u32_b32 v29, v0, 0
	v_lshl_add_u32 v1, v1, 1, v21
	v_cmp_ne_u32_e64 s11, 0, v0
	s_delay_alu instid0(VALU_DEP_3) | instskip(NEXT) | instid1(VALU_DEP_3)
	v_cmp_eq_u32_e64 s10, 0, v29
	v_lshl_add_u32 v30, v1, 2, 8
	s_delay_alu instid0(VALU_DEP_2) | instskip(NEXT) | instid1(SALU_CYCLE_1)
	s_and_b32 s11, s11, s10
	s_and_saveexec_b32 s10, s11
	s_cbranch_execz .LBB51_4
; %bb.3:                                ;   in Loop: Header=BB51_2 Depth=1
	v_bcnt_u32_b32 v0, v0, 0
	ds_store_b32 v30, v0
.LBB51_4:                               ;   in Loop: Header=BB51_2 Depth=1
	s_or_b32 exec_lo, exec_lo, s10
	v_and_b32_e32 v0, 1, v24
	v_lshlrev_b32_e32 v2, 30, v24
	v_lshlrev_b32_e32 v4, 29, v24
	;; [unrolled: 1-line block ×4, first 2 shown]
	v_add_co_u32 v0, s10, v0, -1
	s_delay_alu instid0(VALU_DEP_1)
	v_cndmask_b32_e64 v3, 0, 1, s10
	v_not_b32_e32 v7, v2
	v_cmp_gt_i32_e64 s11, 0, v2
	v_not_b32_e32 v2, v4
	v_and_b32_e32 v1, 0xff, v24
	v_cmp_ne_u32_e64 s10, 0, v3
	v_ashrrev_i32_e32 v7, 31, v7
	v_lshlrev_b32_e32 v3, 26, v24
	v_ashrrev_i32_e32 v2, 31, v2
	v_lshlrev_b32_e32 v1, 1, v1
	v_xor_b32_e32 v0, s10, v0
	v_cmp_gt_i32_e64 s10, 0, v4
	v_not_b32_e32 v4, v5
	v_xor_b32_e32 v7, s11, v7
	v_cmp_gt_i32_e64 s11, 0, v5
	v_and_b32_e32 v0, exec_lo, v0
	v_not_b32_e32 v5, v6
	v_ashrrev_i32_e32 v4, 31, v4
	v_xor_b32_e32 v2, s10, v2
	v_cmp_gt_i32_e64 s10, 0, v6
	v_and_b32_e32 v0, v0, v7
	v_lshlrev_b32_e32 v7, 25, v24
	v_ashrrev_i32_e32 v5, 31, v5
	v_xor_b32_e32 v4, s11, v4
	v_not_b32_e32 v6, v3
	v_and_b32_e32 v0, v0, v2
	v_lshlrev_b32_e32 v2, 24, v24
	v_not_b32_e32 v31, v7
	v_xor_b32_e32 v5, s10, v5
	v_cmp_gt_i32_e64 s10, 0, v3
	v_and_b32_e32 v0, v0, v4
	v_ashrrev_i32_e32 v3, 31, v6
	v_cmp_gt_i32_e64 s11, 0, v7
	v_ashrrev_i32_e32 v4, 31, v31
	v_add_lshl_u32 v1, v21, v1, 2
	v_and_b32_e32 v0, v0, v5
	v_not_b32_e32 v5, v2
	v_xor_b32_e32 v3, s10, v3
	v_xor_b32_e32 v4, s11, v4
	v_cmp_gt_i32_e64 s10, 0, v2
	s_delay_alu instid0(VALU_DEP_4) | instskip(NEXT) | instid1(VALU_DEP_4)
	v_ashrrev_i32_e32 v2, 31, v5
	v_and_b32_e32 v0, v0, v3
	; wave barrier
	ds_load_b32 v31, v1 offset:8
	v_add_nc_u32_e32 v33, 8, v1
	v_xor_b32_e32 v2, s10, v2
	v_and_b32_e32 v0, v0, v4
	; wave barrier
	s_delay_alu instid0(VALU_DEP_1) | instskip(NEXT) | instid1(VALU_DEP_1)
	v_and_b32_e32 v0, v0, v2
	v_mbcnt_lo_u32_b32 v32, v0, 0
	v_cmp_ne_u32_e64 s11, 0, v0
	s_delay_alu instid0(VALU_DEP_2) | instskip(NEXT) | instid1(VALU_DEP_1)
	v_cmp_eq_u32_e64 s10, 0, v32
	s_and_b32 s11, s11, s10
	s_delay_alu instid0(SALU_CYCLE_1)
	s_and_saveexec_b32 s10, s11
	s_cbranch_execz .LBB51_6
; %bb.5:                                ;   in Loop: Header=BB51_2 Depth=1
	s_waitcnt lgkmcnt(0)
	v_bcnt_u32_b32 v0, v0, v31
	ds_store_b32 v33, v0
.LBB51_6:                               ;   in Loop: Header=BB51_2 Depth=1
	s_or_b32 exec_lo, exec_lo, s10
	v_and_b32_e32 v0, 1, v25
	v_lshlrev_b32_e32 v2, 30, v25
	v_lshlrev_b32_e32 v4, 29, v25
	;; [unrolled: 1-line block ×4, first 2 shown]
	v_add_co_u32 v0, s10, v0, -1
	s_delay_alu instid0(VALU_DEP_1)
	v_cndmask_b32_e64 v3, 0, 1, s10
	v_not_b32_e32 v7, v2
	v_cmp_gt_i32_e64 s11, 0, v2
	v_not_b32_e32 v2, v4
	v_and_b32_e32 v1, 0xff, v25
	v_cmp_ne_u32_e64 s10, 0, v3
	v_ashrrev_i32_e32 v7, 31, v7
	v_lshlrev_b32_e32 v3, 26, v25
	v_ashrrev_i32_e32 v2, 31, v2
	v_lshlrev_b32_e32 v1, 1, v1
	v_xor_b32_e32 v0, s10, v0
	v_cmp_gt_i32_e64 s10, 0, v4
	v_not_b32_e32 v4, v5
	v_xor_b32_e32 v7, s11, v7
	v_cmp_gt_i32_e64 s11, 0, v5
	v_and_b32_e32 v0, exec_lo, v0
	v_not_b32_e32 v5, v6
	v_ashrrev_i32_e32 v4, 31, v4
	v_xor_b32_e32 v2, s10, v2
	v_cmp_gt_i32_e64 s10, 0, v6
	v_and_b32_e32 v0, v0, v7
	v_lshlrev_b32_e32 v7, 25, v25
	v_ashrrev_i32_e32 v5, 31, v5
	v_xor_b32_e32 v4, s11, v4
	v_not_b32_e32 v6, v3
	v_and_b32_e32 v0, v0, v2
	v_lshlrev_b32_e32 v2, 24, v25
	v_not_b32_e32 v34, v7
	v_xor_b32_e32 v5, s10, v5
	v_cmp_gt_i32_e64 s10, 0, v3
	v_and_b32_e32 v0, v0, v4
	v_ashrrev_i32_e32 v3, 31, v6
	v_cmp_gt_i32_e64 s11, 0, v7
	v_ashrrev_i32_e32 v4, 31, v34
	v_add_lshl_u32 v1, v21, v1, 2
	v_and_b32_e32 v0, v0, v5
	v_not_b32_e32 v5, v2
	v_xor_b32_e32 v3, s10, v3
	v_xor_b32_e32 v4, s11, v4
	v_cmp_gt_i32_e64 s10, 0, v2
	s_delay_alu instid0(VALU_DEP_4) | instskip(NEXT) | instid1(VALU_DEP_4)
	v_ashrrev_i32_e32 v2, 31, v5
	v_and_b32_e32 v0, v0, v3
	; wave barrier
	ds_load_b32 v34, v1 offset:8
	v_add_nc_u32_e32 v36, 8, v1
	v_xor_b32_e32 v2, s10, v2
	v_and_b32_e32 v0, v0, v4
	; wave barrier
	s_delay_alu instid0(VALU_DEP_1) | instskip(NEXT) | instid1(VALU_DEP_1)
	v_and_b32_e32 v0, v0, v2
	v_mbcnt_lo_u32_b32 v35, v0, 0
	v_cmp_ne_u32_e64 s11, 0, v0
	s_delay_alu instid0(VALU_DEP_2) | instskip(NEXT) | instid1(VALU_DEP_1)
	v_cmp_eq_u32_e64 s10, 0, v35
	s_and_b32 s11, s11, s10
	s_delay_alu instid0(SALU_CYCLE_1)
	s_and_saveexec_b32 s10, s11
	s_cbranch_execz .LBB51_8
; %bb.7:                                ;   in Loop: Header=BB51_2 Depth=1
	s_waitcnt lgkmcnt(0)
	v_bcnt_u32_b32 v0, v0, v34
	ds_store_b32 v36, v0
.LBB51_8:                               ;   in Loop: Header=BB51_2 Depth=1
	s_or_b32 exec_lo, exec_lo, s10
	; wave barrier
	s_waitcnt lgkmcnt(0)
	s_barrier
	buffer_gl0_inv
	ds_load_2addr_b64 v[4:7], v13 offset0:1 offset1:2
	ds_load_2addr_b64 v[0:3], v14 offset0:2 offset1:3
	s_waitcnt lgkmcnt(1)
	v_add_nc_u32_e32 v37, v5, v4
	s_delay_alu instid0(VALU_DEP_1) | instskip(SKIP_1) | instid1(VALU_DEP_1)
	v_add3_u32 v37, v37, v6, v7
	s_waitcnt lgkmcnt(0)
	v_add3_u32 v37, v37, v0, v1
	s_delay_alu instid0(VALU_DEP_1) | instskip(NEXT) | instid1(VALU_DEP_1)
	v_add3_u32 v3, v37, v2, v3
	v_mov_b32_dpp v37, v3 row_shr:1 row_mask:0xf bank_mask:0xf
	s_delay_alu instid0(VALU_DEP_1) | instskip(NEXT) | instid1(VALU_DEP_1)
	v_cndmask_b32_e64 v37, v37, 0, s0
	v_add_nc_u32_e32 v3, v37, v3
	s_delay_alu instid0(VALU_DEP_1) | instskip(NEXT) | instid1(VALU_DEP_1)
	v_mov_b32_dpp v37, v3 row_shr:2 row_mask:0xf bank_mask:0xf
	v_cndmask_b32_e64 v37, 0, v37, s1
	s_delay_alu instid0(VALU_DEP_1) | instskip(NEXT) | instid1(VALU_DEP_1)
	v_add_nc_u32_e32 v3, v3, v37
	v_mov_b32_dpp v37, v3 row_shr:4 row_mask:0xf bank_mask:0xf
	s_delay_alu instid0(VALU_DEP_1) | instskip(NEXT) | instid1(VALU_DEP_1)
	v_cndmask_b32_e64 v37, 0, v37, s2
	v_add_nc_u32_e32 v3, v3, v37
	s_delay_alu instid0(VALU_DEP_1) | instskip(NEXT) | instid1(VALU_DEP_1)
	v_mov_b32_dpp v37, v3 row_shr:8 row_mask:0xf bank_mask:0xf
	v_cndmask_b32_e64 v37, 0, v37, s3
	s_delay_alu instid0(VALU_DEP_1) | instskip(SKIP_3) | instid1(VALU_DEP_1)
	v_add_nc_u32_e32 v3, v3, v37
	ds_swizzle_b32 v37, v3 offset:swizzle(BROADCAST,32,15)
	s_waitcnt lgkmcnt(0)
	v_cndmask_b32_e64 v37, v37, 0, s4
	v_add_nc_u32_e32 v3, v3, v37
	s_and_saveexec_b32 s10, s9
	s_cbranch_execz .LBB51_10
; %bb.9:                                ;   in Loop: Header=BB51_2 Depth=1
	ds_store_b32 v17, v3
.LBB51_10:                              ;   in Loop: Header=BB51_2 Depth=1
	s_or_b32 exec_lo, exec_lo, s10
	s_waitcnt lgkmcnt(0)
	s_barrier
	buffer_gl0_inv
	s_and_saveexec_b32 s10, s5
	s_cbranch_execz .LBB51_12
; %bb.11:                               ;   in Loop: Header=BB51_2 Depth=1
	ds_load_b32 v37, v22
	s_waitcnt lgkmcnt(0)
	v_mov_b32_dpp v38, v37 row_shr:1 row_mask:0xf bank_mask:0xf
	s_delay_alu instid0(VALU_DEP_1) | instskip(NEXT) | instid1(VALU_DEP_1)
	v_cndmask_b32_e64 v38, v38, 0, s8
	v_add_nc_u32_e32 v37, v38, v37
	ds_store_b32 v22, v37
.LBB51_12:                              ;   in Loop: Header=BB51_2 Depth=1
	s_or_b32 exec_lo, exec_lo, s10
	v_mov_b32_e32 v37, 0
	s_waitcnt lgkmcnt(0)
	s_barrier
	buffer_gl0_inv
	s_and_saveexec_b32 s10, s6
	s_cbranch_execz .LBB51_1
; %bb.13:                               ;   in Loop: Header=BB51_2 Depth=1
	ds_load_b32 v37, v19
	s_branch .LBB51_1
.LBB51_14:
	s_add_u32 s0, s18, s12
	v_add_nc_u16 v0, v6, v3
	s_addc_u32 s1, s19, 0
	v_add_co_u32 v6, s0, s0, v8
	s_delay_alu instid0(VALU_DEP_1)
	v_add_co_ci_u32_e64 v7, null, s1, 0, s0
	v_add_nc_u16 v1, v4, v1
	v_add_nc_u16 v2, v5, v2
	s_clause 0x2
	global_store_b8 v[6:7], v0, off
	global_store_b8 v[6:7], v1, off offset:64
	global_store_b8 v[6:7], v2, off offset:128
	s_nop 0
	s_sendmsg sendmsg(MSG_DEALLOC_VGPRS)
	s_endpgm
	.section	.rodata,"a",@progbits
	.p2align	6, 0x0
	.amdhsa_kernel _Z17sort_pairs_kernelI22helper_blocked_blockedaLj64ELj3ELj10EEvPKT0_PS1_
		.amdhsa_group_segment_fixed_size 2064
		.amdhsa_private_segment_fixed_size 0
		.amdhsa_kernarg_size 272
		.amdhsa_user_sgpr_count 15
		.amdhsa_user_sgpr_dispatch_ptr 0
		.amdhsa_user_sgpr_queue_ptr 0
		.amdhsa_user_sgpr_kernarg_segment_ptr 1
		.amdhsa_user_sgpr_dispatch_id 0
		.amdhsa_user_sgpr_private_segment_size 0
		.amdhsa_wavefront_size32 1
		.amdhsa_uses_dynamic_stack 0
		.amdhsa_enable_private_segment 0
		.amdhsa_system_sgpr_workgroup_id_x 1
		.amdhsa_system_sgpr_workgroup_id_y 0
		.amdhsa_system_sgpr_workgroup_id_z 0
		.amdhsa_system_sgpr_workgroup_info 0
		.amdhsa_system_vgpr_workitem_id 2
		.amdhsa_next_free_vgpr 39
		.amdhsa_next_free_sgpr 20
		.amdhsa_reserve_vcc 1
		.amdhsa_float_round_mode_32 0
		.amdhsa_float_round_mode_16_64 0
		.amdhsa_float_denorm_mode_32 3
		.amdhsa_float_denorm_mode_16_64 3
		.amdhsa_dx10_clamp 1
		.amdhsa_ieee_mode 1
		.amdhsa_fp16_overflow 0
		.amdhsa_workgroup_processor_mode 1
		.amdhsa_memory_ordered 1
		.amdhsa_forward_progress 0
		.amdhsa_shared_vgpr_count 0
		.amdhsa_exception_fp_ieee_invalid_op 0
		.amdhsa_exception_fp_denorm_src 0
		.amdhsa_exception_fp_ieee_div_zero 0
		.amdhsa_exception_fp_ieee_overflow 0
		.amdhsa_exception_fp_ieee_underflow 0
		.amdhsa_exception_fp_ieee_inexact 0
		.amdhsa_exception_int_div_zero 0
	.end_amdhsa_kernel
	.section	.text._Z17sort_pairs_kernelI22helper_blocked_blockedaLj64ELj3ELj10EEvPKT0_PS1_,"axG",@progbits,_Z17sort_pairs_kernelI22helper_blocked_blockedaLj64ELj3ELj10EEvPKT0_PS1_,comdat
.Lfunc_end51:
	.size	_Z17sort_pairs_kernelI22helper_blocked_blockedaLj64ELj3ELj10EEvPKT0_PS1_, .Lfunc_end51-_Z17sort_pairs_kernelI22helper_blocked_blockedaLj64ELj3ELj10EEvPKT0_PS1_
                                        ; -- End function
	.section	.AMDGPU.csdata,"",@progbits
; Kernel info:
; codeLenInByte = 2568
; NumSgprs: 22
; NumVgprs: 39
; ScratchSize: 0
; MemoryBound: 0
; FloatMode: 240
; IeeeMode: 1
; LDSByteSize: 2064 bytes/workgroup (compile time only)
; SGPRBlocks: 2
; VGPRBlocks: 4
; NumSGPRsForWavesPerEU: 22
; NumVGPRsForWavesPerEU: 39
; Occupancy: 16
; WaveLimiterHint : 0
; COMPUTE_PGM_RSRC2:SCRATCH_EN: 0
; COMPUTE_PGM_RSRC2:USER_SGPR: 15
; COMPUTE_PGM_RSRC2:TRAP_HANDLER: 0
; COMPUTE_PGM_RSRC2:TGID_X_EN: 1
; COMPUTE_PGM_RSRC2:TGID_Y_EN: 0
; COMPUTE_PGM_RSRC2:TGID_Z_EN: 0
; COMPUTE_PGM_RSRC2:TIDIG_COMP_CNT: 2
	.section	.text._Z16sort_keys_kernelI22helper_blocked_blockedaLj64ELj4ELj10EEvPKT0_PS1_,"axG",@progbits,_Z16sort_keys_kernelI22helper_blocked_blockedaLj64ELj4ELj10EEvPKT0_PS1_,comdat
	.protected	_Z16sort_keys_kernelI22helper_blocked_blockedaLj64ELj4ELj10EEvPKT0_PS1_ ; -- Begin function _Z16sort_keys_kernelI22helper_blocked_blockedaLj64ELj4ELj10EEvPKT0_PS1_
	.globl	_Z16sort_keys_kernelI22helper_blocked_blockedaLj64ELj4ELj10EEvPKT0_PS1_
	.p2align	8
	.type	_Z16sort_keys_kernelI22helper_blocked_blockedaLj64ELj4ELj10EEvPKT0_PS1_,@function
_Z16sort_keys_kernelI22helper_blocked_blockedaLj64ELj4ELj10EEvPKT0_PS1_: ; @_Z16sort_keys_kernelI22helper_blocked_blockedaLj64ELj4ELj10EEvPKT0_PS1_
; %bb.0:
	s_clause 0x1
	s_load_b128 s[16:19], s[0:1], 0x0
	s_load_b32 s13, s[0:1], 0x1c
	s_lshl_b32 s20, s15, 8
	v_and_b32_e32 v8, 0x3ff, v0
	v_mbcnt_lo_u32_b32 v5, -1, 0
	v_bfe_u32 v7, v0, 10, 10
	v_bfe_u32 v0, v0, 20, 10
	s_delay_alu instid0(VALU_DEP_3)
	v_and_b32_e32 v19, 16, v5
	v_add_nc_u32_e32 v20, -1, v5
	v_and_b32_e32 v6, 3, v5
	v_and_b32_e32 v18, 15, v5
	v_cmp_eq_u32_e32 vcc_lo, 0, v5
	v_cmp_eq_u32_e64 s8, 0, v19
	v_cmp_gt_i32_e64 s11, 0, v20
	v_and_b32_e32 v21, 1, v5
	v_cmp_eq_u32_e64 s4, 0, v18
	v_cmp_lt_u32_e64 s5, 1, v18
	v_cmp_lt_u32_e64 s6, 3, v18
	s_waitcnt lgkmcnt(0)
	s_add_u32 s0, s16, s20
	s_addc_u32 s1, s17, 0
	s_lshr_b32 s14, s13, 16
	s_clause 0x3
	global_load_u8 v1, v8, s[0:1] offset:64
	global_load_u8 v2, v8, s[0:1] offset:192
	global_load_u8 v3, v8, s[0:1]
	global_load_u8 v4, v8, s[0:1] offset:128
	s_mov_b32 s0, 0
	v_mad_u32_u24 v7, v0, s14, v7
	s_mov_b32 s1, s0
	s_mov_b32 s2, s0
	s_mov_b32 s3, s0
	v_dual_mov_b32 v10, s1 :: v_dual_mov_b32 v9, s0
	v_lshrrev_b32_e32 v19, 3, v8
	s_and_b32 s13, s13, 0xffff
	v_dual_mov_b32 v12, s3 :: v_dual_and_b32 v13, 28, v5
	v_mov_b32_e32 v11, s2
	v_cmp_eq_u32_e64 s0, 3, v6
	v_cmp_eq_u32_e64 s1, 2, v6
	;; [unrolled: 1-line block ×4, first 2 shown]
	v_lshlrev_b32_e32 v17, 5, v8
	v_or_b32_e32 v6, 31, v8
	v_cndmask_b32_e64 v5, v20, v5, s11
	v_mul_i32_i24_e32 v23, 0xffffffe4, v8
	v_and_b32_e32 v19, 4, v19
	v_or_b32_e32 v14, 32, v13
	v_or_b32_e32 v15, 64, v13
	;; [unrolled: 1-line block ×3, first 2 shown]
	v_cmp_lt_u32_e64 s7, 7, v18
	v_cmp_gt_u32_e64 s9, 2, v8
	v_cmp_lt_u32_e64 s10, 31, v8
	v_cmp_eq_u32_e64 s11, 0, v8
	v_cmp_eq_u32_e64 s12, 0, v21
	v_or_b32_e32 v18, 8, v17
	v_lshlrev_b32_e32 v20, 2, v5
	v_add_nc_u32_e32 v21, -4, v19
	v_add_nc_u32_e32 v23, v17, v23
	s_mov_b32 s16, 10
	s_waitcnt vmcnt(3)
	v_lshlrev_b16 v1, 8, v1
	s_waitcnt vmcnt(2)
	v_lshlrev_b16 v2, 8, v2
	s_waitcnt vmcnt(1)
	s_delay_alu instid0(VALU_DEP_2) | instskip(SKIP_1) | instid1(VALU_DEP_2)
	v_or_b32_e32 v3, v3, v1
	s_waitcnt vmcnt(0)
	v_or_b32_e32 v2, v4, v2
	v_mad_u64_u32 v[0:1], null, v7, s13, v[8:9]
	v_cmp_eq_u32_e64 s13, v6, v8
	v_and_b32_e32 v1, 0xffff, v3
	s_delay_alu instid0(VALU_DEP_4) | instskip(NEXT) | instid1(VALU_DEP_4)
	v_lshlrev_b32_e32 v2, 16, v2
	v_lshrrev_b32_e32 v22, 5, v0
	s_delay_alu instid0(VALU_DEP_2)
	v_or_b32_e32 v0, v1, v2
	s_branch .LBB52_2
.LBB52_1:                               ;   in Loop: Header=BB52_2 Depth=1
	s_or_b32 exec_lo, exec_lo, s14
	s_waitcnt lgkmcnt(0)
	v_add_nc_u32_e32 v3, v39, v3
	s_add_i32 s16, s16, -1
	s_delay_alu instid0(SALU_CYCLE_1) | instskip(SKIP_3) | instid1(VALU_DEP_1)
	s_cmp_eq_u32 s16, 0
	ds_bpermute_b32 v3, v20, v3
	s_waitcnt lgkmcnt(0)
	v_cndmask_b32_e32 v3, v3, v39, vcc_lo
	v_cndmask_b32_e64 v3, v3, 0, s11
	s_delay_alu instid0(VALU_DEP_1) | instskip(NEXT) | instid1(VALU_DEP_1)
	v_add_nc_u32_e32 v4, v3, v4
	v_add_nc_u32_e32 v5, v4, v5
	s_delay_alu instid0(VALU_DEP_1) | instskip(NEXT) | instid1(VALU_DEP_1)
	v_add_nc_u32_e32 v6, v5, v6
	v_add_nc_u32_e32 v39, v6, v7
	;; [unrolled: 3-line block ×3, first 2 shown]
	s_delay_alu instid0(VALU_DEP_1)
	v_add_nc_u32_e32 v1, v0, v2
	ds_store_2addr_b64 v17, v[3:4], v[5:6] offset0:1 offset1:2
	ds_store_2addr_b64 v18, v[39:40], v[0:1] offset0:2 offset1:3
	s_waitcnt lgkmcnt(0)
	s_barrier
	buffer_gl0_inv
	ds_load_b32 v0, v26
	ds_load_b32 v1, v30
	;; [unrolled: 1-line block ×4, first 2 shown]
	s_waitcnt lgkmcnt(0)
	s_barrier
	buffer_gl0_inv
	v_add_nc_u32_e32 v0, v0, v25
	v_add3_u32 v1, v29, v28, v1
	v_add3_u32 v2, v33, v32, v2
	;; [unrolled: 1-line block ×3, first 2 shown]
	ds_store_b8 v0, v24
	ds_store_b8 v1, v27
	;; [unrolled: 1-line block ×4, first 2 shown]
	s_waitcnt lgkmcnt(0)
	s_barrier
	buffer_gl0_inv
	ds_load_b32 v0, v23
	s_waitcnt lgkmcnt(0)
	v_lshrrev_b32_e32 v2, 8, v0
	v_lshrrev_b32_e32 v3, 24, v0
	;; [unrolled: 1-line block ×3, first 2 shown]
	v_xor_b32_e32 v1, 0xffffff80, v0
	s_delay_alu instid0(VALU_DEP_4) | instskip(NEXT) | instid1(VALU_DEP_4)
	v_xor_b32_e32 v2, 0xffffff80, v2
	v_xor_b32_e32 v3, 0xffffff80, v3
	s_delay_alu instid0(VALU_DEP_4) | instskip(NEXT) | instid1(VALU_DEP_4)
	v_xor_b32_e32 v4, 0xffffff80, v4
	v_and_b32_e32 v0, 0xff, v1
	s_delay_alu instid0(VALU_DEP_4) | instskip(NEXT) | instid1(VALU_DEP_4)
	v_lshlrev_b16 v5, 8, v2
	v_lshlrev_b16 v6, 8, v3
	s_delay_alu instid0(VALU_DEP_4) | instskip(NEXT) | instid1(VALU_DEP_3)
	v_and_b32_e32 v7, 0xff, v4
	v_or_b32_e32 v0, v0, v5
	s_delay_alu instid0(VALU_DEP_2) | instskip(NEXT) | instid1(VALU_DEP_2)
	v_or_b32_e32 v5, v7, v6
	v_and_b32_e32 v0, 0xffff, v0
	s_delay_alu instid0(VALU_DEP_2) | instskip(NEXT) | instid1(VALU_DEP_1)
	v_lshlrev_b32_e32 v5, 16, v5
	v_or_b32_e32 v0, v0, v5
	s_cbranch_scc1 .LBB52_16
.LBB52_2:                               ; =>This Inner Loop Header: Depth=1
	s_delay_alu instid0(VALU_DEP_1) | instskip(SKIP_3) | instid1(VALU_DEP_4)
	v_lshrrev_b32_e32 v1, 8, v0
	v_xor_b32_e32 v2, 0x80, v0
	v_lshrrev_b32_e32 v3, 16, v0
	v_lshrrev_b32_e32 v0, 24, v0
	v_xor_b32_e32 v1, 0x80, v1
	s_delay_alu instid0(VALU_DEP_4) | instskip(NEXT) | instid1(VALU_DEP_4)
	v_and_b32_e32 v2, 0xff, v2
	v_xor_b32_e32 v3, 0x80, v3
	s_delay_alu instid0(VALU_DEP_4)
	v_xor_b32_e32 v0, 0x80, v0
	s_barrier
	v_and_b32_e32 v1, 0xff, v1
	ds_bpermute_b32 v4, v13, v2
	v_and_b32_e32 v3, 0xff, v3
	v_and_b32_e32 v0, 0xffff, v0
	s_waitcnt lgkmcnt(0)
	buffer_gl0_inv
	ds_bpermute_b32 v5, v13, v1
	ds_store_2addr_b64 v17, v[9:10], v[11:12] offset0:1 offset1:2
	ds_store_2addr_b64 v18, v[9:10], v[11:12] offset0:2 offset1:3
	ds_bpermute_b32 v6, v13, v3
	ds_bpermute_b32 v7, v13, v0
	s_waitcnt lgkmcnt(0)
	s_barrier
	buffer_gl0_inv
	; wave barrier
	v_perm_b32 v5, v5, v4, 0x3020104
	s_delay_alu instid0(VALU_DEP_1) | instskip(SKIP_2) | instid1(VALU_DEP_1)
	v_cndmask_b32_e64 v4, v4, v5, s2
	ds_bpermute_b32 v5, v14, v2
	v_perm_b32 v6, v6, v4, 0x3020104
	v_cndmask_b32_e64 v4, v4, v6, s1
	s_delay_alu instid0(VALU_DEP_1) | instskip(SKIP_4) | instid1(VALU_DEP_2)
	v_perm_b32 v6, v7, v4, 0x3020104
	ds_bpermute_b32 v7, v14, v1
	v_cndmask_b32_e64 v4, v4, v6, s0
	s_waitcnt lgkmcnt(1)
	v_lshlrev_b16 v5, 8, v5
	v_and_b32_e32 v6, 0xff, v4
	s_delay_alu instid0(VALU_DEP_1) | instskip(NEXT) | instid1(VALU_DEP_1)
	v_or_b32_e32 v5, v6, v5
	v_and_b32_e32 v5, 0xffff, v5
	s_delay_alu instid0(VALU_DEP_1) | instskip(NEXT) | instid1(VALU_DEP_1)
	v_and_or_b32 v5, 0xffff0000, v4, v5
	v_cndmask_b32_e64 v4, v4, v5, s3
	s_waitcnt lgkmcnt(0)
	v_lshlrev_b16 v5, 8, v7
	ds_bpermute_b32 v7, v14, v3
	v_and_b32_e32 v6, 0xff, v4
	s_delay_alu instid0(VALU_DEP_1) | instskip(NEXT) | instid1(VALU_DEP_1)
	v_or_b32_e32 v5, v6, v5
	v_and_b32_e32 v5, 0xffff, v5
	s_delay_alu instid0(VALU_DEP_1) | instskip(NEXT) | instid1(VALU_DEP_1)
	v_and_or_b32 v5, 0xffff0000, v4, v5
	v_cndmask_b32_e64 v4, v4, v5, s2
	s_waitcnt lgkmcnt(0)
	v_lshlrev_b16 v5, 8, v7
	ds_bpermute_b32 v7, v14, v0
	v_and_b32_e32 v6, 0xff, v4
	s_delay_alu instid0(VALU_DEP_1) | instskip(NEXT) | instid1(VALU_DEP_1)
	v_or_b32_e32 v5, v6, v5
	v_and_b32_e32 v5, 0xffff, v5
	s_delay_alu instid0(VALU_DEP_1) | instskip(NEXT) | instid1(VALU_DEP_1)
	v_and_or_b32 v5, 0xffff0000, v4, v5
	v_cndmask_b32_e64 v4, v4, v5, s1
	s_waitcnt lgkmcnt(0)
	v_lshlrev_b16 v5, 8, v7
	s_delay_alu instid0(VALU_DEP_2) | instskip(NEXT) | instid1(VALU_DEP_1)
	v_and_b32_e32 v6, 0xff, v4
	v_or_b32_e32 v5, v6, v5
	ds_bpermute_b32 v6, v15, v2
	ds_bpermute_b32 v2, v16, v2
	v_and_b32_e32 v5, 0xffff, v5
	s_delay_alu instid0(VALU_DEP_1) | instskip(NEXT) | instid1(VALU_DEP_1)
	v_and_or_b32 v5, 0xffff0000, v4, v5
	v_cndmask_b32_e64 v4, v4, v5, s0
	s_delay_alu instid0(VALU_DEP_1)
	v_lshrrev_b32_e32 v5, 16, v4
	s_waitcnt lgkmcnt(1)
	v_and_b32_e32 v6, 0xff, v6
	s_waitcnt lgkmcnt(0)
	v_lshlrev_b16 v2, 8, v2
	v_and_b32_e32 v5, 0xffffff00, v5
	s_delay_alu instid0(VALU_DEP_1) | instskip(SKIP_3) | instid1(VALU_DEP_1)
	v_or_b32_e32 v5, v6, v5
	ds_bpermute_b32 v6, v15, v1
	ds_bpermute_b32 v1, v16, v1
	v_lshlrev_b32_e32 v5, 16, v5
	v_and_or_b32 v5, 0xffff, v4, v5
	s_delay_alu instid0(VALU_DEP_1) | instskip(NEXT) | instid1(VALU_DEP_1)
	v_cndmask_b32_e64 v4, v4, v5, s3
	v_lshrrev_b32_e32 v5, 16, v4
	s_waitcnt lgkmcnt(1)
	v_and_b32_e32 v6, 0xff, v6
	s_waitcnt lgkmcnt(0)
	v_lshlrev_b16 v1, 8, v1
	v_and_b32_e32 v5, 0xffffff00, v5
	s_delay_alu instid0(VALU_DEP_1) | instskip(SKIP_3) | instid1(VALU_DEP_1)
	v_or_b32_e32 v5, v6, v5
	ds_bpermute_b32 v6, v15, v3
	ds_bpermute_b32 v3, v16, v3
	v_lshlrev_b32_e32 v5, 16, v5
	v_and_or_b32 v5, 0xffff, v4, v5
	s_delay_alu instid0(VALU_DEP_1) | instskip(NEXT) | instid1(VALU_DEP_1)
	v_cndmask_b32_e64 v4, v4, v5, s2
	;; [unrolled: 14-line block ×3, first 2 shown]
	v_lshrrev_b32_e32 v5, 16, v4
	s_waitcnt lgkmcnt(1)
	v_and_b32_e32 v6, 0xff, v6
	s_waitcnt lgkmcnt(0)
	v_lshlrev_b16 v0, 8, v0
	v_and_b32_e32 v5, 0xffffff00, v5
	s_delay_alu instid0(VALU_DEP_1) | instskip(NEXT) | instid1(VALU_DEP_1)
	v_or_b32_e32 v5, v6, v5
	v_lshlrev_b32_e32 v5, 16, v5
	s_delay_alu instid0(VALU_DEP_1) | instskip(NEXT) | instid1(VALU_DEP_1)
	v_and_or_b32 v5, 0xffff, v4, v5
	v_cndmask_b32_e64 v4, v4, v5, s0
	s_delay_alu instid0(VALU_DEP_1) | instskip(NEXT) | instid1(VALU_DEP_1)
	v_lshrrev_b32_e32 v5, 16, v4
	v_and_b32_e32 v5, 0xff, v5
	s_delay_alu instid0(VALU_DEP_1) | instskip(NEXT) | instid1(VALU_DEP_1)
	v_or_b32_e32 v2, v5, v2
	v_lshlrev_b32_e32 v2, 16, v2
	s_delay_alu instid0(VALU_DEP_1) | instskip(NEXT) | instid1(VALU_DEP_1)
	v_and_or_b32 v2, 0xffff, v4, v2
	v_cndmask_b32_e64 v2, v4, v2, s3
	s_delay_alu instid0(VALU_DEP_1) | instskip(NEXT) | instid1(VALU_DEP_1)
	v_lshrrev_b32_e32 v4, 16, v2
	;; [unrolled: 9-line block ×4, first 2 shown]
	v_and_b32_e32 v2, 0xff, v2
	s_delay_alu instid0(VALU_DEP_1) | instskip(NEXT) | instid1(VALU_DEP_1)
	v_or_b32_e32 v0, v2, v0
	v_lshlrev_b32_e32 v0, 16, v0
	s_delay_alu instid0(VALU_DEP_1) | instskip(NEXT) | instid1(VALU_DEP_1)
	v_and_or_b32 v0, 0xffff, v1, v0
	v_cndmask_b32_e64 v24, v1, v0, s0
	s_delay_alu instid0(VALU_DEP_1)
	v_and_b32_e32 v0, 1, v24
	v_lshlrev_b32_e32 v1, 30, v24
	v_lshlrev_b32_e32 v2, 29, v24
	v_lshlrev_b32_e32 v3, 28, v24
	v_lshlrev_b32_e32 v5, 27, v24
	v_add_co_u32 v0, s14, v0, -1
	s_delay_alu instid0(VALU_DEP_1)
	v_cndmask_b32_e64 v4, 0, 1, s14
	v_not_b32_e32 v25, v1
	v_cmp_gt_i32_e64 s15, 0, v1
	v_not_b32_e32 v1, v2
	v_lshlrev_b32_e32 v6, 26, v24
	v_cmp_ne_u32_e64 s14, 0, v4
	v_ashrrev_i32_e32 v25, 31, v25
	v_lshlrev_b32_e32 v7, 25, v24
	v_ashrrev_i32_e32 v1, 31, v1
	v_lshlrev_b32_e32 v4, 24, v24
	v_xor_b32_e32 v0, s14, v0
	v_cmp_gt_i32_e64 s14, 0, v2
	v_not_b32_e32 v2, v3
	v_xor_b32_e32 v25, s15, v25
	v_cmp_gt_i32_e64 s15, 0, v3
	v_and_b32_e32 v0, exec_lo, v0
	v_not_b32_e32 v3, v5
	v_ashrrev_i32_e32 v2, 31, v2
	v_xor_b32_e32 v1, s14, v1
	v_cmp_gt_i32_e64 s14, 0, v5
	v_and_b32_e32 v0, v0, v25
	v_not_b32_e32 v5, v6
	v_ashrrev_i32_e32 v3, 31, v3
	v_xor_b32_e32 v2, s15, v2
	v_cmp_gt_i32_e64 s15, 0, v6
	v_and_b32_e32 v0, v0, v1
	;; [unrolled: 5-line block ×4, first 2 shown]
	v_ashrrev_i32_e32 v2, 31, v2
	v_xor_b32_e32 v1, s14, v1
	s_delay_alu instid0(VALU_DEP_3) | instskip(NEXT) | instid1(VALU_DEP_3)
	v_and_b32_e32 v0, v0, v5
	v_xor_b32_e32 v2, s15, v2
	s_delay_alu instid0(VALU_DEP_2) | instskip(SKIP_1) | instid1(VALU_DEP_2)
	v_and_b32_e32 v0, v0, v1
	v_and_b32_e32 v1, 0xff, v24
	;; [unrolled: 1-line block ×3, first 2 shown]
	s_delay_alu instid0(VALU_DEP_2) | instskip(NEXT) | instid1(VALU_DEP_2)
	v_lshl_add_u32 v1, v1, 1, v22
	v_mbcnt_lo_u32_b32 v25, v0, 0
	v_cmp_ne_u32_e64 s15, 0, v0
	s_delay_alu instid0(VALU_DEP_3) | instskip(NEXT) | instid1(VALU_DEP_3)
	v_lshl_add_u32 v26, v1, 2, 8
	v_cmp_eq_u32_e64 s14, 0, v25
	s_delay_alu instid0(VALU_DEP_1) | instskip(NEXT) | instid1(SALU_CYCLE_1)
	s_and_b32 s15, s14, s15
	s_and_saveexec_b32 s14, s15
	s_cbranch_execz .LBB52_4
; %bb.3:                                ;   in Loop: Header=BB52_2 Depth=1
	v_bcnt_u32_b32 v0, v0, 0
	ds_store_b32 v26, v0
.LBB52_4:                               ;   in Loop: Header=BB52_2 Depth=1
	s_or_b32 exec_lo, exec_lo, s14
	v_bfe_u32 v0, v24, 8, 1
	v_lshrrev_b32_e32 v27, 8, v24
	; wave barrier
	s_delay_alu instid0(VALU_DEP_2) | instskip(NEXT) | instid1(VALU_DEP_1)
	v_add_co_u32 v0, s14, v0, -1
	v_cndmask_b32_e64 v1, 0, 1, s14
	s_delay_alu instid0(VALU_DEP_3)
	v_lshlrev_b32_e32 v2, 30, v27
	v_lshlrev_b32_e32 v3, 29, v27
	;; [unrolled: 1-line block ×4, first 2 shown]
	v_cmp_ne_u32_e64 s14, 0, v1
	v_not_b32_e32 v1, v2
	v_cmp_gt_i32_e64 s15, 0, v2
	v_not_b32_e32 v2, v3
	v_lshlrev_b32_e32 v6, 26, v27
	v_xor_b32_e32 v0, s14, v0
	v_ashrrev_i32_e32 v1, 31, v1
	v_cmp_gt_i32_e64 s14, 0, v3
	v_not_b32_e32 v3, v4
	v_ashrrev_i32_e32 v2, 31, v2
	v_and_b32_e32 v0, exec_lo, v0
	v_xor_b32_e32 v1, s15, v1
	v_cmp_gt_i32_e64 s15, 0, v4
	v_not_b32_e32 v4, v5
	v_ashrrev_i32_e32 v3, 31, v3
	v_xor_b32_e32 v2, s14, v2
	v_and_b32_e32 v0, v0, v1
	v_cmp_gt_i32_e64 s14, 0, v5
	v_not_b32_e32 v1, v6
	v_ashrrev_i32_e32 v4, 31, v4
	v_xor_b32_e32 v3, s15, v3
	v_and_b32_e32 v0, v0, v2
	v_lshlrev_b32_e32 v2, 25, v27
	v_cmp_gt_i32_e64 s15, 0, v6
	v_ashrrev_i32_e32 v1, 31, v1
	v_xor_b32_e32 v4, s14, v4
	v_and_b32_e32 v0, v0, v3
	v_not_b32_e32 v5, v2
	v_lshlrev_b32_e32 v6, 24, v27
	v_lshrrev_b32_e32 v3, 7, v24
	v_xor_b32_e32 v1, s15, v1
	v_and_b32_e32 v0, v0, v4
	v_cmp_gt_i32_e64 s14, 0, v2
	v_ashrrev_i32_e32 v2, 31, v5
	v_not_b32_e32 v4, v6
	v_and_b32_e32 v3, 0x1fe, v3
	v_and_b32_e32 v0, v0, v1
	s_delay_alu instid0(VALU_DEP_4) | instskip(SKIP_3) | instid1(VALU_DEP_4)
	v_xor_b32_e32 v1, s14, v2
	v_cmp_gt_i32_e64 s14, 0, v6
	v_ashrrev_i32_e32 v2, 31, v4
	v_add_lshl_u32 v3, v3, v22, 2
	v_and_b32_e32 v0, v0, v1
	s_delay_alu instid0(VALU_DEP_3) | instskip(SKIP_3) | instid1(VALU_DEP_1)
	v_xor_b32_e32 v1, s14, v2
	ds_load_b32 v28, v3 offset:8
	v_add_nc_u32_e32 v30, 8, v3
	; wave barrier
	v_and_b32_e32 v0, v0, v1
	v_mbcnt_lo_u32_b32 v29, v0, 0
	v_cmp_ne_u32_e64 s15, 0, v0
	s_delay_alu instid0(VALU_DEP_2) | instskip(NEXT) | instid1(VALU_DEP_1)
	v_cmp_eq_u32_e64 s14, 0, v29
	s_and_b32 s15, s15, s14
	s_delay_alu instid0(SALU_CYCLE_1)
	s_and_saveexec_b32 s14, s15
	s_cbranch_execz .LBB52_6
; %bb.5:                                ;   in Loop: Header=BB52_2 Depth=1
	s_waitcnt lgkmcnt(0)
	v_bcnt_u32_b32 v0, v0, v28
	ds_store_b32 v30, v0
.LBB52_6:                               ;   in Loop: Header=BB52_2 Depth=1
	s_or_b32 exec_lo, exec_lo, s14
	v_bfe_u32 v0, v24, 16, 1
	v_lshrrev_b32_e32 v31, 16, v24
	; wave barrier
	s_delay_alu instid0(VALU_DEP_2) | instskip(NEXT) | instid1(VALU_DEP_1)
	v_add_co_u32 v0, s14, v0, -1
	v_cndmask_b32_e64 v1, 0, 1, s14
	s_delay_alu instid0(VALU_DEP_3)
	v_lshlrev_b32_e32 v2, 30, v31
	v_lshlrev_b32_e32 v3, 29, v31
	;; [unrolled: 1-line block ×4, first 2 shown]
	v_cmp_ne_u32_e64 s14, 0, v1
	v_not_b32_e32 v1, v2
	v_cmp_gt_i32_e64 s15, 0, v2
	v_not_b32_e32 v2, v3
	v_lshlrev_b32_e32 v6, 26, v31
	v_xor_b32_e32 v0, s14, v0
	v_ashrrev_i32_e32 v1, 31, v1
	v_cmp_gt_i32_e64 s14, 0, v3
	v_not_b32_e32 v3, v4
	v_ashrrev_i32_e32 v2, 31, v2
	v_and_b32_e32 v0, exec_lo, v0
	v_xor_b32_e32 v1, s15, v1
	v_cmp_gt_i32_e64 s15, 0, v4
	v_not_b32_e32 v4, v5
	v_ashrrev_i32_e32 v3, 31, v3
	v_xor_b32_e32 v2, s14, v2
	v_and_b32_e32 v0, v0, v1
	v_cmp_gt_i32_e64 s14, 0, v5
	v_not_b32_e32 v1, v6
	v_ashrrev_i32_e32 v4, 31, v4
	v_xor_b32_e32 v3, s15, v3
	v_and_b32_e32 v0, v0, v2
	v_lshlrev_b32_e32 v2, 25, v31
	v_cmp_gt_i32_e64 s15, 0, v6
	v_ashrrev_i32_e32 v1, 31, v1
	v_xor_b32_e32 v4, s14, v4
	v_and_b32_e32 v0, v0, v3
	v_not_b32_e32 v5, v2
	v_lshlrev_b32_e32 v6, 24, v31
	v_lshrrev_b32_e32 v3, 15, v24
	v_xor_b32_e32 v1, s15, v1
	v_and_b32_e32 v0, v0, v4
	v_cmp_gt_i32_e64 s14, 0, v2
	v_ashrrev_i32_e32 v2, 31, v5
	v_not_b32_e32 v4, v6
	v_and_b32_e32 v3, 0x1fe, v3
	v_and_b32_e32 v0, v0, v1
	s_delay_alu instid0(VALU_DEP_4) | instskip(SKIP_3) | instid1(VALU_DEP_4)
	v_xor_b32_e32 v1, s14, v2
	v_cmp_gt_i32_e64 s14, 0, v6
	v_ashrrev_i32_e32 v2, 31, v4
	v_add_lshl_u32 v3, v3, v22, 2
	v_and_b32_e32 v0, v0, v1
	s_delay_alu instid0(VALU_DEP_3) | instskip(SKIP_3) | instid1(VALU_DEP_1)
	v_xor_b32_e32 v1, s14, v2
	ds_load_b32 v32, v3 offset:8
	v_add_nc_u32_e32 v34, 8, v3
	; wave barrier
	v_and_b32_e32 v0, v0, v1
	v_mbcnt_lo_u32_b32 v33, v0, 0
	v_cmp_ne_u32_e64 s15, 0, v0
	s_delay_alu instid0(VALU_DEP_2) | instskip(NEXT) | instid1(VALU_DEP_1)
	v_cmp_eq_u32_e64 s14, 0, v33
	s_and_b32 s15, s15, s14
	s_delay_alu instid0(SALU_CYCLE_1)
	s_and_saveexec_b32 s14, s15
	s_cbranch_execz .LBB52_8
; %bb.7:                                ;   in Loop: Header=BB52_2 Depth=1
	s_waitcnt lgkmcnt(0)
	v_bcnt_u32_b32 v0, v0, v32
	ds_store_b32 v34, v0
.LBB52_8:                               ;   in Loop: Header=BB52_2 Depth=1
	s_or_b32 exec_lo, exec_lo, s14
	v_bfe_u32 v0, v24, 24, 1
	v_lshrrev_b32_e32 v35, 24, v24
	; wave barrier
	s_delay_alu instid0(VALU_DEP_2) | instskip(NEXT) | instid1(VALU_DEP_1)
	v_add_co_u32 v0, s14, v0, -1
	v_cndmask_b32_e64 v1, 0, 1, s14
	s_delay_alu instid0(VALU_DEP_3)
	v_lshlrev_b32_e32 v2, 30, v35
	v_lshlrev_b32_e32 v3, 29, v35
	;; [unrolled: 1-line block ×4, first 2 shown]
	v_cmp_ne_u32_e64 s14, 0, v1
	v_not_b32_e32 v1, v2
	v_cmp_gt_i32_e64 s15, 0, v2
	v_not_b32_e32 v2, v3
	v_lshlrev_b32_e32 v6, 26, v35
	v_xor_b32_e32 v0, s14, v0
	v_ashrrev_i32_e32 v1, 31, v1
	v_cmp_gt_i32_e64 s14, 0, v3
	v_not_b32_e32 v3, v4
	v_ashrrev_i32_e32 v2, 31, v2
	v_and_b32_e32 v0, exec_lo, v0
	v_xor_b32_e32 v1, s15, v1
	v_cmp_gt_i32_e64 s15, 0, v4
	v_not_b32_e32 v4, v5
	v_ashrrev_i32_e32 v3, 31, v3
	v_xor_b32_e32 v2, s14, v2
	v_and_b32_e32 v0, v0, v1
	v_lshlrev_b32_e32 v1, 25, v35
	v_cmp_gt_i32_e64 s14, 0, v5
	v_ashrrev_i32_e32 v4, 31, v4
	v_xor_b32_e32 v3, s15, v3
	v_and_b32_e32 v0, v0, v2
	v_not_b32_e32 v5, v6
	v_not_b32_e32 v7, v1
	v_xor_b32_e32 v4, s14, v4
	v_cmp_gt_i32_e64 s14, 0, v6
	v_and_b32_e32 v0, v0, v3
	v_ashrrev_i32_e32 v3, 31, v5
	v_and_b32_e32 v2, 0xff000000, v24
	v_cmp_gt_i32_e64 s15, 0, v1
	v_ashrrev_i32_e32 v1, 31, v7
	v_and_b32_e32 v0, v0, v4
	v_not_b32_e32 v4, v24
	v_xor_b32_e32 v3, s14, v3
	v_lshlrev_b32_e32 v5, 1, v35
	v_xor_b32_e32 v1, s15, v1
	v_cmp_gt_i32_e64 s14, 0, v2
	v_ashrrev_i32_e32 v2, 31, v4
	v_and_b32_e32 v0, v0, v3
	v_add_lshl_u32 v3, v5, v22, 2
	s_delay_alu instid0(VALU_DEP_3) | instskip(NEXT) | instid1(VALU_DEP_3)
	v_xor_b32_e32 v2, s14, v2
	v_and_b32_e32 v0, v0, v1
	ds_load_b32 v36, v3 offset:8
	v_add_nc_u32_e32 v38, 8, v3
	; wave barrier
	v_and_b32_e32 v0, v0, v2
	s_delay_alu instid0(VALU_DEP_1) | instskip(SKIP_1) | instid1(VALU_DEP_2)
	v_mbcnt_lo_u32_b32 v37, v0, 0
	v_cmp_ne_u32_e64 s15, 0, v0
	v_cmp_eq_u32_e64 s14, 0, v37
	s_delay_alu instid0(VALU_DEP_1) | instskip(NEXT) | instid1(SALU_CYCLE_1)
	s_and_b32 s15, s15, s14
	s_and_saveexec_b32 s14, s15
	s_cbranch_execz .LBB52_10
; %bb.9:                                ;   in Loop: Header=BB52_2 Depth=1
	s_waitcnt lgkmcnt(0)
	v_bcnt_u32_b32 v0, v0, v36
	ds_store_b32 v38, v0
.LBB52_10:                              ;   in Loop: Header=BB52_2 Depth=1
	s_or_b32 exec_lo, exec_lo, s14
	; wave barrier
	s_waitcnt lgkmcnt(0)
	s_barrier
	buffer_gl0_inv
	ds_load_2addr_b64 v[4:7], v17 offset0:1 offset1:2
	ds_load_2addr_b64 v[0:3], v18 offset0:2 offset1:3
	s_waitcnt lgkmcnt(1)
	v_add_nc_u32_e32 v39, v5, v4
	s_delay_alu instid0(VALU_DEP_1) | instskip(SKIP_1) | instid1(VALU_DEP_1)
	v_add3_u32 v39, v39, v6, v7
	s_waitcnt lgkmcnt(0)
	v_add3_u32 v39, v39, v0, v1
	s_delay_alu instid0(VALU_DEP_1) | instskip(NEXT) | instid1(VALU_DEP_1)
	v_add3_u32 v3, v39, v2, v3
	v_mov_b32_dpp v39, v3 row_shr:1 row_mask:0xf bank_mask:0xf
	s_delay_alu instid0(VALU_DEP_1) | instskip(NEXT) | instid1(VALU_DEP_1)
	v_cndmask_b32_e64 v39, v39, 0, s4
	v_add_nc_u32_e32 v3, v39, v3
	s_delay_alu instid0(VALU_DEP_1) | instskip(NEXT) | instid1(VALU_DEP_1)
	v_mov_b32_dpp v39, v3 row_shr:2 row_mask:0xf bank_mask:0xf
	v_cndmask_b32_e64 v39, 0, v39, s5
	s_delay_alu instid0(VALU_DEP_1) | instskip(NEXT) | instid1(VALU_DEP_1)
	v_add_nc_u32_e32 v3, v3, v39
	v_mov_b32_dpp v39, v3 row_shr:4 row_mask:0xf bank_mask:0xf
	s_delay_alu instid0(VALU_DEP_1) | instskip(NEXT) | instid1(VALU_DEP_1)
	v_cndmask_b32_e64 v39, 0, v39, s6
	v_add_nc_u32_e32 v3, v3, v39
	s_delay_alu instid0(VALU_DEP_1) | instskip(NEXT) | instid1(VALU_DEP_1)
	v_mov_b32_dpp v39, v3 row_shr:8 row_mask:0xf bank_mask:0xf
	v_cndmask_b32_e64 v39, 0, v39, s7
	s_delay_alu instid0(VALU_DEP_1) | instskip(SKIP_3) | instid1(VALU_DEP_1)
	v_add_nc_u32_e32 v3, v3, v39
	ds_swizzle_b32 v39, v3 offset:swizzle(BROADCAST,32,15)
	s_waitcnt lgkmcnt(0)
	v_cndmask_b32_e64 v39, v39, 0, s8
	v_add_nc_u32_e32 v3, v3, v39
	s_and_saveexec_b32 s14, s13
	s_cbranch_execz .LBB52_12
; %bb.11:                               ;   in Loop: Header=BB52_2 Depth=1
	ds_store_b32 v19, v3
.LBB52_12:                              ;   in Loop: Header=BB52_2 Depth=1
	s_or_b32 exec_lo, exec_lo, s14
	s_waitcnt lgkmcnt(0)
	s_barrier
	buffer_gl0_inv
	s_and_saveexec_b32 s14, s9
	s_cbranch_execz .LBB52_14
; %bb.13:                               ;   in Loop: Header=BB52_2 Depth=1
	ds_load_b32 v39, v23
	s_waitcnt lgkmcnt(0)
	v_mov_b32_dpp v40, v39 row_shr:1 row_mask:0xf bank_mask:0xf
	s_delay_alu instid0(VALU_DEP_1) | instskip(NEXT) | instid1(VALU_DEP_1)
	v_cndmask_b32_e64 v40, v40, 0, s12
	v_add_nc_u32_e32 v39, v40, v39
	ds_store_b32 v23, v39
.LBB52_14:                              ;   in Loop: Header=BB52_2 Depth=1
	s_or_b32 exec_lo, exec_lo, s14
	v_mov_b32_e32 v39, 0
	s_waitcnt lgkmcnt(0)
	s_barrier
	buffer_gl0_inv
	s_and_saveexec_b32 s14, s10
	s_cbranch_execz .LBB52_1
; %bb.15:                               ;   in Loop: Header=BB52_2 Depth=1
	ds_load_b32 v39, v21
	s_branch .LBB52_1
.LBB52_16:
	s_add_u32 s0, s18, s20
	s_addc_u32 s1, s19, 0
	v_add_co_u32 v5, s0, s0, v8
	s_delay_alu instid0(VALU_DEP_1)
	v_add_co_ci_u32_e64 v6, null, s1, 0, s0
	s_clause 0x3
	global_store_b8 v[5:6], v1, off
	global_store_b8 v[5:6], v2, off offset:64
	global_store_b8 v[5:6], v4, off offset:128
	;; [unrolled: 1-line block ×3, first 2 shown]
	s_nop 0
	s_sendmsg sendmsg(MSG_DEALLOC_VGPRS)
	s_endpgm
	.section	.rodata,"a",@progbits
	.p2align	6, 0x0
	.amdhsa_kernel _Z16sort_keys_kernelI22helper_blocked_blockedaLj64ELj4ELj10EEvPKT0_PS1_
		.amdhsa_group_segment_fixed_size 2064
		.amdhsa_private_segment_fixed_size 0
		.amdhsa_kernarg_size 272
		.amdhsa_user_sgpr_count 15
		.amdhsa_user_sgpr_dispatch_ptr 0
		.amdhsa_user_sgpr_queue_ptr 0
		.amdhsa_user_sgpr_kernarg_segment_ptr 1
		.amdhsa_user_sgpr_dispatch_id 0
		.amdhsa_user_sgpr_private_segment_size 0
		.amdhsa_wavefront_size32 1
		.amdhsa_uses_dynamic_stack 0
		.amdhsa_enable_private_segment 0
		.amdhsa_system_sgpr_workgroup_id_x 1
		.amdhsa_system_sgpr_workgroup_id_y 0
		.amdhsa_system_sgpr_workgroup_id_z 0
		.amdhsa_system_sgpr_workgroup_info 0
		.amdhsa_system_vgpr_workitem_id 2
		.amdhsa_next_free_vgpr 41
		.amdhsa_next_free_sgpr 21
		.amdhsa_reserve_vcc 1
		.amdhsa_float_round_mode_32 0
		.amdhsa_float_round_mode_16_64 0
		.amdhsa_float_denorm_mode_32 3
		.amdhsa_float_denorm_mode_16_64 3
		.amdhsa_dx10_clamp 1
		.amdhsa_ieee_mode 1
		.amdhsa_fp16_overflow 0
		.amdhsa_workgroup_processor_mode 1
		.amdhsa_memory_ordered 1
		.amdhsa_forward_progress 0
		.amdhsa_shared_vgpr_count 0
		.amdhsa_exception_fp_ieee_invalid_op 0
		.amdhsa_exception_fp_denorm_src 0
		.amdhsa_exception_fp_ieee_div_zero 0
		.amdhsa_exception_fp_ieee_overflow 0
		.amdhsa_exception_fp_ieee_underflow 0
		.amdhsa_exception_fp_ieee_inexact 0
		.amdhsa_exception_int_div_zero 0
	.end_amdhsa_kernel
	.section	.text._Z16sort_keys_kernelI22helper_blocked_blockedaLj64ELj4ELj10EEvPKT0_PS1_,"axG",@progbits,_Z16sort_keys_kernelI22helper_blocked_blockedaLj64ELj4ELj10EEvPKT0_PS1_,comdat
.Lfunc_end52:
	.size	_Z16sort_keys_kernelI22helper_blocked_blockedaLj64ELj4ELj10EEvPKT0_PS1_, .Lfunc_end52-_Z16sort_keys_kernelI22helper_blocked_blockedaLj64ELj4ELj10EEvPKT0_PS1_
                                        ; -- End function
	.section	.AMDGPU.csdata,"",@progbits
; Kernel info:
; codeLenInByte = 3732
; NumSgprs: 23
; NumVgprs: 41
; ScratchSize: 0
; MemoryBound: 0
; FloatMode: 240
; IeeeMode: 1
; LDSByteSize: 2064 bytes/workgroup (compile time only)
; SGPRBlocks: 2
; VGPRBlocks: 5
; NumSGPRsForWavesPerEU: 23
; NumVGPRsForWavesPerEU: 41
; Occupancy: 16
; WaveLimiterHint : 0
; COMPUTE_PGM_RSRC2:SCRATCH_EN: 0
; COMPUTE_PGM_RSRC2:USER_SGPR: 15
; COMPUTE_PGM_RSRC2:TRAP_HANDLER: 0
; COMPUTE_PGM_RSRC2:TGID_X_EN: 1
; COMPUTE_PGM_RSRC2:TGID_Y_EN: 0
; COMPUTE_PGM_RSRC2:TGID_Z_EN: 0
; COMPUTE_PGM_RSRC2:TIDIG_COMP_CNT: 2
	.section	.text._Z17sort_pairs_kernelI22helper_blocked_blockedaLj64ELj4ELj10EEvPKT0_PS1_,"axG",@progbits,_Z17sort_pairs_kernelI22helper_blocked_blockedaLj64ELj4ELj10EEvPKT0_PS1_,comdat
	.protected	_Z17sort_pairs_kernelI22helper_blocked_blockedaLj64ELj4ELj10EEvPKT0_PS1_ ; -- Begin function _Z17sort_pairs_kernelI22helper_blocked_blockedaLj64ELj4ELj10EEvPKT0_PS1_
	.globl	_Z17sort_pairs_kernelI22helper_blocked_blockedaLj64ELj4ELj10EEvPKT0_PS1_
	.p2align	8
	.type	_Z17sort_pairs_kernelI22helper_blocked_blockedaLj64ELj4ELj10EEvPKT0_PS1_,@function
_Z17sort_pairs_kernelI22helper_blocked_blockedaLj64ELj4ELj10EEvPKT0_PS1_: ; @_Z17sort_pairs_kernelI22helper_blocked_blockedaLj64ELj4ELj10EEvPKT0_PS1_
; %bb.0:
	s_clause 0x1
	s_load_b128 s[16:19], s[0:1], 0x0
	s_load_b32 s14, s[0:1], 0x1c
	s_lshl_b32 s20, s15, 8
	v_and_b32_e32 v8, 0x3ff, v0
	v_mbcnt_lo_u32_b32 v5, -1, 0
	v_bfe_u32 v7, v0, 10, 10
	v_bfe_u32 v0, v0, 20, 10
	s_delay_alu instid0(VALU_DEP_3)
	v_add_nc_u32_e32 v20, -1, v5
	v_and_b32_e32 v21, 1, v5
	v_and_b32_e32 v6, 3, v5
	;; [unrolled: 1-line block ×4, first 2 shown]
	v_cmp_gt_i32_e64 s11, 0, v20
	v_cmp_eq_u32_e32 vcc_lo, 0, v5
	v_cmp_eq_u32_e64 s12, 0, v21
	v_cmp_eq_u32_e64 s4, 0, v18
	;; [unrolled: 1-line block ×3, first 2 shown]
	v_cmp_lt_u32_e64 s5, 1, v18
	s_waitcnt lgkmcnt(0)
	s_add_u32 s0, s16, s20
	s_addc_u32 s1, s17, 0
	s_lshr_b32 s15, s14, 16
	s_clause 0x3
	global_load_u8 v2, v8, s[0:1]
	global_load_u8 v3, v8, s[0:1] offset:128
	global_load_u8 v1, v8, s[0:1] offset:64
	;; [unrolled: 1-line block ×3, first 2 shown]
	s_mov_b32 s0, 0
	s_and_b32 s14, s14, 0xffff
	s_mov_b32 s3, s0
	s_mov_b32 s2, s0
	v_dual_mov_b32 v12, s3 :: v_dual_and_b32 v13, 28, v5
	v_cndmask_b32_e64 v5, v20, v5, s11
	s_mov_b32 s1, s0
	s_delay_alu instid0(SALU_CYCLE_1)
	v_dual_mov_b32 v11, s2 :: v_dual_mov_b32 v10, s1
	v_mov_b32_e32 v9, s0
	v_cmp_eq_u32_e64 s0, 3, v6
	v_cmp_eq_u32_e64 s1, 2, v6
	;; [unrolled: 1-line block ×4, first 2 shown]
	v_or_b32_e32 v6, 31, v8
	v_lshrrev_b32_e32 v19, 3, v8
	v_lshlrev_b32_e32 v17, 5, v8
	v_mul_i32_i24_e32 v23, 0xffffffe4, v8
	v_or_b32_e32 v14, 32, v13
	v_cmp_eq_u32_e64 s13, v6, v8
	v_mad_u32_u24 v6, v0, s15, v7
	v_and_b32_e32 v19, 4, v19
	v_or_b32_e32 v15, 64, v13
	v_or_b32_e32 v16, 0x60, v13
	v_cmp_lt_u32_e64 s6, 3, v18
	v_cmp_lt_u32_e64 s7, 7, v18
	v_cmp_gt_u32_e64 s9, 2, v8
	v_cmp_lt_u32_e64 s10, 31, v8
	v_cmp_eq_u32_e64 s11, 0, v8
	v_or_b32_e32 v18, 8, v17
	v_add_nc_u32_e32 v23, v17, v23
	s_mov_b32 s16, 10
	s_waitcnt vmcnt(3)
	v_add_nc_u16 v20, v2, 1
	s_waitcnt vmcnt(2)
	v_add_nc_u16 v21, v3, 1
	s_waitcnt vmcnt(1)
	v_lshlrev_b16 v22, 8, v1
	s_waitcnt vmcnt(0)
	v_lshlrev_b16 v4, 8, v4
	v_and_b32_e32 v1, 0xff, v20
	v_and_b32_e32 v20, 0xff, v21
	v_add_nc_u32_e32 v21, -4, v19
	s_delay_alu instid0(VALU_DEP_3) | instskip(NEXT) | instid1(VALU_DEP_3)
	v_or_b32_e32 v7, v22, v1
	v_or_b32_e32 v20, v4, v20
	v_mad_u64_u32 v[0:1], null, v6, s14, v[8:9]
	v_or_b32_e32 v1, v2, v22
	v_or_b32_e32 v2, v3, v4
	v_add_nc_u16 v3, v7, 0x100
	v_add_nc_u16 v4, v20, 0x100
	v_lshlrev_b32_e32 v20, 2, v5
	v_and_b32_e32 v1, 0xffff, v1
	v_lshlrev_b32_e32 v2, 16, v2
	v_and_b32_e32 v3, 0xffff, v3
	v_lshlrev_b32_e32 v6, 16, v4
	v_lshrrev_b32_e32 v22, 5, v0
	s_delay_alu instid0(VALU_DEP_4) | instskip(NEXT) | instid1(VALU_DEP_3)
	v_or_b32_e32 v4, v1, v2
	v_or_b32_e32 v0, v3, v6
	s_branch .LBB53_2
.LBB53_1:                               ;   in Loop: Header=BB53_2 Depth=1
	s_or_b32 exec_lo, exec_lo, s14
	v_perm_b32 v36, v36, v30, 0x3020104
	s_waitcnt lgkmcnt(0)
	v_add_nc_u32_e32 v3, v55, v3
	s_add_i32 s16, s16, -1
	s_delay_alu instid0(SALU_CYCLE_1) | instskip(SKIP_4) | instid1(VALU_DEP_1)
	s_cmp_eq_u32 s16, 0
	v_cndmask_b32_e64 v30, v30, v36, s2
	ds_bpermute_b32 v3, v20, v3
	v_and_b32_e32 v26, 0xff, v26
	v_perm_b32 v35, v35, v30, 0x3020104
	v_cndmask_b32_e64 v30, v30, v35, s1
	s_delay_alu instid0(VALU_DEP_1) | instskip(NEXT) | instid1(VALU_DEP_1)
	v_perm_b32 v34, v34, v30, 0x3020104
	v_cndmask_b32_e64 v30, v30, v34, s0
	s_waitcnt lgkmcnt(0)
	v_cndmask_b32_e32 v3, v3, v55, vcc_lo
	s_delay_alu instid0(VALU_DEP_2) | instskip(NEXT) | instid1(VALU_DEP_2)
	v_perm_b32 v31, v30, v31, 0x7060004
	v_cndmask_b32_e64 v3, v3, 0, s11
	s_delay_alu instid0(VALU_DEP_2) | instskip(NEXT) | instid1(VALU_DEP_2)
	v_cndmask_b32_e64 v30, v30, v31, s3
	v_add_nc_u32_e32 v4, v3, v4
	s_delay_alu instid0(VALU_DEP_2) | instskip(NEXT) | instid1(VALU_DEP_2)
	v_perm_b32 v31, v30, v32, 0x7060004
	v_add_nc_u32_e32 v5, v4, v5
	s_delay_alu instid0(VALU_DEP_2) | instskip(NEXT) | instid1(VALU_DEP_2)
	v_cndmask_b32_e64 v30, v30, v31, s2
	v_add_nc_u32_e32 v6, v5, v6
	s_delay_alu instid0(VALU_DEP_2) | instskip(NEXT) | instid1(VALU_DEP_1)
	v_perm_b32 v29, v30, v29, 0x7060004
	v_cndmask_b32_e64 v29, v30, v29, s1
	s_delay_alu instid0(VALU_DEP_1) | instskip(NEXT) | instid1(VALU_DEP_1)
	v_perm_b32 v28, v29, v28, 0x7060004
	v_cndmask_b32_e64 v28, v29, v28, s0
	s_delay_alu instid0(VALU_DEP_1) | instskip(NEXT) | instid1(VALU_DEP_1)
	v_lshrrev_b32_e32 v29, 16, v28
	v_and_b32_e32 v29, 0xffffff00, v29
	s_delay_alu instid0(VALU_DEP_1) | instskip(SKIP_1) | instid1(VALU_DEP_2)
	v_or_b32_e32 v26, v26, v29
	v_and_b32_e32 v29, 0xff, v43
	v_lshlrev_b32_e32 v26, 16, v26
	s_delay_alu instid0(VALU_DEP_1) | instskip(NEXT) | instid1(VALU_DEP_1)
	v_and_or_b32 v26, 0xffff, v28, v26
	v_cndmask_b32_e64 v26, v28, v26, s3
	s_delay_alu instid0(VALU_DEP_1) | instskip(NEXT) | instid1(VALU_DEP_1)
	v_lshrrev_b32_e32 v28, 16, v26
	v_and_b32_e32 v28, 0xffffff00, v28
	s_delay_alu instid0(VALU_DEP_1) | instskip(SKIP_1) | instid1(VALU_DEP_2)
	v_or_b32_e32 v28, v29, v28
	v_and_b32_e32 v29, 0xff, v42
	v_lshlrev_b32_e32 v28, 16, v28
	s_delay_alu instid0(VALU_DEP_1) | instskip(NEXT) | instid1(VALU_DEP_1)
	v_and_or_b32 v28, 0xffff, v26, v28
	;; [unrolled: 10-line block ×3, first 2 shown]
	v_cndmask_b32_e64 v26, v26, v28, s1
	s_delay_alu instid0(VALU_DEP_1) | instskip(NEXT) | instid1(VALU_DEP_1)
	v_lshrrev_b32_e32 v28, 16, v26
	v_and_b32_e32 v28, 0xffffff00, v28
	s_delay_alu instid0(VALU_DEP_1) | instskip(SKIP_1) | instid1(VALU_DEP_2)
	v_or_b32_e32 v28, v29, v28
	v_lshlrev_b16 v29, 8, v40
	v_lshlrev_b32_e32 v28, 16, v28
	s_delay_alu instid0(VALU_DEP_1) | instskip(NEXT) | instid1(VALU_DEP_1)
	v_and_or_b32 v28, 0xffff, v26, v28
	v_cndmask_b32_e64 v26, v26, v28, s0
	s_delay_alu instid0(VALU_DEP_1) | instskip(NEXT) | instid1(VALU_DEP_1)
	v_lshrrev_b32_e32 v28, 16, v26
	v_and_b32_e32 v28, 0xff, v28
	s_delay_alu instid0(VALU_DEP_1) | instskip(NEXT) | instid1(VALU_DEP_1)
	v_or_b32_e32 v28, v28, v29
	v_lshlrev_b32_e32 v28, 16, v28
	s_delay_alu instid0(VALU_DEP_1) | instskip(NEXT) | instid1(VALU_DEP_1)
	v_and_or_b32 v28, 0xffff, v26, v28
	v_cndmask_b32_e64 v26, v26, v28, s3
	v_add_nc_u32_e32 v28, v6, v7
	v_lshlrev_b16 v7, 8, v38
	s_delay_alu instid0(VALU_DEP_3) | instskip(NEXT) | instid1(VALU_DEP_1)
	v_lshrrev_b32_e32 v29, 16, v26
	v_and_b32_e32 v30, 0xff, v29
	s_delay_alu instid0(VALU_DEP_4) | instskip(NEXT) | instid1(VALU_DEP_2)
	v_add_nc_u32_e32 v29, v28, v0
	v_or_b32_e32 v7, v30, v7
	s_delay_alu instid0(VALU_DEP_2) | instskip(NEXT) | instid1(VALU_DEP_2)
	v_add_nc_u32_e32 v0, v29, v1
	v_lshlrev_b32_e32 v7, 16, v7
	s_delay_alu instid0(VALU_DEP_2)
	v_add_nc_u32_e32 v1, v0, v2
	ds_store_2addr_b64 v17, v[3:4], v[5:6] offset0:1 offset1:2
	ds_store_2addr_b64 v18, v[28:29], v[0:1] offset0:2 offset1:3
	v_and_or_b32 v2, 0xffff, v26, v7
	s_waitcnt lgkmcnt(0)
	s_barrier
	buffer_gl0_inv
	v_lshlrev_b16 v6, 8, v27
	v_cndmask_b32_e64 v0, v26, v2, s2
	ds_load_b32 v1, v37
	ds_load_b32 v2, v46
	;; [unrolled: 1-line block ×4, first 2 shown]
	s_waitcnt lgkmcnt(0)
	s_barrier
	buffer_gl0_inv
	v_lshrrev_b32_e32 v5, 16, v0
	s_delay_alu instid0(VALU_DEP_1) | instskip(NEXT) | instid1(VALU_DEP_1)
	v_and_b32_e32 v5, 0xff, v5
	v_or_b32_e32 v5, v5, v6
	v_add_nc_u32_e32 v6, v1, v33
	v_add3_u32 v7, v45, v44, v2
	s_delay_alu instid0(VALU_DEP_3)
	v_lshlrev_b32_e32 v5, 16, v5
	v_add3_u32 v26, v49, v48, v3
	v_add3_u32 v4, v53, v52, v4
	ds_store_b8 v6, v24
	ds_store_b8 v7, v39
	;; [unrolled: 1-line block ×4, first 2 shown]
	v_and_or_b32 v1, 0xffff, v0, v5
	s_waitcnt lgkmcnt(0)
	s_barrier
	buffer_gl0_inv
	v_lshlrev_b16 v3, 8, v25
	v_cndmask_b32_e64 v0, v0, v1, s1
	ds_load_b32 v1, v23
	s_waitcnt lgkmcnt(0)
	s_barrier
	buffer_gl0_inv
	v_lshrrev_b32_e32 v2, 16, v0
	s_delay_alu instid0(VALU_DEP_1) | instskip(NEXT) | instid1(VALU_DEP_1)
	v_and_b32_e32 v2, 0xff, v2
	v_or_b32_e32 v2, v2, v3
	s_delay_alu instid0(VALU_DEP_1)
	v_lshlrev_b32_e32 v2, 16, v2
	v_lshrrev_b32_e32 v3, 8, v1
	v_lshrrev_b32_e32 v24, 24, v1
	;; [unrolled: 1-line block ×3, first 2 shown]
	v_xor_b32_e32 v5, 0xffffff80, v1
	v_and_or_b32 v2, 0xffff, v0, v2
	v_xor_b32_e32 v1, 0xffffff80, v3
	s_delay_alu instid0(VALU_DEP_4) | instskip(NEXT) | instid1(VALU_DEP_3)
	v_xor_b32_e32 v3, 0xffffff80, v25
	v_cndmask_b32_e64 v0, v0, v2, s0
	v_xor_b32_e32 v2, 0xffffff80, v24
	v_and_b32_e32 v24, 0xff, v5
	v_lshlrev_b16 v25, 8, v1
	v_and_b32_e32 v30, 0xff, v3
	v_lshrrev_b32_e32 v27, 8, v0
	v_lshrrev_b32_e32 v29, 24, v0
	v_lshlrev_b16 v28, 8, v2
	ds_store_b8 v6, v0
	ds_store_b8 v7, v27
	ds_store_b8_d16_hi v26, v0
	ds_store_b8 v4, v29
	s_waitcnt lgkmcnt(0)
	s_barrier
	buffer_gl0_inv
	ds_load_b32 v0, v23
	v_or_b32_e32 v4, v24, v25
	v_or_b32_e32 v6, v30, v28
	s_delay_alu instid0(VALU_DEP_2) | instskip(NEXT) | instid1(VALU_DEP_2)
	v_and_b32_e32 v4, 0xffff, v4
	v_lshlrev_b32_e32 v6, 16, v6
	s_delay_alu instid0(VALU_DEP_1)
	v_or_b32_e32 v4, v4, v6
	s_cbranch_scc1 .LBB53_16
.LBB53_2:                               ; =>This Inner Loop Header: Depth=1
	s_delay_alu instid0(VALU_DEP_1) | instskip(SKIP_3) | instid1(VALU_DEP_4)
	v_lshrrev_b32_e32 v1, 8, v4
	v_xor_b32_e32 v2, 0x80, v4
	v_lshrrev_b32_e32 v3, 16, v4
	v_lshrrev_b32_e32 v4, 24, v4
	v_xor_b32_e32 v1, 0x80, v1
	s_delay_alu instid0(VALU_DEP_4) | instskip(NEXT) | instid1(VALU_DEP_4)
	v_and_b32_e32 v2, 0xff, v2
	v_xor_b32_e32 v3, 0x80, v3
	s_delay_alu instid0(VALU_DEP_4)
	v_xor_b32_e32 v4, 0x80, v4
	s_waitcnt lgkmcnt(0)
	s_barrier
	v_and_b32_e32 v1, 0xff, v1
	ds_bpermute_b32 v5, v13, v2
	v_and_b32_e32 v3, 0xff, v3
	v_and_b32_e32 v4, 0xffff, v4
	s_waitcnt lgkmcnt(0)
	buffer_gl0_inv
	ds_bpermute_b32 v6, v13, v1
	ds_store_2addr_b64 v17, v[9:10], v[11:12] offset0:1 offset1:2
	ds_store_2addr_b64 v18, v[9:10], v[11:12] offset0:2 offset1:3
	ds_bpermute_b32 v7, v13, v3
	ds_bpermute_b32 v24, v13, v4
	s_waitcnt lgkmcnt(0)
	s_barrier
	buffer_gl0_inv
	; wave barrier
	v_perm_b32 v6, v6, v5, 0x3020104
	s_delay_alu instid0(VALU_DEP_1) | instskip(SKIP_2) | instid1(VALU_DEP_1)
	v_cndmask_b32_e64 v5, v5, v6, s2
	ds_bpermute_b32 v6, v14, v2
	v_perm_b32 v7, v7, v5, 0x3020104
	v_cndmask_b32_e64 v5, v5, v7, s1
	s_delay_alu instid0(VALU_DEP_1) | instskip(SKIP_4) | instid1(VALU_DEP_2)
	v_perm_b32 v7, v24, v5, 0x3020104
	ds_bpermute_b32 v24, v14, v1
	v_cndmask_b32_e64 v5, v5, v7, s0
	s_waitcnt lgkmcnt(1)
	v_lshlrev_b16 v6, 8, v6
	v_and_b32_e32 v7, 0xff, v5
	s_delay_alu instid0(VALU_DEP_1) | instskip(NEXT) | instid1(VALU_DEP_1)
	v_or_b32_e32 v6, v7, v6
	v_and_b32_e32 v6, 0xffff, v6
	s_delay_alu instid0(VALU_DEP_1) | instskip(NEXT) | instid1(VALU_DEP_1)
	v_and_or_b32 v6, 0xffff0000, v5, v6
	v_cndmask_b32_e64 v5, v5, v6, s3
	s_waitcnt lgkmcnt(0)
	v_lshlrev_b16 v6, 8, v24
	ds_bpermute_b32 v24, v14, v3
	v_and_b32_e32 v7, 0xff, v5
	s_delay_alu instid0(VALU_DEP_1) | instskip(NEXT) | instid1(VALU_DEP_1)
	v_or_b32_e32 v6, v7, v6
	v_and_b32_e32 v6, 0xffff, v6
	s_delay_alu instid0(VALU_DEP_1) | instskip(NEXT) | instid1(VALU_DEP_1)
	v_and_or_b32 v6, 0xffff0000, v5, v6
	v_cndmask_b32_e64 v5, v5, v6, s2
	s_waitcnt lgkmcnt(0)
	v_lshlrev_b16 v6, 8, v24
	ds_bpermute_b32 v24, v14, v4
	v_and_b32_e32 v7, 0xff, v5
	s_delay_alu instid0(VALU_DEP_1) | instskip(NEXT) | instid1(VALU_DEP_1)
	v_or_b32_e32 v6, v7, v6
	v_and_b32_e32 v6, 0xffff, v6
	s_delay_alu instid0(VALU_DEP_1) | instskip(NEXT) | instid1(VALU_DEP_1)
	v_and_or_b32 v6, 0xffff0000, v5, v6
	v_cndmask_b32_e64 v5, v5, v6, s1
	s_waitcnt lgkmcnt(0)
	v_lshlrev_b16 v6, 8, v24
	s_delay_alu instid0(VALU_DEP_2) | instskip(NEXT) | instid1(VALU_DEP_1)
	v_and_b32_e32 v7, 0xff, v5
	v_or_b32_e32 v6, v7, v6
	ds_bpermute_b32 v7, v15, v2
	ds_bpermute_b32 v2, v16, v2
	v_and_b32_e32 v6, 0xffff, v6
	s_delay_alu instid0(VALU_DEP_1) | instskip(NEXT) | instid1(VALU_DEP_1)
	v_and_or_b32 v6, 0xffff0000, v5, v6
	v_cndmask_b32_e64 v5, v5, v6, s0
	s_delay_alu instid0(VALU_DEP_1)
	v_lshrrev_b32_e32 v6, 16, v5
	s_waitcnt lgkmcnt(1)
	v_and_b32_e32 v7, 0xff, v7
	s_waitcnt lgkmcnt(0)
	v_lshlrev_b16 v2, 8, v2
	v_and_b32_e32 v6, 0xffffff00, v6
	s_delay_alu instid0(VALU_DEP_1) | instskip(SKIP_3) | instid1(VALU_DEP_1)
	v_or_b32_e32 v6, v7, v6
	ds_bpermute_b32 v7, v15, v1
	ds_bpermute_b32 v1, v16, v1
	v_lshlrev_b32_e32 v6, 16, v6
	v_and_or_b32 v6, 0xffff, v5, v6
	s_delay_alu instid0(VALU_DEP_1) | instskip(NEXT) | instid1(VALU_DEP_1)
	v_cndmask_b32_e64 v5, v5, v6, s3
	v_lshrrev_b32_e32 v6, 16, v5
	s_waitcnt lgkmcnt(1)
	v_and_b32_e32 v7, 0xff, v7
	s_waitcnt lgkmcnt(0)
	v_lshlrev_b16 v1, 8, v1
	v_and_b32_e32 v6, 0xffffff00, v6
	s_delay_alu instid0(VALU_DEP_1) | instskip(SKIP_3) | instid1(VALU_DEP_1)
	v_or_b32_e32 v6, v7, v6
	ds_bpermute_b32 v7, v15, v3
	ds_bpermute_b32 v3, v16, v3
	v_lshlrev_b32_e32 v6, 16, v6
	v_and_or_b32 v6, 0xffff, v5, v6
	s_delay_alu instid0(VALU_DEP_1) | instskip(NEXT) | instid1(VALU_DEP_1)
	v_cndmask_b32_e64 v5, v5, v6, s2
	v_lshrrev_b32_e32 v6, 16, v5
	s_waitcnt lgkmcnt(1)
	v_and_b32_e32 v7, 0xff, v7
	s_waitcnt lgkmcnt(0)
	v_lshlrev_b16 v3, 8, v3
	v_and_b32_e32 v6, 0xffffff00, v6
	s_delay_alu instid0(VALU_DEP_1) | instskip(SKIP_2) | instid1(VALU_DEP_1)
	v_or_b32_e32 v6, v7, v6
	ds_bpermute_b32 v7, v15, v4
	v_lshlrev_b32_e32 v6, 16, v6
	v_and_or_b32 v6, 0xffff, v5, v6
	s_delay_alu instid0(VALU_DEP_1) | instskip(NEXT) | instid1(VALU_DEP_1)
	v_cndmask_b32_e64 v5, v5, v6, s1
	v_lshrrev_b32_e32 v6, 16, v5
	s_waitcnt lgkmcnt(0)
	v_and_b32_e32 v7, 0xff, v7
	s_delay_alu instid0(VALU_DEP_2) | instskip(NEXT) | instid1(VALU_DEP_1)
	v_and_b32_e32 v6, 0xffffff00, v6
	v_or_b32_e32 v6, v7, v6
	s_delay_alu instid0(VALU_DEP_1) | instskip(NEXT) | instid1(VALU_DEP_1)
	v_lshlrev_b32_e32 v6, 16, v6
	v_and_or_b32 v6, 0xffff, v5, v6
	s_delay_alu instid0(VALU_DEP_1) | instskip(NEXT) | instid1(VALU_DEP_1)
	v_cndmask_b32_e64 v5, v5, v6, s0
	v_lshrrev_b32_e32 v6, 16, v5
	s_delay_alu instid0(VALU_DEP_1) | instskip(NEXT) | instid1(VALU_DEP_1)
	v_and_b32_e32 v6, 0xff, v6
	v_or_b32_e32 v2, v6, v2
	s_delay_alu instid0(VALU_DEP_1) | instskip(NEXT) | instid1(VALU_DEP_1)
	v_lshlrev_b32_e32 v2, 16, v2
	v_and_or_b32 v2, 0xffff, v5, v2
	s_delay_alu instid0(VALU_DEP_1) | instskip(NEXT) | instid1(VALU_DEP_1)
	v_cndmask_b32_e64 v2, v5, v2, s3
	v_lshrrev_b32_e32 v5, 16, v2
	s_delay_alu instid0(VALU_DEP_1) | instskip(NEXT) | instid1(VALU_DEP_1)
	v_and_b32_e32 v5, 0xff, v5
	v_or_b32_e32 v1, v5, v1
	v_bfe_u32 v5, v0, 16, 8
	s_delay_alu instid0(VALU_DEP_2) | instskip(SKIP_4) | instid1(VALU_DEP_1)
	v_lshlrev_b32_e32 v1, 16, v1
	ds_bpermute_b32 v35, v13, v5
	ds_bpermute_b32 v29, v14, v5
	;; [unrolled: 1-line block ×3, first 2 shown]
	v_and_or_b32 v1, 0xffff, v2, v1
	v_cndmask_b32_e64 v1, v2, v1, s2
	s_delay_alu instid0(VALU_DEP_1) | instskip(NEXT) | instid1(VALU_DEP_1)
	v_lshrrev_b32_e32 v2, 16, v1
	v_and_b32_e32 v2, 0xff, v2
	s_delay_alu instid0(VALU_DEP_1)
	v_or_b32_e32 v2, v2, v3
	ds_bpermute_b32 v3, v16, v4
	v_bfe_u32 v4, v0, 8, 8
	v_lshlrev_b32_e32 v2, 16, v2
	ds_bpermute_b32 v36, v13, v4
	ds_bpermute_b32 v32, v14, v4
	ds_bpermute_b32 v43, v15, v4
	v_and_or_b32 v2, 0xffff, v1, v2
	s_delay_alu instid0(VALU_DEP_1) | instskip(NEXT) | instid1(VALU_DEP_1)
	v_cndmask_b32_e64 v1, v1, v2, s1
	v_lshrrev_b32_e32 v2, 16, v1
	s_waitcnt lgkmcnt(3)
	v_lshlrev_b16 v3, 8, v3
	s_delay_alu instid0(VALU_DEP_2) | instskip(NEXT) | instid1(VALU_DEP_1)
	v_and_b32_e32 v2, 0xff, v2
	v_or_b32_e32 v2, v2, v3
	v_and_b32_e32 v3, 0xff, v0
	v_lshrrev_b32_e32 v0, 24, v0
	s_delay_alu instid0(VALU_DEP_3)
	v_lshlrev_b32_e32 v2, 16, v2
	ds_bpermute_b32 v30, v13, v3
	ds_bpermute_b32 v31, v14, v3
	;; [unrolled: 1-line block ×4, first 2 shown]
	v_and_or_b32 v2, 0xffff, v1, v2
	ds_bpermute_b32 v34, v13, v0
	ds_bpermute_b32 v28, v14, v0
	;; [unrolled: 1-line block ×3, first 2 shown]
	v_cndmask_b32_e64 v24, v1, v2, s0
	s_delay_alu instid0(VALU_DEP_1)
	v_and_b32_e32 v1, 1, v24
	v_lshlrev_b32_e32 v2, 30, v24
	v_lshlrev_b32_e32 v6, 29, v24
	;; [unrolled: 1-line block ×4, first 2 shown]
	v_add_co_u32 v1, s14, v1, -1
	s_delay_alu instid0(VALU_DEP_1)
	v_cndmask_b32_e64 v25, 0, 1, s14
	v_not_b32_e32 v38, v2
	v_cmp_gt_i32_e64 s15, 0, v2
	v_not_b32_e32 v2, v6
	v_lshlrev_b32_e32 v33, 26, v24
	v_cmp_ne_u32_e64 s14, 0, v25
	v_ashrrev_i32_e32 v38, 31, v38
	v_lshlrev_b32_e32 v37, 25, v24
	v_ashrrev_i32_e32 v2, 31, v2
	v_lshlrev_b32_e32 v25, 24, v24
	v_xor_b32_e32 v1, s14, v1
	v_cmp_gt_i32_e64 s14, 0, v6
	v_not_b32_e32 v6, v7
	v_xor_b32_e32 v38, s15, v38
	v_cmp_gt_i32_e64 s15, 0, v7
	v_and_b32_e32 v1, exec_lo, v1
	v_not_b32_e32 v7, v27
	v_ashrrev_i32_e32 v6, 31, v6
	v_xor_b32_e32 v2, s14, v2
	v_cmp_gt_i32_e64 s14, 0, v27
	v_and_b32_e32 v1, v1, v38
	v_not_b32_e32 v27, v33
	v_ashrrev_i32_e32 v7, 31, v7
	v_xor_b32_e32 v6, s15, v6
	v_cmp_gt_i32_e64 s15, 0, v33
	v_and_b32_e32 v1, v1, v2
	;; [unrolled: 5-line block ×4, first 2 shown]
	v_ashrrev_i32_e32 v6, 31, v6
	v_xor_b32_e32 v2, s14, v2
	ds_bpermute_b32 v38, v16, v4
	ds_bpermute_b32 v25, v16, v0
	v_and_b32_e32 v1, v1, v27
	v_xor_b32_e32 v3, s15, v6
	ds_bpermute_b32 v27, v16, v5
	v_and_b32_e32 v1, v1, v2
	s_delay_alu instid0(VALU_DEP_1) | instskip(SKIP_1) | instid1(VALU_DEP_2)
	v_and_b32_e32 v0, v1, v3
	v_and_b32_e32 v1, 0xff, v24
	v_mbcnt_lo_u32_b32 v33, v0, 0
	s_delay_alu instid0(VALU_DEP_2) | instskip(SKIP_1) | instid1(VALU_DEP_3)
	v_lshl_add_u32 v1, v1, 1, v22
	v_cmp_ne_u32_e64 s15, 0, v0
	v_cmp_eq_u32_e64 s14, 0, v33
	s_delay_alu instid0(VALU_DEP_3) | instskip(NEXT) | instid1(VALU_DEP_2)
	v_lshl_add_u32 v37, v1, 2, 8
	s_and_b32 s15, s15, s14
	s_delay_alu instid0(SALU_CYCLE_1)
	s_and_saveexec_b32 s14, s15
	s_cbranch_execz .LBB53_4
; %bb.3:                                ;   in Loop: Header=BB53_2 Depth=1
	v_bcnt_u32_b32 v0, v0, 0
	ds_store_b32 v37, v0
.LBB53_4:                               ;   in Loop: Header=BB53_2 Depth=1
	s_or_b32 exec_lo, exec_lo, s14
	v_bfe_u32 v0, v24, 8, 1
	v_lshrrev_b32_e32 v39, 8, v24
	; wave barrier
	s_delay_alu instid0(VALU_DEP_2) | instskip(NEXT) | instid1(VALU_DEP_1)
	v_add_co_u32 v0, s14, v0, -1
	v_cndmask_b32_e64 v1, 0, 1, s14
	s_delay_alu instid0(VALU_DEP_3)
	v_lshlrev_b32_e32 v2, 30, v39
	v_lshlrev_b32_e32 v3, 29, v39
	;; [unrolled: 1-line block ×4, first 2 shown]
	v_cmp_ne_u32_e64 s14, 0, v1
	v_not_b32_e32 v1, v2
	v_cmp_gt_i32_e64 s15, 0, v2
	v_not_b32_e32 v2, v3
	v_lshlrev_b32_e32 v6, 26, v39
	v_xor_b32_e32 v0, s14, v0
	v_ashrrev_i32_e32 v1, 31, v1
	v_cmp_gt_i32_e64 s14, 0, v3
	v_not_b32_e32 v3, v4
	v_ashrrev_i32_e32 v2, 31, v2
	v_and_b32_e32 v0, exec_lo, v0
	v_xor_b32_e32 v1, s15, v1
	v_cmp_gt_i32_e64 s15, 0, v4
	v_not_b32_e32 v4, v5
	v_ashrrev_i32_e32 v3, 31, v3
	v_xor_b32_e32 v2, s14, v2
	v_and_b32_e32 v0, v0, v1
	v_cmp_gt_i32_e64 s14, 0, v5
	v_not_b32_e32 v1, v6
	v_ashrrev_i32_e32 v4, 31, v4
	v_xor_b32_e32 v3, s15, v3
	v_and_b32_e32 v0, v0, v2
	v_lshlrev_b32_e32 v2, 25, v39
	v_cmp_gt_i32_e64 s15, 0, v6
	v_ashrrev_i32_e32 v1, 31, v1
	v_xor_b32_e32 v4, s14, v4
	v_and_b32_e32 v0, v0, v3
	v_not_b32_e32 v5, v2
	v_lshlrev_b32_e32 v6, 24, v39
	v_lshrrev_b32_e32 v3, 7, v24
	v_xor_b32_e32 v1, s15, v1
	v_and_b32_e32 v0, v0, v4
	v_cmp_gt_i32_e64 s14, 0, v2
	v_ashrrev_i32_e32 v2, 31, v5
	v_not_b32_e32 v4, v6
	v_and_b32_e32 v3, 0x1fe, v3
	v_and_b32_e32 v0, v0, v1
	s_delay_alu instid0(VALU_DEP_4) | instskip(SKIP_3) | instid1(VALU_DEP_4)
	v_xor_b32_e32 v1, s14, v2
	v_cmp_gt_i32_e64 s14, 0, v6
	v_ashrrev_i32_e32 v2, 31, v4
	v_add_lshl_u32 v3, v22, v3, 2
	v_and_b32_e32 v0, v0, v1
	s_delay_alu instid0(VALU_DEP_3) | instskip(SKIP_3) | instid1(VALU_DEP_1)
	v_xor_b32_e32 v1, s14, v2
	ds_load_b32 v44, v3 offset:8
	v_add_nc_u32_e32 v46, 8, v3
	; wave barrier
	v_and_b32_e32 v0, v0, v1
	v_mbcnt_lo_u32_b32 v45, v0, 0
	v_cmp_ne_u32_e64 s15, 0, v0
	s_delay_alu instid0(VALU_DEP_2) | instskip(NEXT) | instid1(VALU_DEP_1)
	v_cmp_eq_u32_e64 s14, 0, v45
	s_and_b32 s15, s15, s14
	s_delay_alu instid0(SALU_CYCLE_1)
	s_and_saveexec_b32 s14, s15
	s_cbranch_execz .LBB53_6
; %bb.5:                                ;   in Loop: Header=BB53_2 Depth=1
	s_waitcnt lgkmcnt(0)
	v_bcnt_u32_b32 v0, v0, v44
	ds_store_b32 v46, v0
.LBB53_6:                               ;   in Loop: Header=BB53_2 Depth=1
	s_or_b32 exec_lo, exec_lo, s14
	v_bfe_u32 v0, v24, 16, 1
	v_lshrrev_b32_e32 v47, 16, v24
	; wave barrier
	s_delay_alu instid0(VALU_DEP_2) | instskip(NEXT) | instid1(VALU_DEP_1)
	v_add_co_u32 v0, s14, v0, -1
	v_cndmask_b32_e64 v1, 0, 1, s14
	s_delay_alu instid0(VALU_DEP_3)
	v_lshlrev_b32_e32 v2, 30, v47
	v_lshlrev_b32_e32 v3, 29, v47
	;; [unrolled: 1-line block ×4, first 2 shown]
	v_cmp_ne_u32_e64 s14, 0, v1
	v_not_b32_e32 v1, v2
	v_cmp_gt_i32_e64 s15, 0, v2
	v_not_b32_e32 v2, v3
	v_lshlrev_b32_e32 v6, 26, v47
	v_xor_b32_e32 v0, s14, v0
	v_ashrrev_i32_e32 v1, 31, v1
	v_cmp_gt_i32_e64 s14, 0, v3
	v_not_b32_e32 v3, v4
	v_ashrrev_i32_e32 v2, 31, v2
	v_and_b32_e32 v0, exec_lo, v0
	v_xor_b32_e32 v1, s15, v1
	v_cmp_gt_i32_e64 s15, 0, v4
	v_not_b32_e32 v4, v5
	v_ashrrev_i32_e32 v3, 31, v3
	v_xor_b32_e32 v2, s14, v2
	v_and_b32_e32 v0, v0, v1
	v_cmp_gt_i32_e64 s14, 0, v5
	v_not_b32_e32 v1, v6
	v_ashrrev_i32_e32 v4, 31, v4
	v_xor_b32_e32 v3, s15, v3
	v_and_b32_e32 v0, v0, v2
	v_lshlrev_b32_e32 v2, 25, v47
	v_cmp_gt_i32_e64 s15, 0, v6
	v_ashrrev_i32_e32 v1, 31, v1
	v_xor_b32_e32 v4, s14, v4
	v_and_b32_e32 v0, v0, v3
	v_not_b32_e32 v5, v2
	v_lshlrev_b32_e32 v6, 24, v47
	v_lshrrev_b32_e32 v3, 15, v24
	v_xor_b32_e32 v1, s15, v1
	v_and_b32_e32 v0, v0, v4
	v_cmp_gt_i32_e64 s14, 0, v2
	v_ashrrev_i32_e32 v2, 31, v5
	v_not_b32_e32 v4, v6
	v_and_b32_e32 v3, 0x1fe, v3
	v_and_b32_e32 v0, v0, v1
	s_delay_alu instid0(VALU_DEP_4) | instskip(SKIP_3) | instid1(VALU_DEP_4)
	v_xor_b32_e32 v1, s14, v2
	v_cmp_gt_i32_e64 s14, 0, v6
	v_ashrrev_i32_e32 v2, 31, v4
	v_add_lshl_u32 v3, v22, v3, 2
	v_and_b32_e32 v0, v0, v1
	s_delay_alu instid0(VALU_DEP_3) | instskip(SKIP_3) | instid1(VALU_DEP_1)
	v_xor_b32_e32 v1, s14, v2
	ds_load_b32 v48, v3 offset:8
	v_add_nc_u32_e32 v50, 8, v3
	; wave barrier
	v_and_b32_e32 v0, v0, v1
	v_mbcnt_lo_u32_b32 v49, v0, 0
	v_cmp_ne_u32_e64 s15, 0, v0
	s_delay_alu instid0(VALU_DEP_2) | instskip(NEXT) | instid1(VALU_DEP_1)
	v_cmp_eq_u32_e64 s14, 0, v49
	s_and_b32 s15, s15, s14
	s_delay_alu instid0(SALU_CYCLE_1)
	s_and_saveexec_b32 s14, s15
	s_cbranch_execz .LBB53_8
; %bb.7:                                ;   in Loop: Header=BB53_2 Depth=1
	s_waitcnt lgkmcnt(0)
	v_bcnt_u32_b32 v0, v0, v48
	ds_store_b32 v50, v0
.LBB53_8:                               ;   in Loop: Header=BB53_2 Depth=1
	s_or_b32 exec_lo, exec_lo, s14
	v_bfe_u32 v0, v24, 24, 1
	v_lshrrev_b32_e32 v51, 24, v24
	; wave barrier
	s_delay_alu instid0(VALU_DEP_2) | instskip(NEXT) | instid1(VALU_DEP_1)
	v_add_co_u32 v0, s14, v0, -1
	v_cndmask_b32_e64 v1, 0, 1, s14
	s_delay_alu instid0(VALU_DEP_3)
	v_lshlrev_b32_e32 v2, 30, v51
	v_lshlrev_b32_e32 v3, 29, v51
	;; [unrolled: 1-line block ×4, first 2 shown]
	v_cmp_ne_u32_e64 s14, 0, v1
	v_not_b32_e32 v1, v2
	v_cmp_gt_i32_e64 s15, 0, v2
	v_not_b32_e32 v2, v3
	v_lshlrev_b32_e32 v6, 26, v51
	v_xor_b32_e32 v0, s14, v0
	v_ashrrev_i32_e32 v1, 31, v1
	v_cmp_gt_i32_e64 s14, 0, v3
	v_not_b32_e32 v3, v4
	v_ashrrev_i32_e32 v2, 31, v2
	v_and_b32_e32 v0, exec_lo, v0
	v_xor_b32_e32 v1, s15, v1
	v_cmp_gt_i32_e64 s15, 0, v4
	v_not_b32_e32 v4, v5
	v_ashrrev_i32_e32 v3, 31, v3
	v_xor_b32_e32 v2, s14, v2
	v_and_b32_e32 v0, v0, v1
	v_lshlrev_b32_e32 v1, 25, v51
	v_cmp_gt_i32_e64 s14, 0, v5
	v_ashrrev_i32_e32 v4, 31, v4
	v_xor_b32_e32 v3, s15, v3
	v_and_b32_e32 v0, v0, v2
	v_not_b32_e32 v5, v6
	v_not_b32_e32 v7, v1
	v_xor_b32_e32 v4, s14, v4
	v_cmp_gt_i32_e64 s14, 0, v6
	v_and_b32_e32 v0, v0, v3
	v_ashrrev_i32_e32 v3, 31, v5
	v_and_b32_e32 v2, 0xff000000, v24
	v_cmp_gt_i32_e64 s15, 0, v1
	v_ashrrev_i32_e32 v1, 31, v7
	v_and_b32_e32 v0, v0, v4
	v_not_b32_e32 v4, v24
	v_xor_b32_e32 v3, s14, v3
	v_lshlrev_b32_e32 v5, 1, v51
	v_xor_b32_e32 v1, s15, v1
	v_cmp_gt_i32_e64 s14, 0, v2
	v_ashrrev_i32_e32 v2, 31, v4
	v_and_b32_e32 v0, v0, v3
	v_add_lshl_u32 v3, v22, v5, 2
	s_delay_alu instid0(VALU_DEP_3) | instskip(NEXT) | instid1(VALU_DEP_3)
	v_xor_b32_e32 v2, s14, v2
	v_and_b32_e32 v0, v0, v1
	ds_load_b32 v52, v3 offset:8
	v_add_nc_u32_e32 v54, 8, v3
	; wave barrier
	v_and_b32_e32 v0, v0, v2
	s_delay_alu instid0(VALU_DEP_1) | instskip(SKIP_1) | instid1(VALU_DEP_2)
	v_mbcnt_lo_u32_b32 v53, v0, 0
	v_cmp_ne_u32_e64 s15, 0, v0
	v_cmp_eq_u32_e64 s14, 0, v53
	s_delay_alu instid0(VALU_DEP_1) | instskip(NEXT) | instid1(SALU_CYCLE_1)
	s_and_b32 s15, s15, s14
	s_and_saveexec_b32 s14, s15
	s_cbranch_execz .LBB53_10
; %bb.9:                                ;   in Loop: Header=BB53_2 Depth=1
	s_waitcnt lgkmcnt(0)
	v_bcnt_u32_b32 v0, v0, v52
	ds_store_b32 v54, v0
.LBB53_10:                              ;   in Loop: Header=BB53_2 Depth=1
	s_or_b32 exec_lo, exec_lo, s14
	; wave barrier
	s_waitcnt lgkmcnt(0)
	s_barrier
	buffer_gl0_inv
	ds_load_2addr_b64 v[4:7], v17 offset0:1 offset1:2
	ds_load_2addr_b64 v[0:3], v18 offset0:2 offset1:3
	s_waitcnt lgkmcnt(1)
	v_add_nc_u32_e32 v55, v5, v4
	s_delay_alu instid0(VALU_DEP_1) | instskip(SKIP_1) | instid1(VALU_DEP_1)
	v_add3_u32 v55, v55, v6, v7
	s_waitcnt lgkmcnt(0)
	v_add3_u32 v55, v55, v0, v1
	s_delay_alu instid0(VALU_DEP_1) | instskip(NEXT) | instid1(VALU_DEP_1)
	v_add3_u32 v3, v55, v2, v3
	v_mov_b32_dpp v55, v3 row_shr:1 row_mask:0xf bank_mask:0xf
	s_delay_alu instid0(VALU_DEP_1) | instskip(NEXT) | instid1(VALU_DEP_1)
	v_cndmask_b32_e64 v55, v55, 0, s4
	v_add_nc_u32_e32 v3, v55, v3
	s_delay_alu instid0(VALU_DEP_1) | instskip(NEXT) | instid1(VALU_DEP_1)
	v_mov_b32_dpp v55, v3 row_shr:2 row_mask:0xf bank_mask:0xf
	v_cndmask_b32_e64 v55, 0, v55, s5
	s_delay_alu instid0(VALU_DEP_1) | instskip(NEXT) | instid1(VALU_DEP_1)
	v_add_nc_u32_e32 v3, v3, v55
	v_mov_b32_dpp v55, v3 row_shr:4 row_mask:0xf bank_mask:0xf
	s_delay_alu instid0(VALU_DEP_1) | instskip(NEXT) | instid1(VALU_DEP_1)
	v_cndmask_b32_e64 v55, 0, v55, s6
	v_add_nc_u32_e32 v3, v3, v55
	s_delay_alu instid0(VALU_DEP_1) | instskip(NEXT) | instid1(VALU_DEP_1)
	v_mov_b32_dpp v55, v3 row_shr:8 row_mask:0xf bank_mask:0xf
	v_cndmask_b32_e64 v55, 0, v55, s7
	s_delay_alu instid0(VALU_DEP_1) | instskip(SKIP_3) | instid1(VALU_DEP_1)
	v_add_nc_u32_e32 v3, v3, v55
	ds_swizzle_b32 v55, v3 offset:swizzle(BROADCAST,32,15)
	s_waitcnt lgkmcnt(0)
	v_cndmask_b32_e64 v55, v55, 0, s8
	v_add_nc_u32_e32 v3, v3, v55
	s_and_saveexec_b32 s14, s13
	s_cbranch_execz .LBB53_12
; %bb.11:                               ;   in Loop: Header=BB53_2 Depth=1
	ds_store_b32 v19, v3
.LBB53_12:                              ;   in Loop: Header=BB53_2 Depth=1
	s_or_b32 exec_lo, exec_lo, s14
	s_waitcnt lgkmcnt(0)
	s_barrier
	buffer_gl0_inv
	s_and_saveexec_b32 s14, s9
	s_cbranch_execz .LBB53_14
; %bb.13:                               ;   in Loop: Header=BB53_2 Depth=1
	ds_load_b32 v55, v23
	s_waitcnt lgkmcnt(0)
	v_mov_b32_dpp v56, v55 row_shr:1 row_mask:0xf bank_mask:0xf
	s_delay_alu instid0(VALU_DEP_1) | instskip(NEXT) | instid1(VALU_DEP_1)
	v_cndmask_b32_e64 v56, v56, 0, s12
	v_add_nc_u32_e32 v55, v56, v55
	ds_store_b32 v23, v55
.LBB53_14:                              ;   in Loop: Header=BB53_2 Depth=1
	s_or_b32 exec_lo, exec_lo, s14
	v_mov_b32_e32 v55, 0
	s_waitcnt lgkmcnt(0)
	s_barrier
	buffer_gl0_inv
	s_and_saveexec_b32 s14, s10
	s_cbranch_execz .LBB53_1
; %bb.15:                               ;   in Loop: Header=BB53_2 Depth=1
	ds_load_b32 v55, v21
	s_branch .LBB53_1
.LBB53_16:
	s_waitcnt lgkmcnt(0)
	v_lshrrev_b32_e32 v7, 8, v0
	s_add_u32 s0, s18, s20
	v_lshrrev_b32_e32 v6, 16, v0
	v_lshrrev_b32_e32 v9, 24, v0
	s_addc_u32 s1, s19, 0
	v_add_co_u32 v4, s0, s0, v8
	v_add_nc_u16 v0, v5, v0
	v_add_co_ci_u32_e64 v5, null, s1, 0, s0
	v_add_nc_u16 v1, v1, v7
	v_add_nc_u16 v3, v3, v6
	;; [unrolled: 1-line block ×3, first 2 shown]
	s_clause 0x3
	global_store_b8 v[4:5], v0, off
	global_store_b8 v[4:5], v1, off offset:64
	global_store_b8 v[4:5], v3, off offset:128
	;; [unrolled: 1-line block ×3, first 2 shown]
	s_nop 0
	s_sendmsg sendmsg(MSG_DEALLOC_VGPRS)
	s_endpgm
	.section	.rodata,"a",@progbits
	.p2align	6, 0x0
	.amdhsa_kernel _Z17sort_pairs_kernelI22helper_blocked_blockedaLj64ELj4ELj10EEvPKT0_PS1_
		.amdhsa_group_segment_fixed_size 2064
		.amdhsa_private_segment_fixed_size 0
		.amdhsa_kernarg_size 272
		.amdhsa_user_sgpr_count 15
		.amdhsa_user_sgpr_dispatch_ptr 0
		.amdhsa_user_sgpr_queue_ptr 0
		.amdhsa_user_sgpr_kernarg_segment_ptr 1
		.amdhsa_user_sgpr_dispatch_id 0
		.amdhsa_user_sgpr_private_segment_size 0
		.amdhsa_wavefront_size32 1
		.amdhsa_uses_dynamic_stack 0
		.amdhsa_enable_private_segment 0
		.amdhsa_system_sgpr_workgroup_id_x 1
		.amdhsa_system_sgpr_workgroup_id_y 0
		.amdhsa_system_sgpr_workgroup_id_z 0
		.amdhsa_system_sgpr_workgroup_info 0
		.amdhsa_system_vgpr_workitem_id 2
		.amdhsa_next_free_vgpr 57
		.amdhsa_next_free_sgpr 21
		.amdhsa_reserve_vcc 1
		.amdhsa_float_round_mode_32 0
		.amdhsa_float_round_mode_16_64 0
		.amdhsa_float_denorm_mode_32 3
		.amdhsa_float_denorm_mode_16_64 3
		.amdhsa_dx10_clamp 1
		.amdhsa_ieee_mode 1
		.amdhsa_fp16_overflow 0
		.amdhsa_workgroup_processor_mode 1
		.amdhsa_memory_ordered 1
		.amdhsa_forward_progress 0
		.amdhsa_shared_vgpr_count 0
		.amdhsa_exception_fp_ieee_invalid_op 0
		.amdhsa_exception_fp_denorm_src 0
		.amdhsa_exception_fp_ieee_div_zero 0
		.amdhsa_exception_fp_ieee_overflow 0
		.amdhsa_exception_fp_ieee_underflow 0
		.amdhsa_exception_fp_ieee_inexact 0
		.amdhsa_exception_int_div_zero 0
	.end_amdhsa_kernel
	.section	.text._Z17sort_pairs_kernelI22helper_blocked_blockedaLj64ELj4ELj10EEvPKT0_PS1_,"axG",@progbits,_Z17sort_pairs_kernelI22helper_blocked_blockedaLj64ELj4ELj10EEvPKT0_PS1_,comdat
.Lfunc_end53:
	.size	_Z17sort_pairs_kernelI22helper_blocked_blockedaLj64ELj4ELj10EEvPKT0_PS1_, .Lfunc_end53-_Z17sort_pairs_kernelI22helper_blocked_blockedaLj64ELj4ELj10EEvPKT0_PS1_
                                        ; -- End function
	.section	.AMDGPU.csdata,"",@progbits
; Kernel info:
; codeLenInByte = 4700
; NumSgprs: 23
; NumVgprs: 57
; ScratchSize: 0
; MemoryBound: 0
; FloatMode: 240
; IeeeMode: 1
; LDSByteSize: 2064 bytes/workgroup (compile time only)
; SGPRBlocks: 2
; VGPRBlocks: 7
; NumSGPRsForWavesPerEU: 23
; NumVGPRsForWavesPerEU: 57
; Occupancy: 16
; WaveLimiterHint : 0
; COMPUTE_PGM_RSRC2:SCRATCH_EN: 0
; COMPUTE_PGM_RSRC2:USER_SGPR: 15
; COMPUTE_PGM_RSRC2:TRAP_HANDLER: 0
; COMPUTE_PGM_RSRC2:TGID_X_EN: 1
; COMPUTE_PGM_RSRC2:TGID_Y_EN: 0
; COMPUTE_PGM_RSRC2:TGID_Z_EN: 0
; COMPUTE_PGM_RSRC2:TIDIG_COMP_CNT: 2
	.section	.text._Z16sort_keys_kernelI22helper_blocked_blockedaLj64ELj8ELj10EEvPKT0_PS1_,"axG",@progbits,_Z16sort_keys_kernelI22helper_blocked_blockedaLj64ELj8ELj10EEvPKT0_PS1_,comdat
	.protected	_Z16sort_keys_kernelI22helper_blocked_blockedaLj64ELj8ELj10EEvPKT0_PS1_ ; -- Begin function _Z16sort_keys_kernelI22helper_blocked_blockedaLj64ELj8ELj10EEvPKT0_PS1_
	.globl	_Z16sort_keys_kernelI22helper_blocked_blockedaLj64ELj8ELj10EEvPKT0_PS1_
	.p2align	8
	.type	_Z16sort_keys_kernelI22helper_blocked_blockedaLj64ELj8ELj10EEvPKT0_PS1_,@function
_Z16sort_keys_kernelI22helper_blocked_blockedaLj64ELj8ELj10EEvPKT0_PS1_: ; @_Z16sort_keys_kernelI22helper_blocked_blockedaLj64ELj8ELj10EEvPKT0_PS1_
; %bb.0:
	s_clause 0x1
	s_load_b128 s[16:19], s[0:1], 0x0
	s_load_b32 s9, s[0:1], 0x1c
	s_lshl_b32 s12, s15, 9
	v_and_b32_e32 v8, 0x3ff, v0
	v_mbcnt_lo_u32_b32 v14, -1, 0
	v_bfe_u32 v20, v0, 10, 10
	v_bfe_u32 v0, v0, 20, 10
	s_mov_b32 s13, 10
	s_delay_alu instid0(VALU_DEP_3)
	v_and_b32_e32 v18, 1, v14
	v_add_nc_u32_e32 v17, -1, v14
	v_and_b32_e32 v16, 16, v14
	v_cmp_eq_u32_e32 vcc_lo, 0, v14
	v_and_b32_e32 v15, 15, v14
	v_cmp_eq_u32_e64 s8, 0, v18
	v_cmp_gt_i32_e64 s7, 0, v17
	v_cmp_eq_u32_e64 s4, 0, v16
	s_waitcnt lgkmcnt(0)
	s_add_u32 s0, s16, s12
	s_addc_u32 s1, s17, 0
	s_clause 0x7
	global_load_u8 v1, v8, s[0:1] offset:64
	global_load_u8 v2, v8, s[0:1] offset:192
	;; [unrolled: 1-line block ×4, first 2 shown]
	global_load_u8 v5, v8, s[0:1]
	global_load_u8 v6, v8, s[0:1] offset:128
	global_load_u8 v7, v8, s[0:1] offset:256
	;; [unrolled: 1-line block ×3, first 2 shown]
	s_mov_b32 s0, 0
	s_lshr_b32 s10, s9, 16
	s_mov_b32 s1, s0
	s_mov_b32 s2, s0
	;; [unrolled: 1-line block ×3, first 2 shown]
	v_dual_mov_b32 v10, s1 :: v_dual_mov_b32 v9, s0
	v_lshrrev_b32_e32 v23, 3, v8
	v_mad_u32_u24 v20, v0, s10, v20
	s_and_b32 s9, s9, 0xffff
	v_lshlrev_b32_e32 v21, 3, v8
	v_and_b32_e32 v22, 32, v8
	v_and_b32_e32 v18, 4, v23
	v_lshlrev_b32_e32 v13, 5, v8
	v_lshlrev_b32_e32 v24, 2, v8
	v_mov_b32_e32 v12, s3
	v_cndmask_b32_e64 v16, v17, v14, s7
	v_or_b32_e32 v25, v14, v22
	v_and_or_b32 v14, 0x100, v21, v14
	v_or_b32_e32 v21, 31, v22
	v_mad_i32_i24 v17, 0xffffffe8, v8, v13
	v_sub_nc_u32_e32 v22, 0, v24
	v_mov_b32_e32 v11, s2
	v_cmp_eq_u32_e64 s0, 0, v15
	v_cmp_lt_u32_e64 s1, 1, v15
	v_cmp_lt_u32_e64 s2, 3, v15
	;; [unrolled: 1-line block ×3, first 2 shown]
	v_cmp_gt_u32_e64 s5, 2, v8
	v_cmp_lt_u32_e64 s6, 31, v8
	v_cmp_eq_u32_e64 s7, 0, v8
	v_or_b32_e32 v15, 8, v13
	v_lshlrev_b32_e32 v16, 2, v16
	v_add_nc_u32_e32 v22, v17, v22
	s_waitcnt vmcnt(7)
	v_lshlrev_b16 v23, 8, v1
	s_waitcnt vmcnt(6)
	v_lshlrev_b16 v2, 8, v2
	;; [unrolled: 2-line block ×4, first 2 shown]
	v_mad_u64_u32 v[0:1], null, v20, s9, v[8:9]
	s_waitcnt vmcnt(3)
	v_or_b32_e32 v1, v5, v23
	s_waitcnt vmcnt(2)
	v_or_b32_e32 v2, v6, v2
	;; [unrolled: 2-line block ×4, first 2 shown]
	v_lshlrev_b32_e32 v19, 3, v25
	v_and_b32_e32 v1, 0xffff, v1
	v_lshlrev_b32_e32 v2, 16, v2
	v_and_b32_e32 v3, 0xffff, v3
	v_lshlrev_b32_e32 v4, 16, v4
	v_cmp_eq_u32_e64 s9, v21, v8
	v_add_nc_u32_e32 v20, -4, v18
	v_lshrrev_b32_e32 v21, 5, v0
	v_or_b32_e32 v23, v1, v2
	v_or_b32_e32 v24, v3, v4
	s_branch .LBB54_2
.LBB54_1:                               ;   in Loop: Header=BB54_2 Depth=1
	s_or_b32 exec_lo, exec_lo, s10
	s_waitcnt lgkmcnt(0)
	v_add_nc_u32_e32 v3, v54, v3
	s_add_i32 s13, s13, -1
	s_delay_alu instid0(SALU_CYCLE_1) | instskip(SKIP_3) | instid1(VALU_DEP_1)
	s_cmp_eq_u32 s13, 0
	ds_bpermute_b32 v3, v16, v3
	s_waitcnt lgkmcnt(0)
	v_cndmask_b32_e32 v3, v3, v54, vcc_lo
	v_cndmask_b32_e64 v3, v3, 0, s7
	s_delay_alu instid0(VALU_DEP_1) | instskip(NEXT) | instid1(VALU_DEP_1)
	v_add_nc_u32_e32 v4, v3, v4
	v_add_nc_u32_e32 v5, v4, v5
	s_delay_alu instid0(VALU_DEP_1) | instskip(NEXT) | instid1(VALU_DEP_1)
	v_add_nc_u32_e32 v6, v5, v6
	v_add_nc_u32_e32 v54, v6, v7
	;; [unrolled: 3-line block ×3, first 2 shown]
	s_delay_alu instid0(VALU_DEP_1)
	v_add_nc_u32_e32 v1, v0, v2
	ds_store_2addr_b64 v13, v[3:4], v[5:6] offset0:1 offset1:2
	ds_store_2addr_b64 v15, v[54:55], v[0:1] offset0:2 offset1:3
	s_waitcnt lgkmcnt(0)
	s_barrier
	buffer_gl0_inv
	ds_load_b32 v0, v32
	ds_load_b32 v1, v35
	;; [unrolled: 1-line block ×8, first 2 shown]
	s_waitcnt lgkmcnt(0)
	s_barrier
	buffer_gl0_inv
	v_add_nc_u32_e32 v0, v0, v31
	v_add3_u32 v1, v34, v33, v1
	v_add3_u32 v2, v37, v36, v2
	v_add3_u32 v3, v40, v39, v3
	v_add3_u32 v4, v43, v42, v4
	v_add3_u32 v5, v46, v45, v5
	v_add3_u32 v6, v49, v48, v6
	v_add3_u32 v7, v52, v51, v7
	ds_store_b8 v0, v23
	ds_store_b8 v1, v24
	;; [unrolled: 1-line block ×8, first 2 shown]
	s_waitcnt lgkmcnt(0)
	s_barrier
	buffer_gl0_inv
	ds_load_b64 v[0:1], v17
	s_waitcnt lgkmcnt(0)
	v_lshrrev_b32_e32 v2, 8, v0
	v_lshrrev_b32_e32 v3, 16, v0
	;; [unrolled: 1-line block ×6, first 2 shown]
	v_xor_b32_e32 v0, 0xffffff80, v0
	v_xor_b32_e32 v1, 0xffffff80, v1
	v_xor_b32_e32 v5, 0xffffff80, v2
	v_xor_b32_e32 v6, 0xffffff80, v3
	v_xor_b32_e32 v7, 0xffffff80, v4
	v_xor_b32_e32 v2, 0xffffff80, v23
	v_xor_b32_e32 v3, 0xffffff80, v24
	v_xor_b32_e32 v4, 0xffffff80, v25
	v_and_b32_e32 v23, 0xff, v0
	v_and_b32_e32 v24, 0xff, v1
	v_lshlrev_b16 v25, 8, v5
	v_lshlrev_b16 v26, 8, v7
	v_and_b32_e32 v27, 0xff, v6
	v_lshlrev_b16 v28, 8, v2
	v_lshlrev_b16 v29, 8, v4
	v_and_b32_e32 v30, 0xff, v3
	v_or_b32_e32 v23, v23, v25
	v_or_b32_e32 v25, v27, v26
	;; [unrolled: 1-line block ×3, first 2 shown]
	s_delay_alu instid0(VALU_DEP_4) | instskip(NEXT) | instid1(VALU_DEP_4)
	v_or_b32_e32 v26, v30, v29
	v_and_b32_e32 v23, 0xffff, v23
	s_delay_alu instid0(VALU_DEP_4) | instskip(NEXT) | instid1(VALU_DEP_4)
	v_lshlrev_b32_e32 v25, 16, v25
	v_and_b32_e32 v24, 0xffff, v24
	s_delay_alu instid0(VALU_DEP_4) | instskip(NEXT) | instid1(VALU_DEP_3)
	v_lshlrev_b32_e32 v26, 16, v26
	v_or_b32_e32 v23, v23, v25
	s_delay_alu instid0(VALU_DEP_2)
	v_or_b32_e32 v24, v24, v26
	s_cbranch_scc1 .LBB54_24
.LBB54_2:                               ; =>This Inner Loop Header: Depth=1
	s_delay_alu instid0(VALU_DEP_1) | instskip(NEXT) | instid1(VALU_DEP_3)
	v_lshrrev_b32_e32 v0, 16, v24
	v_lshrrev_b32_e32 v1, 16, v23
	v_xor_b32_e32 v2, 0x80, v24
	v_xor_b32_e32 v6, 0x80, v23
	v_and_b32_e32 v3, 0xffffff00, v24
	v_xor_b32_e32 v5, 0x80, v0
	v_xor_b32_e32 v7, 0x80, v1
	v_and_b32_e32 v4, 0xffffff00, v23
	v_and_b32_e32 v2, 0xff, v2
	;; [unrolled: 1-line block ×7, first 2 shown]
	v_or_b32_e32 v2, v2, v3
	v_or_b32_e32 v0, v5, v0
	;; [unrolled: 1-line block ×3, first 2 shown]
	s_delay_alu instid0(VALU_DEP_4) | instskip(NEXT) | instid1(VALU_DEP_4)
	v_or_b32_e32 v1, v7, v1
	v_add_nc_u16 v2, v2, 0x8000
	s_delay_alu instid0(VALU_DEP_4) | instskip(NEXT) | instid1(VALU_DEP_4)
	v_add_nc_u16 v0, v0, 0x8000
	v_add_nc_u16 v3, v3, 0x8000
	s_delay_alu instid0(VALU_DEP_4) | instskip(NEXT) | instid1(VALU_DEP_4)
	v_add_nc_u16 v1, v1, 0x8000
	v_and_b32_e32 v2, 0xffff, v2
	s_delay_alu instid0(VALU_DEP_4) | instskip(NEXT) | instid1(VALU_DEP_4)
	v_lshlrev_b32_e32 v0, 16, v0
	v_and_b32_e32 v3, 0xffff, v3
	s_delay_alu instid0(VALU_DEP_4) | instskip(NEXT) | instid1(VALU_DEP_3)
	v_lshlrev_b32_e32 v4, 16, v1
	v_or_b32_e32 v1, v2, v0
	s_delay_alu instid0(VALU_DEP_2)
	v_or_b32_e32 v0, v3, v4
	ds_store_b64 v19, v[0:1]
	; wave barrier
	ds_load_u8 v23, v14
	ds_load_u8 v24, v14 offset:32
	ds_load_u8 v25, v14 offset:64
	;; [unrolled: 1-line block ×7, first 2 shown]
	; wave barrier
	; wave barrier
	s_waitcnt lgkmcnt(0)
	s_barrier
	buffer_gl0_inv
	ds_store_2addr_b64 v13, v[9:10], v[11:12] offset0:1 offset1:2
	ds_store_2addr_b64 v15, v[9:10], v[11:12] offset0:2 offset1:3
	s_waitcnt lgkmcnt(0)
	s_barrier
	buffer_gl0_inv
	v_and_b32_e32 v0, 1, v23
	v_lshlrev_b32_e32 v1, 30, v23
	v_lshlrev_b32_e32 v2, 29, v23
	;; [unrolled: 1-line block ×4, first 2 shown]
	v_add_co_u32 v0, s10, v0, -1
	s_delay_alu instid0(VALU_DEP_1)
	v_cndmask_b32_e64 v4, 0, 1, s10
	v_not_b32_e32 v31, v1
	v_cmp_gt_i32_e64 s11, 0, v1
	v_not_b32_e32 v1, v2
	v_lshlrev_b32_e32 v6, 26, v23
	v_cmp_ne_u32_e64 s10, 0, v4
	v_ashrrev_i32_e32 v31, 31, v31
	v_lshlrev_b32_e32 v7, 25, v23
	v_ashrrev_i32_e32 v1, 31, v1
	v_lshlrev_b32_e32 v4, 24, v23
	v_xor_b32_e32 v0, s10, v0
	v_cmp_gt_i32_e64 s10, 0, v2
	v_not_b32_e32 v2, v3
	v_xor_b32_e32 v31, s11, v31
	v_cmp_gt_i32_e64 s11, 0, v3
	v_and_b32_e32 v0, exec_lo, v0
	v_not_b32_e32 v3, v5
	v_ashrrev_i32_e32 v2, 31, v2
	v_xor_b32_e32 v1, s10, v1
	v_cmp_gt_i32_e64 s10, 0, v5
	v_and_b32_e32 v0, v0, v31
	v_not_b32_e32 v5, v6
	v_ashrrev_i32_e32 v3, 31, v3
	v_xor_b32_e32 v2, s11, v2
	v_cmp_gt_i32_e64 s11, 0, v6
	v_and_b32_e32 v0, v0, v1
	;; [unrolled: 5-line block ×4, first 2 shown]
	v_ashrrev_i32_e32 v2, 31, v2
	v_xor_b32_e32 v1, s10, v1
	; wave barrier
	s_delay_alu instid0(VALU_DEP_3) | instskip(NEXT) | instid1(VALU_DEP_3)
	v_and_b32_e32 v0, v0, v5
	v_xor_b32_e32 v2, s11, v2
	s_delay_alu instid0(VALU_DEP_2) | instskip(SKIP_1) | instid1(VALU_DEP_2)
	v_and_b32_e32 v0, v0, v1
	v_and_b32_e32 v1, 0xff, v23
	;; [unrolled: 1-line block ×3, first 2 shown]
	s_delay_alu instid0(VALU_DEP_2) | instskip(NEXT) | instid1(VALU_DEP_2)
	v_lshl_add_u32 v1, v1, 1, v21
	v_mbcnt_lo_u32_b32 v31, v0, 0
	v_cmp_ne_u32_e64 s11, 0, v0
	s_delay_alu instid0(VALU_DEP_3) | instskip(NEXT) | instid1(VALU_DEP_3)
	v_lshl_add_u32 v32, v1, 2, 8
	v_cmp_eq_u32_e64 s10, 0, v31
	s_delay_alu instid0(VALU_DEP_1) | instskip(NEXT) | instid1(SALU_CYCLE_1)
	s_and_b32 s11, s11, s10
	s_and_saveexec_b32 s10, s11
	s_cbranch_execz .LBB54_4
; %bb.3:                                ;   in Loop: Header=BB54_2 Depth=1
	v_bcnt_u32_b32 v0, v0, 0
	ds_store_b32 v32, v0
.LBB54_4:                               ;   in Loop: Header=BB54_2 Depth=1
	s_or_b32 exec_lo, exec_lo, s10
	v_and_b32_e32 v0, 1, v24
	v_lshlrev_b32_e32 v2, 30, v24
	v_lshlrev_b32_e32 v4, 29, v24
	;; [unrolled: 1-line block ×4, first 2 shown]
	v_add_co_u32 v0, s10, v0, -1
	s_delay_alu instid0(VALU_DEP_1)
	v_cndmask_b32_e64 v3, 0, 1, s10
	v_not_b32_e32 v7, v2
	v_cmp_gt_i32_e64 s11, 0, v2
	v_not_b32_e32 v2, v4
	v_and_b32_e32 v1, 0xff, v24
	v_cmp_ne_u32_e64 s10, 0, v3
	v_ashrrev_i32_e32 v7, 31, v7
	v_lshlrev_b32_e32 v3, 26, v24
	v_ashrrev_i32_e32 v2, 31, v2
	v_lshlrev_b32_e32 v1, 1, v1
	v_xor_b32_e32 v0, s10, v0
	v_cmp_gt_i32_e64 s10, 0, v4
	v_not_b32_e32 v4, v5
	v_xor_b32_e32 v7, s11, v7
	v_cmp_gt_i32_e64 s11, 0, v5
	v_and_b32_e32 v0, exec_lo, v0
	v_not_b32_e32 v5, v6
	v_ashrrev_i32_e32 v4, 31, v4
	v_xor_b32_e32 v2, s10, v2
	v_cmp_gt_i32_e64 s10, 0, v6
	v_and_b32_e32 v0, v0, v7
	v_lshlrev_b32_e32 v7, 25, v24
	v_ashrrev_i32_e32 v5, 31, v5
	v_xor_b32_e32 v4, s11, v4
	v_not_b32_e32 v6, v3
	v_and_b32_e32 v0, v0, v2
	v_lshlrev_b32_e32 v2, 24, v24
	v_not_b32_e32 v33, v7
	v_xor_b32_e32 v5, s10, v5
	v_cmp_gt_i32_e64 s10, 0, v3
	v_and_b32_e32 v0, v0, v4
	v_ashrrev_i32_e32 v3, 31, v6
	v_cmp_gt_i32_e64 s11, 0, v7
	v_ashrrev_i32_e32 v4, 31, v33
	v_add_lshl_u32 v1, v21, v1, 2
	v_and_b32_e32 v0, v0, v5
	v_not_b32_e32 v5, v2
	v_xor_b32_e32 v3, s10, v3
	v_xor_b32_e32 v4, s11, v4
	v_cmp_gt_i32_e64 s10, 0, v2
	s_delay_alu instid0(VALU_DEP_4) | instskip(NEXT) | instid1(VALU_DEP_4)
	v_ashrrev_i32_e32 v2, 31, v5
	v_and_b32_e32 v0, v0, v3
	; wave barrier
	ds_load_b32 v33, v1 offset:8
	v_add_nc_u32_e32 v35, 8, v1
	v_xor_b32_e32 v2, s10, v2
	v_and_b32_e32 v0, v0, v4
	; wave barrier
	s_delay_alu instid0(VALU_DEP_1) | instskip(NEXT) | instid1(VALU_DEP_1)
	v_and_b32_e32 v0, v0, v2
	v_mbcnt_lo_u32_b32 v34, v0, 0
	v_cmp_ne_u32_e64 s11, 0, v0
	s_delay_alu instid0(VALU_DEP_2) | instskip(NEXT) | instid1(VALU_DEP_1)
	v_cmp_eq_u32_e64 s10, 0, v34
	s_and_b32 s11, s11, s10
	s_delay_alu instid0(SALU_CYCLE_1)
	s_and_saveexec_b32 s10, s11
	s_cbranch_execz .LBB54_6
; %bb.5:                                ;   in Loop: Header=BB54_2 Depth=1
	s_waitcnt lgkmcnt(0)
	v_bcnt_u32_b32 v0, v0, v33
	ds_store_b32 v35, v0
.LBB54_6:                               ;   in Loop: Header=BB54_2 Depth=1
	s_or_b32 exec_lo, exec_lo, s10
	v_and_b32_e32 v0, 1, v25
	v_lshlrev_b32_e32 v2, 30, v25
	v_lshlrev_b32_e32 v4, 29, v25
	;; [unrolled: 1-line block ×4, first 2 shown]
	v_add_co_u32 v0, s10, v0, -1
	s_delay_alu instid0(VALU_DEP_1)
	v_cndmask_b32_e64 v3, 0, 1, s10
	v_not_b32_e32 v7, v2
	v_cmp_gt_i32_e64 s11, 0, v2
	v_not_b32_e32 v2, v4
	v_and_b32_e32 v1, 0xff, v25
	v_cmp_ne_u32_e64 s10, 0, v3
	v_ashrrev_i32_e32 v7, 31, v7
	v_lshlrev_b32_e32 v3, 26, v25
	v_ashrrev_i32_e32 v2, 31, v2
	v_lshlrev_b32_e32 v1, 1, v1
	v_xor_b32_e32 v0, s10, v0
	v_cmp_gt_i32_e64 s10, 0, v4
	v_not_b32_e32 v4, v5
	v_xor_b32_e32 v7, s11, v7
	v_cmp_gt_i32_e64 s11, 0, v5
	v_and_b32_e32 v0, exec_lo, v0
	v_not_b32_e32 v5, v6
	v_ashrrev_i32_e32 v4, 31, v4
	v_xor_b32_e32 v2, s10, v2
	v_cmp_gt_i32_e64 s10, 0, v6
	v_and_b32_e32 v0, v0, v7
	v_lshlrev_b32_e32 v7, 25, v25
	v_ashrrev_i32_e32 v5, 31, v5
	v_xor_b32_e32 v4, s11, v4
	v_not_b32_e32 v6, v3
	v_and_b32_e32 v0, v0, v2
	v_lshlrev_b32_e32 v2, 24, v25
	v_not_b32_e32 v36, v7
	v_xor_b32_e32 v5, s10, v5
	v_cmp_gt_i32_e64 s10, 0, v3
	v_and_b32_e32 v0, v0, v4
	v_ashrrev_i32_e32 v3, 31, v6
	v_cmp_gt_i32_e64 s11, 0, v7
	v_ashrrev_i32_e32 v4, 31, v36
	v_add_lshl_u32 v1, v21, v1, 2
	v_and_b32_e32 v0, v0, v5
	v_not_b32_e32 v5, v2
	v_xor_b32_e32 v3, s10, v3
	v_xor_b32_e32 v4, s11, v4
	v_cmp_gt_i32_e64 s10, 0, v2
	s_delay_alu instid0(VALU_DEP_4) | instskip(NEXT) | instid1(VALU_DEP_4)
	v_ashrrev_i32_e32 v2, 31, v5
	v_and_b32_e32 v0, v0, v3
	; wave barrier
	ds_load_b32 v36, v1 offset:8
	v_add_nc_u32_e32 v38, 8, v1
	v_xor_b32_e32 v2, s10, v2
	v_and_b32_e32 v0, v0, v4
	; wave barrier
	s_delay_alu instid0(VALU_DEP_1) | instskip(NEXT) | instid1(VALU_DEP_1)
	v_and_b32_e32 v0, v0, v2
	v_mbcnt_lo_u32_b32 v37, v0, 0
	v_cmp_ne_u32_e64 s11, 0, v0
	s_delay_alu instid0(VALU_DEP_2) | instskip(NEXT) | instid1(VALU_DEP_1)
	v_cmp_eq_u32_e64 s10, 0, v37
	s_and_b32 s11, s11, s10
	s_delay_alu instid0(SALU_CYCLE_1)
	s_and_saveexec_b32 s10, s11
	s_cbranch_execz .LBB54_8
; %bb.7:                                ;   in Loop: Header=BB54_2 Depth=1
	s_waitcnt lgkmcnt(0)
	v_bcnt_u32_b32 v0, v0, v36
	ds_store_b32 v38, v0
.LBB54_8:                               ;   in Loop: Header=BB54_2 Depth=1
	s_or_b32 exec_lo, exec_lo, s10
	v_and_b32_e32 v0, 1, v26
	v_lshlrev_b32_e32 v2, 30, v26
	v_lshlrev_b32_e32 v4, 29, v26
	;; [unrolled: 1-line block ×4, first 2 shown]
	v_add_co_u32 v0, s10, v0, -1
	s_delay_alu instid0(VALU_DEP_1)
	v_cndmask_b32_e64 v3, 0, 1, s10
	v_not_b32_e32 v7, v2
	v_cmp_gt_i32_e64 s11, 0, v2
	v_not_b32_e32 v2, v4
	v_and_b32_e32 v1, 0xff, v26
	v_cmp_ne_u32_e64 s10, 0, v3
	v_ashrrev_i32_e32 v7, 31, v7
	v_lshlrev_b32_e32 v3, 26, v26
	v_ashrrev_i32_e32 v2, 31, v2
	v_lshlrev_b32_e32 v1, 1, v1
	v_xor_b32_e32 v0, s10, v0
	v_cmp_gt_i32_e64 s10, 0, v4
	v_not_b32_e32 v4, v5
	v_xor_b32_e32 v7, s11, v7
	v_cmp_gt_i32_e64 s11, 0, v5
	v_and_b32_e32 v0, exec_lo, v0
	v_not_b32_e32 v5, v6
	v_ashrrev_i32_e32 v4, 31, v4
	v_xor_b32_e32 v2, s10, v2
	v_cmp_gt_i32_e64 s10, 0, v6
	v_and_b32_e32 v0, v0, v7
	v_lshlrev_b32_e32 v7, 25, v26
	v_ashrrev_i32_e32 v5, 31, v5
	v_xor_b32_e32 v4, s11, v4
	v_not_b32_e32 v6, v3
	v_and_b32_e32 v0, v0, v2
	v_lshlrev_b32_e32 v2, 24, v26
	v_not_b32_e32 v39, v7
	v_xor_b32_e32 v5, s10, v5
	v_cmp_gt_i32_e64 s10, 0, v3
	v_and_b32_e32 v0, v0, v4
	v_ashrrev_i32_e32 v3, 31, v6
	v_cmp_gt_i32_e64 s11, 0, v7
	v_ashrrev_i32_e32 v4, 31, v39
	v_add_lshl_u32 v1, v21, v1, 2
	v_and_b32_e32 v0, v0, v5
	v_not_b32_e32 v5, v2
	v_xor_b32_e32 v3, s10, v3
	v_xor_b32_e32 v4, s11, v4
	v_cmp_gt_i32_e64 s10, 0, v2
	s_delay_alu instid0(VALU_DEP_4) | instskip(NEXT) | instid1(VALU_DEP_4)
	v_ashrrev_i32_e32 v2, 31, v5
	v_and_b32_e32 v0, v0, v3
	; wave barrier
	ds_load_b32 v39, v1 offset:8
	v_add_nc_u32_e32 v41, 8, v1
	v_xor_b32_e32 v2, s10, v2
	v_and_b32_e32 v0, v0, v4
	; wave barrier
	s_delay_alu instid0(VALU_DEP_1) | instskip(NEXT) | instid1(VALU_DEP_1)
	v_and_b32_e32 v0, v0, v2
	v_mbcnt_lo_u32_b32 v40, v0, 0
	v_cmp_ne_u32_e64 s11, 0, v0
	s_delay_alu instid0(VALU_DEP_2) | instskip(NEXT) | instid1(VALU_DEP_1)
	v_cmp_eq_u32_e64 s10, 0, v40
	s_and_b32 s11, s11, s10
	s_delay_alu instid0(SALU_CYCLE_1)
	s_and_saveexec_b32 s10, s11
	s_cbranch_execz .LBB54_10
; %bb.9:                                ;   in Loop: Header=BB54_2 Depth=1
	s_waitcnt lgkmcnt(0)
	v_bcnt_u32_b32 v0, v0, v39
	ds_store_b32 v41, v0
.LBB54_10:                              ;   in Loop: Header=BB54_2 Depth=1
	s_or_b32 exec_lo, exec_lo, s10
	v_and_b32_e32 v0, 1, v27
	v_lshlrev_b32_e32 v2, 30, v27
	v_lshlrev_b32_e32 v4, 29, v27
	;; [unrolled: 1-line block ×4, first 2 shown]
	v_add_co_u32 v0, s10, v0, -1
	s_delay_alu instid0(VALU_DEP_1)
	v_cndmask_b32_e64 v3, 0, 1, s10
	v_not_b32_e32 v7, v2
	v_cmp_gt_i32_e64 s11, 0, v2
	v_not_b32_e32 v2, v4
	v_and_b32_e32 v1, 0xff, v27
	v_cmp_ne_u32_e64 s10, 0, v3
	v_ashrrev_i32_e32 v7, 31, v7
	v_lshlrev_b32_e32 v3, 26, v27
	v_ashrrev_i32_e32 v2, 31, v2
	v_lshlrev_b32_e32 v1, 1, v1
	v_xor_b32_e32 v0, s10, v0
	v_cmp_gt_i32_e64 s10, 0, v4
	v_not_b32_e32 v4, v5
	v_xor_b32_e32 v7, s11, v7
	v_cmp_gt_i32_e64 s11, 0, v5
	v_and_b32_e32 v0, exec_lo, v0
	v_not_b32_e32 v5, v6
	v_ashrrev_i32_e32 v4, 31, v4
	v_xor_b32_e32 v2, s10, v2
	v_cmp_gt_i32_e64 s10, 0, v6
	v_and_b32_e32 v0, v0, v7
	v_lshlrev_b32_e32 v7, 25, v27
	v_ashrrev_i32_e32 v5, 31, v5
	v_xor_b32_e32 v4, s11, v4
	v_not_b32_e32 v6, v3
	v_and_b32_e32 v0, v0, v2
	v_lshlrev_b32_e32 v2, 24, v27
	v_not_b32_e32 v42, v7
	v_xor_b32_e32 v5, s10, v5
	v_cmp_gt_i32_e64 s10, 0, v3
	v_and_b32_e32 v0, v0, v4
	v_ashrrev_i32_e32 v3, 31, v6
	v_cmp_gt_i32_e64 s11, 0, v7
	v_ashrrev_i32_e32 v4, 31, v42
	v_add_lshl_u32 v1, v21, v1, 2
	v_and_b32_e32 v0, v0, v5
	v_not_b32_e32 v5, v2
	v_xor_b32_e32 v3, s10, v3
	v_xor_b32_e32 v4, s11, v4
	v_cmp_gt_i32_e64 s10, 0, v2
	s_delay_alu instid0(VALU_DEP_4) | instskip(NEXT) | instid1(VALU_DEP_4)
	v_ashrrev_i32_e32 v2, 31, v5
	v_and_b32_e32 v0, v0, v3
	; wave barrier
	ds_load_b32 v42, v1 offset:8
	v_add_nc_u32_e32 v44, 8, v1
	v_xor_b32_e32 v2, s10, v2
	v_and_b32_e32 v0, v0, v4
	; wave barrier
	s_delay_alu instid0(VALU_DEP_1) | instskip(NEXT) | instid1(VALU_DEP_1)
	v_and_b32_e32 v0, v0, v2
	v_mbcnt_lo_u32_b32 v43, v0, 0
	v_cmp_ne_u32_e64 s11, 0, v0
	s_delay_alu instid0(VALU_DEP_2) | instskip(NEXT) | instid1(VALU_DEP_1)
	v_cmp_eq_u32_e64 s10, 0, v43
	s_and_b32 s11, s11, s10
	s_delay_alu instid0(SALU_CYCLE_1)
	s_and_saveexec_b32 s10, s11
	s_cbranch_execz .LBB54_12
; %bb.11:                               ;   in Loop: Header=BB54_2 Depth=1
	s_waitcnt lgkmcnt(0)
	v_bcnt_u32_b32 v0, v0, v42
	ds_store_b32 v44, v0
.LBB54_12:                              ;   in Loop: Header=BB54_2 Depth=1
	s_or_b32 exec_lo, exec_lo, s10
	v_and_b32_e32 v0, 1, v28
	v_lshlrev_b32_e32 v2, 30, v28
	v_lshlrev_b32_e32 v4, 29, v28
	;; [unrolled: 1-line block ×4, first 2 shown]
	v_add_co_u32 v0, s10, v0, -1
	s_delay_alu instid0(VALU_DEP_1)
	v_cndmask_b32_e64 v3, 0, 1, s10
	v_not_b32_e32 v7, v2
	v_cmp_gt_i32_e64 s11, 0, v2
	v_not_b32_e32 v2, v4
	v_and_b32_e32 v1, 0xff, v28
	v_cmp_ne_u32_e64 s10, 0, v3
	v_ashrrev_i32_e32 v7, 31, v7
	v_lshlrev_b32_e32 v3, 26, v28
	v_ashrrev_i32_e32 v2, 31, v2
	v_lshlrev_b32_e32 v1, 1, v1
	v_xor_b32_e32 v0, s10, v0
	v_cmp_gt_i32_e64 s10, 0, v4
	v_not_b32_e32 v4, v5
	v_xor_b32_e32 v7, s11, v7
	v_cmp_gt_i32_e64 s11, 0, v5
	v_and_b32_e32 v0, exec_lo, v0
	v_not_b32_e32 v5, v6
	v_ashrrev_i32_e32 v4, 31, v4
	v_xor_b32_e32 v2, s10, v2
	v_cmp_gt_i32_e64 s10, 0, v6
	v_and_b32_e32 v0, v0, v7
	v_lshlrev_b32_e32 v7, 25, v28
	v_ashrrev_i32_e32 v5, 31, v5
	v_xor_b32_e32 v4, s11, v4
	v_not_b32_e32 v6, v3
	v_and_b32_e32 v0, v0, v2
	v_lshlrev_b32_e32 v2, 24, v28
	v_not_b32_e32 v45, v7
	v_xor_b32_e32 v5, s10, v5
	v_cmp_gt_i32_e64 s10, 0, v3
	v_and_b32_e32 v0, v0, v4
	v_ashrrev_i32_e32 v3, 31, v6
	v_cmp_gt_i32_e64 s11, 0, v7
	v_ashrrev_i32_e32 v4, 31, v45
	v_add_lshl_u32 v1, v21, v1, 2
	v_and_b32_e32 v0, v0, v5
	v_not_b32_e32 v5, v2
	v_xor_b32_e32 v3, s10, v3
	v_xor_b32_e32 v4, s11, v4
	v_cmp_gt_i32_e64 s10, 0, v2
	s_delay_alu instid0(VALU_DEP_4) | instskip(NEXT) | instid1(VALU_DEP_4)
	v_ashrrev_i32_e32 v2, 31, v5
	v_and_b32_e32 v0, v0, v3
	; wave barrier
	ds_load_b32 v45, v1 offset:8
	v_add_nc_u32_e32 v47, 8, v1
	v_xor_b32_e32 v2, s10, v2
	v_and_b32_e32 v0, v0, v4
	; wave barrier
	s_delay_alu instid0(VALU_DEP_1) | instskip(NEXT) | instid1(VALU_DEP_1)
	v_and_b32_e32 v0, v0, v2
	v_mbcnt_lo_u32_b32 v46, v0, 0
	v_cmp_ne_u32_e64 s11, 0, v0
	s_delay_alu instid0(VALU_DEP_2) | instskip(NEXT) | instid1(VALU_DEP_1)
	v_cmp_eq_u32_e64 s10, 0, v46
	s_and_b32 s11, s11, s10
	s_delay_alu instid0(SALU_CYCLE_1)
	s_and_saveexec_b32 s10, s11
	s_cbranch_execz .LBB54_14
; %bb.13:                               ;   in Loop: Header=BB54_2 Depth=1
	s_waitcnt lgkmcnt(0)
	v_bcnt_u32_b32 v0, v0, v45
	ds_store_b32 v47, v0
.LBB54_14:                              ;   in Loop: Header=BB54_2 Depth=1
	s_or_b32 exec_lo, exec_lo, s10
	v_and_b32_e32 v0, 1, v29
	v_lshlrev_b32_e32 v2, 30, v29
	v_lshlrev_b32_e32 v4, 29, v29
	;; [unrolled: 1-line block ×4, first 2 shown]
	v_add_co_u32 v0, s10, v0, -1
	s_delay_alu instid0(VALU_DEP_1)
	v_cndmask_b32_e64 v3, 0, 1, s10
	v_not_b32_e32 v7, v2
	v_cmp_gt_i32_e64 s11, 0, v2
	v_not_b32_e32 v2, v4
	v_and_b32_e32 v1, 0xff, v29
	v_cmp_ne_u32_e64 s10, 0, v3
	v_ashrrev_i32_e32 v7, 31, v7
	v_lshlrev_b32_e32 v3, 26, v29
	v_ashrrev_i32_e32 v2, 31, v2
	v_lshlrev_b32_e32 v1, 1, v1
	v_xor_b32_e32 v0, s10, v0
	v_cmp_gt_i32_e64 s10, 0, v4
	v_not_b32_e32 v4, v5
	v_xor_b32_e32 v7, s11, v7
	v_cmp_gt_i32_e64 s11, 0, v5
	v_and_b32_e32 v0, exec_lo, v0
	v_not_b32_e32 v5, v6
	v_ashrrev_i32_e32 v4, 31, v4
	v_xor_b32_e32 v2, s10, v2
	v_cmp_gt_i32_e64 s10, 0, v6
	v_and_b32_e32 v0, v0, v7
	v_lshlrev_b32_e32 v7, 25, v29
	v_ashrrev_i32_e32 v5, 31, v5
	v_xor_b32_e32 v4, s11, v4
	v_not_b32_e32 v6, v3
	v_and_b32_e32 v0, v0, v2
	v_lshlrev_b32_e32 v2, 24, v29
	v_not_b32_e32 v48, v7
	v_xor_b32_e32 v5, s10, v5
	v_cmp_gt_i32_e64 s10, 0, v3
	v_and_b32_e32 v0, v0, v4
	v_ashrrev_i32_e32 v3, 31, v6
	v_cmp_gt_i32_e64 s11, 0, v7
	v_ashrrev_i32_e32 v4, 31, v48
	v_add_lshl_u32 v1, v21, v1, 2
	v_and_b32_e32 v0, v0, v5
	v_not_b32_e32 v5, v2
	v_xor_b32_e32 v3, s10, v3
	v_xor_b32_e32 v4, s11, v4
	v_cmp_gt_i32_e64 s10, 0, v2
	s_delay_alu instid0(VALU_DEP_4) | instskip(NEXT) | instid1(VALU_DEP_4)
	v_ashrrev_i32_e32 v2, 31, v5
	v_and_b32_e32 v0, v0, v3
	; wave barrier
	ds_load_b32 v48, v1 offset:8
	v_add_nc_u32_e32 v50, 8, v1
	v_xor_b32_e32 v2, s10, v2
	v_and_b32_e32 v0, v0, v4
	; wave barrier
	s_delay_alu instid0(VALU_DEP_1) | instskip(NEXT) | instid1(VALU_DEP_1)
	v_and_b32_e32 v0, v0, v2
	v_mbcnt_lo_u32_b32 v49, v0, 0
	v_cmp_ne_u32_e64 s11, 0, v0
	s_delay_alu instid0(VALU_DEP_2) | instskip(NEXT) | instid1(VALU_DEP_1)
	v_cmp_eq_u32_e64 s10, 0, v49
	s_and_b32 s11, s11, s10
	s_delay_alu instid0(SALU_CYCLE_1)
	s_and_saveexec_b32 s10, s11
	s_cbranch_execz .LBB54_16
; %bb.15:                               ;   in Loop: Header=BB54_2 Depth=1
	s_waitcnt lgkmcnt(0)
	v_bcnt_u32_b32 v0, v0, v48
	ds_store_b32 v50, v0
.LBB54_16:                              ;   in Loop: Header=BB54_2 Depth=1
	s_or_b32 exec_lo, exec_lo, s10
	v_and_b32_e32 v0, 1, v30
	v_lshlrev_b32_e32 v2, 30, v30
	v_lshlrev_b32_e32 v4, 29, v30
	;; [unrolled: 1-line block ×4, first 2 shown]
	v_add_co_u32 v0, s10, v0, -1
	s_delay_alu instid0(VALU_DEP_1)
	v_cndmask_b32_e64 v3, 0, 1, s10
	v_not_b32_e32 v7, v2
	v_cmp_gt_i32_e64 s11, 0, v2
	v_not_b32_e32 v2, v4
	v_and_b32_e32 v1, 0xff, v30
	v_cmp_ne_u32_e64 s10, 0, v3
	v_ashrrev_i32_e32 v7, 31, v7
	v_lshlrev_b32_e32 v3, 26, v30
	v_ashrrev_i32_e32 v2, 31, v2
	v_lshlrev_b32_e32 v1, 1, v1
	v_xor_b32_e32 v0, s10, v0
	v_cmp_gt_i32_e64 s10, 0, v4
	v_not_b32_e32 v4, v5
	v_xor_b32_e32 v7, s11, v7
	v_cmp_gt_i32_e64 s11, 0, v5
	v_and_b32_e32 v0, exec_lo, v0
	v_not_b32_e32 v5, v6
	v_ashrrev_i32_e32 v4, 31, v4
	v_xor_b32_e32 v2, s10, v2
	v_cmp_gt_i32_e64 s10, 0, v6
	v_and_b32_e32 v0, v0, v7
	v_lshlrev_b32_e32 v7, 25, v30
	v_ashrrev_i32_e32 v5, 31, v5
	v_xor_b32_e32 v4, s11, v4
	v_not_b32_e32 v6, v3
	v_and_b32_e32 v0, v0, v2
	v_lshlrev_b32_e32 v2, 24, v30
	v_not_b32_e32 v51, v7
	v_xor_b32_e32 v5, s10, v5
	v_cmp_gt_i32_e64 s10, 0, v3
	v_and_b32_e32 v0, v0, v4
	v_ashrrev_i32_e32 v3, 31, v6
	v_cmp_gt_i32_e64 s11, 0, v7
	v_ashrrev_i32_e32 v4, 31, v51
	v_add_lshl_u32 v1, v21, v1, 2
	v_and_b32_e32 v0, v0, v5
	v_not_b32_e32 v5, v2
	v_xor_b32_e32 v3, s10, v3
	v_xor_b32_e32 v4, s11, v4
	v_cmp_gt_i32_e64 s10, 0, v2
	s_delay_alu instid0(VALU_DEP_4) | instskip(NEXT) | instid1(VALU_DEP_4)
	v_ashrrev_i32_e32 v2, 31, v5
	v_and_b32_e32 v0, v0, v3
	; wave barrier
	ds_load_b32 v51, v1 offset:8
	v_add_nc_u32_e32 v53, 8, v1
	v_xor_b32_e32 v2, s10, v2
	v_and_b32_e32 v0, v0, v4
	; wave barrier
	s_delay_alu instid0(VALU_DEP_1) | instskip(NEXT) | instid1(VALU_DEP_1)
	v_and_b32_e32 v0, v0, v2
	v_mbcnt_lo_u32_b32 v52, v0, 0
	v_cmp_ne_u32_e64 s11, 0, v0
	s_delay_alu instid0(VALU_DEP_2) | instskip(NEXT) | instid1(VALU_DEP_1)
	v_cmp_eq_u32_e64 s10, 0, v52
	s_and_b32 s11, s11, s10
	s_delay_alu instid0(SALU_CYCLE_1)
	s_and_saveexec_b32 s10, s11
	s_cbranch_execz .LBB54_18
; %bb.17:                               ;   in Loop: Header=BB54_2 Depth=1
	s_waitcnt lgkmcnt(0)
	v_bcnt_u32_b32 v0, v0, v51
	ds_store_b32 v53, v0
.LBB54_18:                              ;   in Loop: Header=BB54_2 Depth=1
	s_or_b32 exec_lo, exec_lo, s10
	; wave barrier
	s_waitcnt lgkmcnt(0)
	s_barrier
	buffer_gl0_inv
	ds_load_2addr_b64 v[4:7], v13 offset0:1 offset1:2
	ds_load_2addr_b64 v[0:3], v15 offset0:2 offset1:3
	s_waitcnt lgkmcnt(1)
	v_add_nc_u32_e32 v54, v5, v4
	s_delay_alu instid0(VALU_DEP_1) | instskip(SKIP_1) | instid1(VALU_DEP_1)
	v_add3_u32 v54, v54, v6, v7
	s_waitcnt lgkmcnt(0)
	v_add3_u32 v54, v54, v0, v1
	s_delay_alu instid0(VALU_DEP_1) | instskip(NEXT) | instid1(VALU_DEP_1)
	v_add3_u32 v3, v54, v2, v3
	v_mov_b32_dpp v54, v3 row_shr:1 row_mask:0xf bank_mask:0xf
	s_delay_alu instid0(VALU_DEP_1) | instskip(NEXT) | instid1(VALU_DEP_1)
	v_cndmask_b32_e64 v54, v54, 0, s0
	v_add_nc_u32_e32 v3, v54, v3
	s_delay_alu instid0(VALU_DEP_1) | instskip(NEXT) | instid1(VALU_DEP_1)
	v_mov_b32_dpp v54, v3 row_shr:2 row_mask:0xf bank_mask:0xf
	v_cndmask_b32_e64 v54, 0, v54, s1
	s_delay_alu instid0(VALU_DEP_1) | instskip(NEXT) | instid1(VALU_DEP_1)
	v_add_nc_u32_e32 v3, v3, v54
	v_mov_b32_dpp v54, v3 row_shr:4 row_mask:0xf bank_mask:0xf
	s_delay_alu instid0(VALU_DEP_1) | instskip(NEXT) | instid1(VALU_DEP_1)
	v_cndmask_b32_e64 v54, 0, v54, s2
	v_add_nc_u32_e32 v3, v3, v54
	s_delay_alu instid0(VALU_DEP_1) | instskip(NEXT) | instid1(VALU_DEP_1)
	v_mov_b32_dpp v54, v3 row_shr:8 row_mask:0xf bank_mask:0xf
	v_cndmask_b32_e64 v54, 0, v54, s3
	s_delay_alu instid0(VALU_DEP_1) | instskip(SKIP_3) | instid1(VALU_DEP_1)
	v_add_nc_u32_e32 v3, v3, v54
	ds_swizzle_b32 v54, v3 offset:swizzle(BROADCAST,32,15)
	s_waitcnt lgkmcnt(0)
	v_cndmask_b32_e64 v54, v54, 0, s4
	v_add_nc_u32_e32 v3, v3, v54
	s_and_saveexec_b32 s10, s9
	s_cbranch_execz .LBB54_20
; %bb.19:                               ;   in Loop: Header=BB54_2 Depth=1
	ds_store_b32 v18, v3
.LBB54_20:                              ;   in Loop: Header=BB54_2 Depth=1
	s_or_b32 exec_lo, exec_lo, s10
	s_waitcnt lgkmcnt(0)
	s_barrier
	buffer_gl0_inv
	s_and_saveexec_b32 s10, s5
	s_cbranch_execz .LBB54_22
; %bb.21:                               ;   in Loop: Header=BB54_2 Depth=1
	ds_load_b32 v54, v22
	s_waitcnt lgkmcnt(0)
	v_mov_b32_dpp v55, v54 row_shr:1 row_mask:0xf bank_mask:0xf
	s_delay_alu instid0(VALU_DEP_1) | instskip(NEXT) | instid1(VALU_DEP_1)
	v_cndmask_b32_e64 v55, v55, 0, s8
	v_add_nc_u32_e32 v54, v55, v54
	ds_store_b32 v22, v54
.LBB54_22:                              ;   in Loop: Header=BB54_2 Depth=1
	s_or_b32 exec_lo, exec_lo, s10
	v_mov_b32_e32 v54, 0
	s_waitcnt lgkmcnt(0)
	s_barrier
	buffer_gl0_inv
	s_and_saveexec_b32 s10, s6
	s_cbranch_execz .LBB54_1
; %bb.23:                               ;   in Loop: Header=BB54_2 Depth=1
	ds_load_b32 v54, v20
	s_branch .LBB54_1
.LBB54_24:
	s_add_u32 s0, s18, s12
	s_addc_u32 s1, s19, 0
	v_add_co_u32 v8, s0, s0, v8
	s_delay_alu instid0(VALU_DEP_1)
	v_add_co_ci_u32_e64 v9, null, s1, 0, s0
	s_clause 0x7
	global_store_b8 v[8:9], v0, off
	global_store_b8 v[8:9], v5, off offset:64
	global_store_b8 v[8:9], v6, off offset:128
	;; [unrolled: 1-line block ×7, first 2 shown]
	s_nop 0
	s_sendmsg sendmsg(MSG_DEALLOC_VGPRS)
	s_endpgm
	.section	.rodata,"a",@progbits
	.p2align	6, 0x0
	.amdhsa_kernel _Z16sort_keys_kernelI22helper_blocked_blockedaLj64ELj8ELj10EEvPKT0_PS1_
		.amdhsa_group_segment_fixed_size 2064
		.amdhsa_private_segment_fixed_size 0
		.amdhsa_kernarg_size 272
		.amdhsa_user_sgpr_count 15
		.amdhsa_user_sgpr_dispatch_ptr 0
		.amdhsa_user_sgpr_queue_ptr 0
		.amdhsa_user_sgpr_kernarg_segment_ptr 1
		.amdhsa_user_sgpr_dispatch_id 0
		.amdhsa_user_sgpr_private_segment_size 0
		.amdhsa_wavefront_size32 1
		.amdhsa_uses_dynamic_stack 0
		.amdhsa_enable_private_segment 0
		.amdhsa_system_sgpr_workgroup_id_x 1
		.amdhsa_system_sgpr_workgroup_id_y 0
		.amdhsa_system_sgpr_workgroup_id_z 0
		.amdhsa_system_sgpr_workgroup_info 0
		.amdhsa_system_vgpr_workitem_id 2
		.amdhsa_next_free_vgpr 56
		.amdhsa_next_free_sgpr 20
		.amdhsa_reserve_vcc 1
		.amdhsa_float_round_mode_32 0
		.amdhsa_float_round_mode_16_64 0
		.amdhsa_float_denorm_mode_32 3
		.amdhsa_float_denorm_mode_16_64 3
		.amdhsa_dx10_clamp 1
		.amdhsa_ieee_mode 1
		.amdhsa_fp16_overflow 0
		.amdhsa_workgroup_processor_mode 1
		.amdhsa_memory_ordered 1
		.amdhsa_forward_progress 0
		.amdhsa_shared_vgpr_count 0
		.amdhsa_exception_fp_ieee_invalid_op 0
		.amdhsa_exception_fp_denorm_src 0
		.amdhsa_exception_fp_ieee_div_zero 0
		.amdhsa_exception_fp_ieee_overflow 0
		.amdhsa_exception_fp_ieee_underflow 0
		.amdhsa_exception_fp_ieee_inexact 0
		.amdhsa_exception_int_div_zero 0
	.end_amdhsa_kernel
	.section	.text._Z16sort_keys_kernelI22helper_blocked_blockedaLj64ELj8ELj10EEvPKT0_PS1_,"axG",@progbits,_Z16sort_keys_kernelI22helper_blocked_blockedaLj64ELj8ELj10EEvPKT0_PS1_,comdat
.Lfunc_end54:
	.size	_Z16sort_keys_kernelI22helper_blocked_blockedaLj64ELj8ELj10EEvPKT0_PS1_, .Lfunc_end54-_Z16sort_keys_kernelI22helper_blocked_blockedaLj64ELj8ELj10EEvPKT0_PS1_
                                        ; -- End function
	.section	.AMDGPU.csdata,"",@progbits
; Kernel info:
; codeLenInByte = 4632
; NumSgprs: 22
; NumVgprs: 56
; ScratchSize: 0
; MemoryBound: 0
; FloatMode: 240
; IeeeMode: 1
; LDSByteSize: 2064 bytes/workgroup (compile time only)
; SGPRBlocks: 2
; VGPRBlocks: 6
; NumSGPRsForWavesPerEU: 22
; NumVGPRsForWavesPerEU: 56
; Occupancy: 16
; WaveLimiterHint : 0
; COMPUTE_PGM_RSRC2:SCRATCH_EN: 0
; COMPUTE_PGM_RSRC2:USER_SGPR: 15
; COMPUTE_PGM_RSRC2:TRAP_HANDLER: 0
; COMPUTE_PGM_RSRC2:TGID_X_EN: 1
; COMPUTE_PGM_RSRC2:TGID_Y_EN: 0
; COMPUTE_PGM_RSRC2:TGID_Z_EN: 0
; COMPUTE_PGM_RSRC2:TIDIG_COMP_CNT: 2
	.section	.text._Z17sort_pairs_kernelI22helper_blocked_blockedaLj64ELj8ELj10EEvPKT0_PS1_,"axG",@progbits,_Z17sort_pairs_kernelI22helper_blocked_blockedaLj64ELj8ELj10EEvPKT0_PS1_,comdat
	.protected	_Z17sort_pairs_kernelI22helper_blocked_blockedaLj64ELj8ELj10EEvPKT0_PS1_ ; -- Begin function _Z17sort_pairs_kernelI22helper_blocked_blockedaLj64ELj8ELj10EEvPKT0_PS1_
	.globl	_Z17sort_pairs_kernelI22helper_blocked_blockedaLj64ELj8ELj10EEvPKT0_PS1_
	.p2align	8
	.type	_Z17sort_pairs_kernelI22helper_blocked_blockedaLj64ELj8ELj10EEvPKT0_PS1_,@function
_Z17sort_pairs_kernelI22helper_blocked_blockedaLj64ELj8ELj10EEvPKT0_PS1_: ; @_Z17sort_pairs_kernelI22helper_blocked_blockedaLj64ELj8ELj10EEvPKT0_PS1_
; %bb.0:
	s_clause 0x1
	s_load_b128 s[16:19], s[0:1], 0x0
	s_load_b32 s10, s[0:1], 0x1c
	s_lshl_b32 s12, s15, 9
	v_and_b32_e32 v8, 0x3ff, v0
	v_mbcnt_lo_u32_b32 v1, -1, 0
	v_bfe_u32 v20, v0, 10, 10
	v_bfe_u32 v0, v0, 20, 10
	s_mov_b32 s13, 10
	s_delay_alu instid0(VALU_DEP_3)
	v_add_nc_u32_e32 v16, -1, v1
	v_and_b32_e32 v14, 15, v1
	v_cmp_eq_u32_e32 vcc_lo, 0, v1
	v_and_b32_e32 v17, 1, v1
	v_and_b32_e32 v15, 16, v1
	v_cmp_gt_i32_e64 s7, 0, v16
	s_delay_alu instid0(VALU_DEP_3) | instskip(NEXT) | instid1(VALU_DEP_3)
	v_cmp_eq_u32_e64 s8, 0, v17
	v_cmp_eq_u32_e64 s4, 0, v15
	s_delay_alu instid0(VALU_DEP_3)
	v_cndmask_b32_e64 v16, v16, v1, s7
	s_waitcnt lgkmcnt(0)
	s_add_u32 s0, s16, s12
	s_addc_u32 s1, s17, 0
	s_clause 0x7
	global_load_u8 v2, v8, s[0:1]
	global_load_u8 v3, v8, s[0:1] offset:128
	global_load_u8 v4, v8, s[0:1] offset:256
	;; [unrolled: 1-line block ×7, first 2 shown]
	s_mov_b32 s0, 0
	s_lshr_b32 s9, s10, 16
	s_mov_b32 s1, s0
	s_mov_b32 s2, s0
	;; [unrolled: 1-line block ×3, first 2 shown]
	v_dual_mov_b32 v10, s1 :: v_dual_mov_b32 v9, s0
	v_lshlrev_b32_e32 v18, 3, v8
	v_and_b32_e32 v19, 32, v8
	v_lshrrev_b32_e32 v23, 3, v8
	v_lshlrev_b32_e32 v24, 2, v8
	v_dual_mov_b32 v12, s3 :: v_dual_mov_b32 v11, s2
	v_cmp_eq_u32_e64 s0, 0, v14
	v_cmp_lt_u32_e64 s1, 1, v14
	v_cmp_lt_u32_e64 s2, 3, v14
	;; [unrolled: 1-line block ×3, first 2 shown]
	v_or_b32_e32 v25, v1, v19
	v_and_or_b32 v14, 0x100, v18, v1
	v_or_b32_e32 v1, 31, v19
	v_and_b32_e32 v18, 4, v23
	v_sub_nc_u32_e32 v23, 0, v24
	v_mad_u32_u24 v24, v0, s9, v20
	s_and_b32 s10, s10, 0xffff
	v_cmp_eq_u32_e64 s9, v1, v8
	v_lshlrev_b32_e32 v19, 3, v25
	v_lshlrev_b32_e32 v13, 5, v8
	v_mad_u64_u32 v[0:1], null, v24, s10, v[8:9]
	v_cmp_gt_u32_e64 s5, 2, v8
	v_cmp_lt_u32_e64 s6, 31, v8
	s_delay_alu instid0(VALU_DEP_4)
	v_mad_i32_i24 v17, 0xffffffe8, v8, v13
	v_cmp_eq_u32_e64 s7, 0, v8
	v_or_b32_e32 v15, 8, v13
	v_lshlrev_b32_e32 v16, 2, v16
	v_add_nc_u32_e32 v20, -4, v18
	s_waitcnt vmcnt(7)
	v_add_nc_u16 v1, v2, 1
	s_waitcnt vmcnt(6)
	v_add_nc_u16 v24, v3, 1
	s_waitcnt vmcnt(5)
	v_add_nc_u16 v25, v4, 1
	s_waitcnt vmcnt(4)
	v_lshlrev_b16 v5, 8, v5
	s_waitcnt vmcnt(3)
	v_lshlrev_b16 v6, 8, v6
	;; [unrolled: 2-line block ×4, first 2 shown]
	s_waitcnt vmcnt(0)
	v_add_nc_u16 v26, v22, 1
	v_and_b32_e32 v1, 0xff, v1
	v_and_b32_e32 v24, 0xff, v24
	;; [unrolled: 1-line block ×3, first 2 shown]
	v_or_b32_e32 v2, v2, v5
	v_and_b32_e32 v26, 0xff, v26
	v_or_b32_e32 v3, v3, v6
	v_or_b32_e32 v4, v4, v7
	;; [unrolled: 1-line block ×7, first 2 shown]
	v_add_nc_u16 v1, v1, 0x100
	v_add_nc_u16 v5, v5, 0x100
	;; [unrolled: 1-line block ×4, first 2 shown]
	v_and_b32_e32 v2, 0xffff, v2
	v_lshlrev_b32_e32 v3, 16, v3
	v_and_b32_e32 v4, 0xffff, v4
	v_lshlrev_b32_e32 v22, 16, v22
	;; [unrolled: 2-line block ×4, first 2 shown]
	v_lshrrev_b32_e32 v21, 5, v0
	v_or_b32_e32 v25, v2, v3
	v_or_b32_e32 v26, v4, v22
	;; [unrolled: 1-line block ×4, first 2 shown]
	v_add_nc_u32_e32 v22, v17, v23
	s_branch .LBB55_2
.LBB55_1:                               ;   in Loop: Header=BB55_2 Depth=1
	s_or_b32 exec_lo, exec_lo, s10
	s_waitcnt lgkmcnt(0)
	v_add_nc_u32_e32 v3, v62, v3
	s_add_i32 s13, s13, -1
	s_delay_alu instid0(SALU_CYCLE_1) | instskip(SKIP_3) | instid1(VALU_DEP_1)
	s_cmp_eq_u32 s13, 0
	ds_bpermute_b32 v3, v16, v3
	s_waitcnt lgkmcnt(0)
	v_cndmask_b32_e32 v3, v3, v62, vcc_lo
	v_cndmask_b32_e64 v3, v3, 0, s7
	s_delay_alu instid0(VALU_DEP_1) | instskip(NEXT) | instid1(VALU_DEP_1)
	v_add_nc_u32_e32 v4, v3, v4
	v_add_nc_u32_e32 v5, v4, v5
	s_delay_alu instid0(VALU_DEP_1) | instskip(NEXT) | instid1(VALU_DEP_1)
	v_add_nc_u32_e32 v6, v5, v6
	v_add_nc_u32_e32 v62, v6, v7
	;; [unrolled: 3-line block ×3, first 2 shown]
	s_delay_alu instid0(VALU_DEP_1)
	v_add_nc_u32_e32 v1, v0, v2
	ds_store_2addr_b64 v13, v[3:4], v[5:6] offset0:1 offset1:2
	ds_store_2addr_b64 v15, v[62:63], v[0:1] offset0:2 offset1:3
	s_waitcnt lgkmcnt(0)
	s_barrier
	buffer_gl0_inv
	ds_load_b32 v0, v40
	ds_load_b32 v1, v43
	;; [unrolled: 1-line block ×8, first 2 shown]
	s_waitcnt lgkmcnt(0)
	s_barrier
	buffer_gl0_inv
	v_add_nc_u32_e32 v39, v0, v39
	v_add3_u32 v40, v42, v41, v1
	v_add3_u32 v2, v45, v44, v2
	;; [unrolled: 1-line block ×7, first 2 shown]
	ds_store_b8 v39, v23
	ds_store_b8 v40, v24
	;; [unrolled: 1-line block ×8, first 2 shown]
	s_waitcnt lgkmcnt(0)
	s_barrier
	buffer_gl0_inv
	ds_load_b64 v[0:1], v17
	s_waitcnt lgkmcnt(0)
	s_barrier
	buffer_gl0_inv
	ds_store_b8 v39, v31
	ds_store_b8 v40, v32
	;; [unrolled: 1-line block ×8, first 2 shown]
	s_waitcnt lgkmcnt(0)
	s_barrier
	buffer_gl0_inv
	v_lshrrev_b32_e32 v3, 8, v0
	v_lshrrev_b32_e32 v4, 16, v0
	;; [unrolled: 1-line block ×6, first 2 shown]
	v_xor_b32_e32 v6, 0xffffff80, v0
	v_xor_b32_e32 v2, 0xffffff80, v1
	;; [unrolled: 1-line block ×8, first 2 shown]
	v_and_b32_e32 v25, 0xff, v6
	v_and_b32_e32 v26, 0xff, v2
	v_lshlrev_b16 v27, 8, v7
	v_lshlrev_b16 v28, 8, v24
	v_and_b32_e32 v29, 0xff, v23
	v_lshlrev_b16 v30, 8, v3
	v_lshlrev_b16 v31, 8, v5
	v_and_b32_e32 v32, 0xff, v4
	ds_load_b64 v[0:1], v17
	v_or_b32_e32 v25, v25, v27
	v_or_b32_e32 v27, v29, v28
	;; [unrolled: 1-line block ×4, first 2 shown]
	s_delay_alu instid0(VALU_DEP_4) | instskip(NEXT) | instid1(VALU_DEP_4)
	v_and_b32_e32 v25, 0xffff, v25
	v_lshlrev_b32_e32 v27, 16, v27
	s_delay_alu instid0(VALU_DEP_4) | instskip(NEXT) | instid1(VALU_DEP_4)
	v_and_b32_e32 v26, 0xffff, v26
	v_lshlrev_b32_e32 v28, 16, v28
	s_delay_alu instid0(VALU_DEP_3) | instskip(NEXT) | instid1(VALU_DEP_2)
	v_or_b32_e32 v25, v25, v27
	v_or_b32_e32 v26, v26, v28
	s_cbranch_scc1 .LBB55_24
.LBB55_2:                               ; =>This Inner Loop Header: Depth=1
	s_delay_alu instid0(VALU_DEP_1) | instskip(NEXT) | instid1(VALU_DEP_3)
	v_lshrrev_b32_e32 v2, 16, v26
	v_lshrrev_b32_e32 v3, 16, v25
	v_xor_b32_e32 v4, 0x80, v26
	v_xor_b32_e32 v23, 0x80, v25
	v_and_b32_e32 v5, 0xffffff00, v26
	v_xor_b32_e32 v7, 0x80, v2
	v_xor_b32_e32 v24, 0x80, v3
	v_and_b32_e32 v6, 0xffffff00, v25
	v_and_b32_e32 v4, 0xff, v4
	v_and_b32_e32 v2, 0xffffff00, v2
	v_and_b32_e32 v7, 0xff, v7
	v_and_b32_e32 v23, 0xff, v23
	v_and_b32_e32 v3, 0xffffff00, v3
	v_and_b32_e32 v24, 0xff, v24
	v_or_b32_e32 v4, v4, v5
	v_or_b32_e32 v2, v7, v2
	;; [unrolled: 1-line block ×3, first 2 shown]
	s_delay_alu instid0(VALU_DEP_4) | instskip(NEXT) | instid1(VALU_DEP_4)
	v_or_b32_e32 v3, v24, v3
	v_add_nc_u16 v4, v4, 0x8000
	s_delay_alu instid0(VALU_DEP_4) | instskip(NEXT) | instid1(VALU_DEP_4)
	v_add_nc_u16 v2, v2, 0x8000
	v_add_nc_u16 v5, v5, 0x8000
	s_delay_alu instid0(VALU_DEP_4) | instskip(NEXT) | instid1(VALU_DEP_4)
	v_add_nc_u16 v3, v3, 0x8000
	v_and_b32_e32 v4, 0xffff, v4
	s_delay_alu instid0(VALU_DEP_4) | instskip(NEXT) | instid1(VALU_DEP_4)
	v_lshlrev_b32_e32 v2, 16, v2
	v_and_b32_e32 v5, 0xffff, v5
	s_delay_alu instid0(VALU_DEP_4) | instskip(NEXT) | instid1(VALU_DEP_3)
	v_lshlrev_b32_e32 v6, 16, v3
	v_or_b32_e32 v3, v4, v2
	s_delay_alu instid0(VALU_DEP_2)
	v_or_b32_e32 v2, v5, v6
	ds_store_b64 v19, v[2:3]
	; wave barrier
	ds_load_u8 v23, v14
	ds_load_u8 v24, v14 offset:32
	ds_load_u8 v25, v14 offset:64
	;; [unrolled: 1-line block ×7, first 2 shown]
	; wave barrier
	s_waitcnt lgkmcnt(9)
	ds_store_b64 v19, v[0:1]
	; wave barrier
	s_waitcnt lgkmcnt(8)
	v_and_b32_e32 v2, 1, v23
	v_lshlrev_b32_e32 v3, 30, v23
	v_lshlrev_b32_e32 v4, 29, v23
	;; [unrolled: 1-line block ×4, first 2 shown]
	v_add_co_u32 v2, s10, v2, -1
	s_delay_alu instid0(VALU_DEP_1)
	v_cndmask_b32_e64 v6, 0, 1, s10
	v_not_b32_e32 v33, v3
	v_cmp_gt_i32_e64 s11, 0, v3
	v_not_b32_e32 v3, v4
	v_lshlrev_b32_e32 v31, 26, v23
	v_cmp_ne_u32_e64 s10, 0, v6
	v_ashrrev_i32_e32 v33, 31, v33
	v_lshlrev_b32_e32 v32, 25, v23
	v_ashrrev_i32_e32 v3, 31, v3
	v_lshlrev_b32_e32 v6, 24, v23
	v_xor_b32_e32 v2, s10, v2
	v_cmp_gt_i32_e64 s10, 0, v4
	v_not_b32_e32 v4, v5
	v_xor_b32_e32 v33, s11, v33
	v_cmp_gt_i32_e64 s11, 0, v5
	v_and_b32_e32 v2, exec_lo, v2
	v_not_b32_e32 v5, v7
	v_ashrrev_i32_e32 v4, 31, v4
	v_xor_b32_e32 v3, s10, v3
	v_cmp_gt_i32_e64 s10, 0, v7
	v_and_b32_e32 v2, v2, v33
	v_not_b32_e32 v7, v31
	v_ashrrev_i32_e32 v5, 31, v5
	v_xor_b32_e32 v4, s11, v4
	v_cmp_gt_i32_e64 s11, 0, v31
	v_and_b32_e32 v2, v2, v3
	;; [unrolled: 5-line block ×4, first 2 shown]
	v_ashrrev_i32_e32 v4, 31, v4
	v_xor_b32_e32 v3, s10, v3
	ds_load_u8 v31, v14
	ds_load_u8 v32, v14 offset:32
	ds_load_u8 v33, v14 offset:64
	;; [unrolled: 1-line block ×7, first 2 shown]
	s_waitcnt lgkmcnt(0)
	v_and_b32_e32 v2, v2, v7
	v_xor_b32_e32 v0, s11, v4
	s_barrier
	buffer_gl0_inv
	ds_store_2addr_b64 v13, v[9:10], v[11:12] offset0:1 offset1:2
	ds_store_2addr_b64 v15, v[9:10], v[11:12] offset0:2 offset1:3
	v_and_b32_e32 v1, v2, v3
	s_waitcnt lgkmcnt(0)
	s_barrier
	buffer_gl0_inv
	v_and_b32_e32 v0, v1, v0
	v_and_b32_e32 v1, 0xff, v23
	; wave barrier
	s_delay_alu instid0(VALU_DEP_2) | instskip(NEXT) | instid1(VALU_DEP_2)
	v_mbcnt_lo_u32_b32 v39, v0, 0
	v_lshl_add_u32 v1, v1, 1, v21
	v_cmp_ne_u32_e64 s11, 0, v0
	s_delay_alu instid0(VALU_DEP_3) | instskip(NEXT) | instid1(VALU_DEP_3)
	v_cmp_eq_u32_e64 s10, 0, v39
	v_lshl_add_u32 v40, v1, 2, 8
	s_delay_alu instid0(VALU_DEP_2) | instskip(NEXT) | instid1(SALU_CYCLE_1)
	s_and_b32 s11, s11, s10
	s_and_saveexec_b32 s10, s11
	s_cbranch_execz .LBB55_4
; %bb.3:                                ;   in Loop: Header=BB55_2 Depth=1
	v_bcnt_u32_b32 v0, v0, 0
	ds_store_b32 v40, v0
.LBB55_4:                               ;   in Loop: Header=BB55_2 Depth=1
	s_or_b32 exec_lo, exec_lo, s10
	v_and_b32_e32 v0, 1, v24
	v_lshlrev_b32_e32 v2, 30, v24
	v_lshlrev_b32_e32 v4, 29, v24
	;; [unrolled: 1-line block ×4, first 2 shown]
	v_add_co_u32 v0, s10, v0, -1
	s_delay_alu instid0(VALU_DEP_1)
	v_cndmask_b32_e64 v3, 0, 1, s10
	v_not_b32_e32 v7, v2
	v_cmp_gt_i32_e64 s11, 0, v2
	v_not_b32_e32 v2, v4
	v_and_b32_e32 v1, 0xff, v24
	v_cmp_ne_u32_e64 s10, 0, v3
	v_ashrrev_i32_e32 v7, 31, v7
	v_lshlrev_b32_e32 v3, 26, v24
	v_ashrrev_i32_e32 v2, 31, v2
	v_lshlrev_b32_e32 v1, 1, v1
	v_xor_b32_e32 v0, s10, v0
	v_cmp_gt_i32_e64 s10, 0, v4
	v_not_b32_e32 v4, v5
	v_xor_b32_e32 v7, s11, v7
	v_cmp_gt_i32_e64 s11, 0, v5
	v_and_b32_e32 v0, exec_lo, v0
	v_not_b32_e32 v5, v6
	v_ashrrev_i32_e32 v4, 31, v4
	v_xor_b32_e32 v2, s10, v2
	v_cmp_gt_i32_e64 s10, 0, v6
	v_and_b32_e32 v0, v0, v7
	v_lshlrev_b32_e32 v7, 25, v24
	v_ashrrev_i32_e32 v5, 31, v5
	v_xor_b32_e32 v4, s11, v4
	v_not_b32_e32 v6, v3
	v_and_b32_e32 v0, v0, v2
	v_lshlrev_b32_e32 v2, 24, v24
	v_not_b32_e32 v41, v7
	v_xor_b32_e32 v5, s10, v5
	v_cmp_gt_i32_e64 s10, 0, v3
	v_and_b32_e32 v0, v0, v4
	v_ashrrev_i32_e32 v3, 31, v6
	v_cmp_gt_i32_e64 s11, 0, v7
	v_ashrrev_i32_e32 v4, 31, v41
	v_add_lshl_u32 v1, v21, v1, 2
	v_and_b32_e32 v0, v0, v5
	v_not_b32_e32 v5, v2
	v_xor_b32_e32 v3, s10, v3
	v_xor_b32_e32 v4, s11, v4
	v_cmp_gt_i32_e64 s10, 0, v2
	s_delay_alu instid0(VALU_DEP_4) | instskip(NEXT) | instid1(VALU_DEP_4)
	v_ashrrev_i32_e32 v2, 31, v5
	v_and_b32_e32 v0, v0, v3
	; wave barrier
	ds_load_b32 v41, v1 offset:8
	v_add_nc_u32_e32 v43, 8, v1
	v_xor_b32_e32 v2, s10, v2
	v_and_b32_e32 v0, v0, v4
	; wave barrier
	s_delay_alu instid0(VALU_DEP_1) | instskip(NEXT) | instid1(VALU_DEP_1)
	v_and_b32_e32 v0, v0, v2
	v_mbcnt_lo_u32_b32 v42, v0, 0
	v_cmp_ne_u32_e64 s11, 0, v0
	s_delay_alu instid0(VALU_DEP_2) | instskip(NEXT) | instid1(VALU_DEP_1)
	v_cmp_eq_u32_e64 s10, 0, v42
	s_and_b32 s11, s11, s10
	s_delay_alu instid0(SALU_CYCLE_1)
	s_and_saveexec_b32 s10, s11
	s_cbranch_execz .LBB55_6
; %bb.5:                                ;   in Loop: Header=BB55_2 Depth=1
	s_waitcnt lgkmcnt(0)
	v_bcnt_u32_b32 v0, v0, v41
	ds_store_b32 v43, v0
.LBB55_6:                               ;   in Loop: Header=BB55_2 Depth=1
	s_or_b32 exec_lo, exec_lo, s10
	v_and_b32_e32 v0, 1, v25
	v_lshlrev_b32_e32 v2, 30, v25
	v_lshlrev_b32_e32 v4, 29, v25
	;; [unrolled: 1-line block ×4, first 2 shown]
	v_add_co_u32 v0, s10, v0, -1
	s_delay_alu instid0(VALU_DEP_1)
	v_cndmask_b32_e64 v3, 0, 1, s10
	v_not_b32_e32 v7, v2
	v_cmp_gt_i32_e64 s11, 0, v2
	v_not_b32_e32 v2, v4
	v_and_b32_e32 v1, 0xff, v25
	v_cmp_ne_u32_e64 s10, 0, v3
	v_ashrrev_i32_e32 v7, 31, v7
	v_lshlrev_b32_e32 v3, 26, v25
	v_ashrrev_i32_e32 v2, 31, v2
	v_lshlrev_b32_e32 v1, 1, v1
	v_xor_b32_e32 v0, s10, v0
	v_cmp_gt_i32_e64 s10, 0, v4
	v_not_b32_e32 v4, v5
	v_xor_b32_e32 v7, s11, v7
	v_cmp_gt_i32_e64 s11, 0, v5
	v_and_b32_e32 v0, exec_lo, v0
	v_not_b32_e32 v5, v6
	v_ashrrev_i32_e32 v4, 31, v4
	v_xor_b32_e32 v2, s10, v2
	v_cmp_gt_i32_e64 s10, 0, v6
	v_and_b32_e32 v0, v0, v7
	v_lshlrev_b32_e32 v7, 25, v25
	v_ashrrev_i32_e32 v5, 31, v5
	v_xor_b32_e32 v4, s11, v4
	v_not_b32_e32 v6, v3
	v_and_b32_e32 v0, v0, v2
	v_lshlrev_b32_e32 v2, 24, v25
	v_not_b32_e32 v44, v7
	v_xor_b32_e32 v5, s10, v5
	v_cmp_gt_i32_e64 s10, 0, v3
	v_and_b32_e32 v0, v0, v4
	v_ashrrev_i32_e32 v3, 31, v6
	v_cmp_gt_i32_e64 s11, 0, v7
	v_ashrrev_i32_e32 v4, 31, v44
	v_add_lshl_u32 v1, v21, v1, 2
	v_and_b32_e32 v0, v0, v5
	v_not_b32_e32 v5, v2
	v_xor_b32_e32 v3, s10, v3
	v_xor_b32_e32 v4, s11, v4
	v_cmp_gt_i32_e64 s10, 0, v2
	s_delay_alu instid0(VALU_DEP_4) | instskip(NEXT) | instid1(VALU_DEP_4)
	v_ashrrev_i32_e32 v2, 31, v5
	v_and_b32_e32 v0, v0, v3
	; wave barrier
	ds_load_b32 v44, v1 offset:8
	v_add_nc_u32_e32 v46, 8, v1
	v_xor_b32_e32 v2, s10, v2
	v_and_b32_e32 v0, v0, v4
	; wave barrier
	s_delay_alu instid0(VALU_DEP_1) | instskip(NEXT) | instid1(VALU_DEP_1)
	v_and_b32_e32 v0, v0, v2
	v_mbcnt_lo_u32_b32 v45, v0, 0
	v_cmp_ne_u32_e64 s11, 0, v0
	s_delay_alu instid0(VALU_DEP_2) | instskip(NEXT) | instid1(VALU_DEP_1)
	v_cmp_eq_u32_e64 s10, 0, v45
	s_and_b32 s11, s11, s10
	s_delay_alu instid0(SALU_CYCLE_1)
	s_and_saveexec_b32 s10, s11
	s_cbranch_execz .LBB55_8
; %bb.7:                                ;   in Loop: Header=BB55_2 Depth=1
	s_waitcnt lgkmcnt(0)
	v_bcnt_u32_b32 v0, v0, v44
	ds_store_b32 v46, v0
.LBB55_8:                               ;   in Loop: Header=BB55_2 Depth=1
	s_or_b32 exec_lo, exec_lo, s10
	v_and_b32_e32 v0, 1, v26
	v_lshlrev_b32_e32 v2, 30, v26
	v_lshlrev_b32_e32 v4, 29, v26
	;; [unrolled: 1-line block ×4, first 2 shown]
	v_add_co_u32 v0, s10, v0, -1
	s_delay_alu instid0(VALU_DEP_1)
	v_cndmask_b32_e64 v3, 0, 1, s10
	v_not_b32_e32 v7, v2
	v_cmp_gt_i32_e64 s11, 0, v2
	v_not_b32_e32 v2, v4
	v_and_b32_e32 v1, 0xff, v26
	v_cmp_ne_u32_e64 s10, 0, v3
	v_ashrrev_i32_e32 v7, 31, v7
	v_lshlrev_b32_e32 v3, 26, v26
	v_ashrrev_i32_e32 v2, 31, v2
	v_lshlrev_b32_e32 v1, 1, v1
	v_xor_b32_e32 v0, s10, v0
	v_cmp_gt_i32_e64 s10, 0, v4
	v_not_b32_e32 v4, v5
	v_xor_b32_e32 v7, s11, v7
	v_cmp_gt_i32_e64 s11, 0, v5
	v_and_b32_e32 v0, exec_lo, v0
	v_not_b32_e32 v5, v6
	v_ashrrev_i32_e32 v4, 31, v4
	v_xor_b32_e32 v2, s10, v2
	v_cmp_gt_i32_e64 s10, 0, v6
	v_and_b32_e32 v0, v0, v7
	v_lshlrev_b32_e32 v7, 25, v26
	v_ashrrev_i32_e32 v5, 31, v5
	v_xor_b32_e32 v4, s11, v4
	v_not_b32_e32 v6, v3
	v_and_b32_e32 v0, v0, v2
	v_lshlrev_b32_e32 v2, 24, v26
	v_not_b32_e32 v47, v7
	v_xor_b32_e32 v5, s10, v5
	v_cmp_gt_i32_e64 s10, 0, v3
	v_and_b32_e32 v0, v0, v4
	v_ashrrev_i32_e32 v3, 31, v6
	v_cmp_gt_i32_e64 s11, 0, v7
	v_ashrrev_i32_e32 v4, 31, v47
	v_add_lshl_u32 v1, v21, v1, 2
	v_and_b32_e32 v0, v0, v5
	v_not_b32_e32 v5, v2
	v_xor_b32_e32 v3, s10, v3
	v_xor_b32_e32 v4, s11, v4
	v_cmp_gt_i32_e64 s10, 0, v2
	s_delay_alu instid0(VALU_DEP_4) | instskip(NEXT) | instid1(VALU_DEP_4)
	v_ashrrev_i32_e32 v2, 31, v5
	v_and_b32_e32 v0, v0, v3
	; wave barrier
	ds_load_b32 v47, v1 offset:8
	v_add_nc_u32_e32 v49, 8, v1
	v_xor_b32_e32 v2, s10, v2
	v_and_b32_e32 v0, v0, v4
	; wave barrier
	s_delay_alu instid0(VALU_DEP_1) | instskip(NEXT) | instid1(VALU_DEP_1)
	v_and_b32_e32 v0, v0, v2
	v_mbcnt_lo_u32_b32 v48, v0, 0
	v_cmp_ne_u32_e64 s11, 0, v0
	s_delay_alu instid0(VALU_DEP_2) | instskip(NEXT) | instid1(VALU_DEP_1)
	v_cmp_eq_u32_e64 s10, 0, v48
	s_and_b32 s11, s11, s10
	s_delay_alu instid0(SALU_CYCLE_1)
	s_and_saveexec_b32 s10, s11
	s_cbranch_execz .LBB55_10
; %bb.9:                                ;   in Loop: Header=BB55_2 Depth=1
	s_waitcnt lgkmcnt(0)
	v_bcnt_u32_b32 v0, v0, v47
	ds_store_b32 v49, v0
.LBB55_10:                              ;   in Loop: Header=BB55_2 Depth=1
	s_or_b32 exec_lo, exec_lo, s10
	v_and_b32_e32 v0, 1, v27
	v_lshlrev_b32_e32 v2, 30, v27
	v_lshlrev_b32_e32 v4, 29, v27
	;; [unrolled: 1-line block ×4, first 2 shown]
	v_add_co_u32 v0, s10, v0, -1
	s_delay_alu instid0(VALU_DEP_1)
	v_cndmask_b32_e64 v3, 0, 1, s10
	v_not_b32_e32 v7, v2
	v_cmp_gt_i32_e64 s11, 0, v2
	v_not_b32_e32 v2, v4
	v_and_b32_e32 v1, 0xff, v27
	v_cmp_ne_u32_e64 s10, 0, v3
	v_ashrrev_i32_e32 v7, 31, v7
	v_lshlrev_b32_e32 v3, 26, v27
	v_ashrrev_i32_e32 v2, 31, v2
	v_lshlrev_b32_e32 v1, 1, v1
	v_xor_b32_e32 v0, s10, v0
	v_cmp_gt_i32_e64 s10, 0, v4
	v_not_b32_e32 v4, v5
	v_xor_b32_e32 v7, s11, v7
	v_cmp_gt_i32_e64 s11, 0, v5
	v_and_b32_e32 v0, exec_lo, v0
	v_not_b32_e32 v5, v6
	v_ashrrev_i32_e32 v4, 31, v4
	v_xor_b32_e32 v2, s10, v2
	v_cmp_gt_i32_e64 s10, 0, v6
	v_and_b32_e32 v0, v0, v7
	v_lshlrev_b32_e32 v7, 25, v27
	v_ashrrev_i32_e32 v5, 31, v5
	v_xor_b32_e32 v4, s11, v4
	v_not_b32_e32 v6, v3
	v_and_b32_e32 v0, v0, v2
	v_lshlrev_b32_e32 v2, 24, v27
	v_not_b32_e32 v50, v7
	v_xor_b32_e32 v5, s10, v5
	v_cmp_gt_i32_e64 s10, 0, v3
	v_and_b32_e32 v0, v0, v4
	v_ashrrev_i32_e32 v3, 31, v6
	v_cmp_gt_i32_e64 s11, 0, v7
	v_ashrrev_i32_e32 v4, 31, v50
	v_add_lshl_u32 v1, v21, v1, 2
	v_and_b32_e32 v0, v0, v5
	v_not_b32_e32 v5, v2
	v_xor_b32_e32 v3, s10, v3
	v_xor_b32_e32 v4, s11, v4
	v_cmp_gt_i32_e64 s10, 0, v2
	s_delay_alu instid0(VALU_DEP_4) | instskip(NEXT) | instid1(VALU_DEP_4)
	v_ashrrev_i32_e32 v2, 31, v5
	v_and_b32_e32 v0, v0, v3
	; wave barrier
	ds_load_b32 v50, v1 offset:8
	v_add_nc_u32_e32 v52, 8, v1
	v_xor_b32_e32 v2, s10, v2
	v_and_b32_e32 v0, v0, v4
	; wave barrier
	s_delay_alu instid0(VALU_DEP_1) | instskip(NEXT) | instid1(VALU_DEP_1)
	v_and_b32_e32 v0, v0, v2
	v_mbcnt_lo_u32_b32 v51, v0, 0
	v_cmp_ne_u32_e64 s11, 0, v0
	s_delay_alu instid0(VALU_DEP_2) | instskip(NEXT) | instid1(VALU_DEP_1)
	v_cmp_eq_u32_e64 s10, 0, v51
	s_and_b32 s11, s11, s10
	s_delay_alu instid0(SALU_CYCLE_1)
	s_and_saveexec_b32 s10, s11
	s_cbranch_execz .LBB55_12
; %bb.11:                               ;   in Loop: Header=BB55_2 Depth=1
	s_waitcnt lgkmcnt(0)
	v_bcnt_u32_b32 v0, v0, v50
	ds_store_b32 v52, v0
.LBB55_12:                              ;   in Loop: Header=BB55_2 Depth=1
	s_or_b32 exec_lo, exec_lo, s10
	v_and_b32_e32 v0, 1, v28
	v_lshlrev_b32_e32 v2, 30, v28
	v_lshlrev_b32_e32 v4, 29, v28
	v_lshlrev_b32_e32 v5, 28, v28
	v_lshlrev_b32_e32 v6, 27, v28
	v_add_co_u32 v0, s10, v0, -1
	s_delay_alu instid0(VALU_DEP_1)
	v_cndmask_b32_e64 v3, 0, 1, s10
	v_not_b32_e32 v7, v2
	v_cmp_gt_i32_e64 s11, 0, v2
	v_not_b32_e32 v2, v4
	v_and_b32_e32 v1, 0xff, v28
	v_cmp_ne_u32_e64 s10, 0, v3
	v_ashrrev_i32_e32 v7, 31, v7
	v_lshlrev_b32_e32 v3, 26, v28
	v_ashrrev_i32_e32 v2, 31, v2
	v_lshlrev_b32_e32 v1, 1, v1
	v_xor_b32_e32 v0, s10, v0
	v_cmp_gt_i32_e64 s10, 0, v4
	v_not_b32_e32 v4, v5
	v_xor_b32_e32 v7, s11, v7
	v_cmp_gt_i32_e64 s11, 0, v5
	v_and_b32_e32 v0, exec_lo, v0
	v_not_b32_e32 v5, v6
	v_ashrrev_i32_e32 v4, 31, v4
	v_xor_b32_e32 v2, s10, v2
	v_cmp_gt_i32_e64 s10, 0, v6
	v_and_b32_e32 v0, v0, v7
	v_lshlrev_b32_e32 v7, 25, v28
	v_ashrrev_i32_e32 v5, 31, v5
	v_xor_b32_e32 v4, s11, v4
	v_not_b32_e32 v6, v3
	v_and_b32_e32 v0, v0, v2
	v_lshlrev_b32_e32 v2, 24, v28
	v_not_b32_e32 v53, v7
	v_xor_b32_e32 v5, s10, v5
	v_cmp_gt_i32_e64 s10, 0, v3
	v_and_b32_e32 v0, v0, v4
	v_ashrrev_i32_e32 v3, 31, v6
	v_cmp_gt_i32_e64 s11, 0, v7
	v_ashrrev_i32_e32 v4, 31, v53
	v_add_lshl_u32 v1, v21, v1, 2
	v_and_b32_e32 v0, v0, v5
	v_not_b32_e32 v5, v2
	v_xor_b32_e32 v3, s10, v3
	v_xor_b32_e32 v4, s11, v4
	v_cmp_gt_i32_e64 s10, 0, v2
	s_delay_alu instid0(VALU_DEP_4) | instskip(NEXT) | instid1(VALU_DEP_4)
	v_ashrrev_i32_e32 v2, 31, v5
	v_and_b32_e32 v0, v0, v3
	; wave barrier
	ds_load_b32 v53, v1 offset:8
	v_add_nc_u32_e32 v55, 8, v1
	v_xor_b32_e32 v2, s10, v2
	v_and_b32_e32 v0, v0, v4
	; wave barrier
	s_delay_alu instid0(VALU_DEP_1) | instskip(NEXT) | instid1(VALU_DEP_1)
	v_and_b32_e32 v0, v0, v2
	v_mbcnt_lo_u32_b32 v54, v0, 0
	v_cmp_ne_u32_e64 s11, 0, v0
	s_delay_alu instid0(VALU_DEP_2) | instskip(NEXT) | instid1(VALU_DEP_1)
	v_cmp_eq_u32_e64 s10, 0, v54
	s_and_b32 s11, s11, s10
	s_delay_alu instid0(SALU_CYCLE_1)
	s_and_saveexec_b32 s10, s11
	s_cbranch_execz .LBB55_14
; %bb.13:                               ;   in Loop: Header=BB55_2 Depth=1
	s_waitcnt lgkmcnt(0)
	v_bcnt_u32_b32 v0, v0, v53
	ds_store_b32 v55, v0
.LBB55_14:                              ;   in Loop: Header=BB55_2 Depth=1
	s_or_b32 exec_lo, exec_lo, s10
	v_and_b32_e32 v0, 1, v29
	v_lshlrev_b32_e32 v2, 30, v29
	v_lshlrev_b32_e32 v4, 29, v29
	v_lshlrev_b32_e32 v5, 28, v29
	v_lshlrev_b32_e32 v6, 27, v29
	v_add_co_u32 v0, s10, v0, -1
	s_delay_alu instid0(VALU_DEP_1)
	v_cndmask_b32_e64 v3, 0, 1, s10
	v_not_b32_e32 v7, v2
	v_cmp_gt_i32_e64 s11, 0, v2
	v_not_b32_e32 v2, v4
	v_and_b32_e32 v1, 0xff, v29
	v_cmp_ne_u32_e64 s10, 0, v3
	v_ashrrev_i32_e32 v7, 31, v7
	v_lshlrev_b32_e32 v3, 26, v29
	v_ashrrev_i32_e32 v2, 31, v2
	v_lshlrev_b32_e32 v1, 1, v1
	v_xor_b32_e32 v0, s10, v0
	v_cmp_gt_i32_e64 s10, 0, v4
	v_not_b32_e32 v4, v5
	v_xor_b32_e32 v7, s11, v7
	v_cmp_gt_i32_e64 s11, 0, v5
	v_and_b32_e32 v0, exec_lo, v0
	v_not_b32_e32 v5, v6
	v_ashrrev_i32_e32 v4, 31, v4
	v_xor_b32_e32 v2, s10, v2
	v_cmp_gt_i32_e64 s10, 0, v6
	v_and_b32_e32 v0, v0, v7
	v_lshlrev_b32_e32 v7, 25, v29
	v_ashrrev_i32_e32 v5, 31, v5
	v_xor_b32_e32 v4, s11, v4
	v_not_b32_e32 v6, v3
	v_and_b32_e32 v0, v0, v2
	v_lshlrev_b32_e32 v2, 24, v29
	v_not_b32_e32 v56, v7
	v_xor_b32_e32 v5, s10, v5
	v_cmp_gt_i32_e64 s10, 0, v3
	v_and_b32_e32 v0, v0, v4
	v_ashrrev_i32_e32 v3, 31, v6
	v_cmp_gt_i32_e64 s11, 0, v7
	v_ashrrev_i32_e32 v4, 31, v56
	v_add_lshl_u32 v1, v21, v1, 2
	v_and_b32_e32 v0, v0, v5
	v_not_b32_e32 v5, v2
	v_xor_b32_e32 v3, s10, v3
	v_xor_b32_e32 v4, s11, v4
	v_cmp_gt_i32_e64 s10, 0, v2
	s_delay_alu instid0(VALU_DEP_4) | instskip(NEXT) | instid1(VALU_DEP_4)
	v_ashrrev_i32_e32 v2, 31, v5
	v_and_b32_e32 v0, v0, v3
	; wave barrier
	ds_load_b32 v56, v1 offset:8
	v_add_nc_u32_e32 v58, 8, v1
	v_xor_b32_e32 v2, s10, v2
	v_and_b32_e32 v0, v0, v4
	; wave barrier
	s_delay_alu instid0(VALU_DEP_1) | instskip(NEXT) | instid1(VALU_DEP_1)
	v_and_b32_e32 v0, v0, v2
	v_mbcnt_lo_u32_b32 v57, v0, 0
	v_cmp_ne_u32_e64 s11, 0, v0
	s_delay_alu instid0(VALU_DEP_2) | instskip(NEXT) | instid1(VALU_DEP_1)
	v_cmp_eq_u32_e64 s10, 0, v57
	s_and_b32 s11, s11, s10
	s_delay_alu instid0(SALU_CYCLE_1)
	s_and_saveexec_b32 s10, s11
	s_cbranch_execz .LBB55_16
; %bb.15:                               ;   in Loop: Header=BB55_2 Depth=1
	s_waitcnt lgkmcnt(0)
	v_bcnt_u32_b32 v0, v0, v56
	ds_store_b32 v58, v0
.LBB55_16:                              ;   in Loop: Header=BB55_2 Depth=1
	s_or_b32 exec_lo, exec_lo, s10
	v_and_b32_e32 v0, 1, v30
	v_lshlrev_b32_e32 v2, 30, v30
	v_lshlrev_b32_e32 v4, 29, v30
	;; [unrolled: 1-line block ×4, first 2 shown]
	v_add_co_u32 v0, s10, v0, -1
	s_delay_alu instid0(VALU_DEP_1)
	v_cndmask_b32_e64 v3, 0, 1, s10
	v_not_b32_e32 v7, v2
	v_cmp_gt_i32_e64 s11, 0, v2
	v_not_b32_e32 v2, v4
	v_and_b32_e32 v1, 0xff, v30
	v_cmp_ne_u32_e64 s10, 0, v3
	v_ashrrev_i32_e32 v7, 31, v7
	v_lshlrev_b32_e32 v3, 26, v30
	v_ashrrev_i32_e32 v2, 31, v2
	v_lshlrev_b32_e32 v1, 1, v1
	v_xor_b32_e32 v0, s10, v0
	v_cmp_gt_i32_e64 s10, 0, v4
	v_not_b32_e32 v4, v5
	v_xor_b32_e32 v7, s11, v7
	v_cmp_gt_i32_e64 s11, 0, v5
	v_and_b32_e32 v0, exec_lo, v0
	v_not_b32_e32 v5, v6
	v_ashrrev_i32_e32 v4, 31, v4
	v_xor_b32_e32 v2, s10, v2
	v_cmp_gt_i32_e64 s10, 0, v6
	v_and_b32_e32 v0, v0, v7
	v_lshlrev_b32_e32 v7, 25, v30
	v_ashrrev_i32_e32 v5, 31, v5
	v_xor_b32_e32 v4, s11, v4
	v_not_b32_e32 v6, v3
	v_and_b32_e32 v0, v0, v2
	v_lshlrev_b32_e32 v2, 24, v30
	v_not_b32_e32 v59, v7
	v_xor_b32_e32 v5, s10, v5
	v_cmp_gt_i32_e64 s10, 0, v3
	v_and_b32_e32 v0, v0, v4
	v_ashrrev_i32_e32 v3, 31, v6
	v_cmp_gt_i32_e64 s11, 0, v7
	v_ashrrev_i32_e32 v4, 31, v59
	v_add_lshl_u32 v1, v21, v1, 2
	v_and_b32_e32 v0, v0, v5
	v_not_b32_e32 v5, v2
	v_xor_b32_e32 v3, s10, v3
	v_xor_b32_e32 v4, s11, v4
	v_cmp_gt_i32_e64 s10, 0, v2
	s_delay_alu instid0(VALU_DEP_4) | instskip(NEXT) | instid1(VALU_DEP_4)
	v_ashrrev_i32_e32 v2, 31, v5
	v_and_b32_e32 v0, v0, v3
	; wave barrier
	ds_load_b32 v59, v1 offset:8
	v_add_nc_u32_e32 v61, 8, v1
	v_xor_b32_e32 v2, s10, v2
	v_and_b32_e32 v0, v0, v4
	; wave barrier
	s_delay_alu instid0(VALU_DEP_1) | instskip(NEXT) | instid1(VALU_DEP_1)
	v_and_b32_e32 v0, v0, v2
	v_mbcnt_lo_u32_b32 v60, v0, 0
	v_cmp_ne_u32_e64 s11, 0, v0
	s_delay_alu instid0(VALU_DEP_2) | instskip(NEXT) | instid1(VALU_DEP_1)
	v_cmp_eq_u32_e64 s10, 0, v60
	s_and_b32 s11, s11, s10
	s_delay_alu instid0(SALU_CYCLE_1)
	s_and_saveexec_b32 s10, s11
	s_cbranch_execz .LBB55_18
; %bb.17:                               ;   in Loop: Header=BB55_2 Depth=1
	s_waitcnt lgkmcnt(0)
	v_bcnt_u32_b32 v0, v0, v59
	ds_store_b32 v61, v0
.LBB55_18:                              ;   in Loop: Header=BB55_2 Depth=1
	s_or_b32 exec_lo, exec_lo, s10
	; wave barrier
	s_waitcnt lgkmcnt(0)
	s_barrier
	buffer_gl0_inv
	ds_load_2addr_b64 v[4:7], v13 offset0:1 offset1:2
	ds_load_2addr_b64 v[0:3], v15 offset0:2 offset1:3
	s_waitcnt lgkmcnt(1)
	v_add_nc_u32_e32 v62, v5, v4
	s_delay_alu instid0(VALU_DEP_1) | instskip(SKIP_1) | instid1(VALU_DEP_1)
	v_add3_u32 v62, v62, v6, v7
	s_waitcnt lgkmcnt(0)
	v_add3_u32 v62, v62, v0, v1
	s_delay_alu instid0(VALU_DEP_1) | instskip(NEXT) | instid1(VALU_DEP_1)
	v_add3_u32 v3, v62, v2, v3
	v_mov_b32_dpp v62, v3 row_shr:1 row_mask:0xf bank_mask:0xf
	s_delay_alu instid0(VALU_DEP_1) | instskip(NEXT) | instid1(VALU_DEP_1)
	v_cndmask_b32_e64 v62, v62, 0, s0
	v_add_nc_u32_e32 v3, v62, v3
	s_delay_alu instid0(VALU_DEP_1) | instskip(NEXT) | instid1(VALU_DEP_1)
	v_mov_b32_dpp v62, v3 row_shr:2 row_mask:0xf bank_mask:0xf
	v_cndmask_b32_e64 v62, 0, v62, s1
	s_delay_alu instid0(VALU_DEP_1) | instskip(NEXT) | instid1(VALU_DEP_1)
	v_add_nc_u32_e32 v3, v3, v62
	v_mov_b32_dpp v62, v3 row_shr:4 row_mask:0xf bank_mask:0xf
	s_delay_alu instid0(VALU_DEP_1) | instskip(NEXT) | instid1(VALU_DEP_1)
	v_cndmask_b32_e64 v62, 0, v62, s2
	v_add_nc_u32_e32 v3, v3, v62
	s_delay_alu instid0(VALU_DEP_1) | instskip(NEXT) | instid1(VALU_DEP_1)
	v_mov_b32_dpp v62, v3 row_shr:8 row_mask:0xf bank_mask:0xf
	v_cndmask_b32_e64 v62, 0, v62, s3
	s_delay_alu instid0(VALU_DEP_1) | instskip(SKIP_3) | instid1(VALU_DEP_1)
	v_add_nc_u32_e32 v3, v3, v62
	ds_swizzle_b32 v62, v3 offset:swizzle(BROADCAST,32,15)
	s_waitcnt lgkmcnt(0)
	v_cndmask_b32_e64 v62, v62, 0, s4
	v_add_nc_u32_e32 v3, v3, v62
	s_and_saveexec_b32 s10, s9
	s_cbranch_execz .LBB55_20
; %bb.19:                               ;   in Loop: Header=BB55_2 Depth=1
	ds_store_b32 v18, v3
.LBB55_20:                              ;   in Loop: Header=BB55_2 Depth=1
	s_or_b32 exec_lo, exec_lo, s10
	s_waitcnt lgkmcnt(0)
	s_barrier
	buffer_gl0_inv
	s_and_saveexec_b32 s10, s5
	s_cbranch_execz .LBB55_22
; %bb.21:                               ;   in Loop: Header=BB55_2 Depth=1
	ds_load_b32 v62, v22
	s_waitcnt lgkmcnt(0)
	v_mov_b32_dpp v63, v62 row_shr:1 row_mask:0xf bank_mask:0xf
	s_delay_alu instid0(VALU_DEP_1) | instskip(NEXT) | instid1(VALU_DEP_1)
	v_cndmask_b32_e64 v63, v63, 0, s8
	v_add_nc_u32_e32 v62, v63, v62
	ds_store_b32 v22, v62
.LBB55_22:                              ;   in Loop: Header=BB55_2 Depth=1
	s_or_b32 exec_lo, exec_lo, s10
	v_mov_b32_e32 v62, 0
	s_waitcnt lgkmcnt(0)
	s_barrier
	buffer_gl0_inv
	s_and_saveexec_b32 s10, s6
	s_cbranch_execz .LBB55_1
; %bb.23:                               ;   in Loop: Header=BB55_2 Depth=1
	ds_load_b32 v62, v20
	s_branch .LBB55_1
.LBB55_24:
	s_waitcnt lgkmcnt(0)
	v_lshrrev_b32_e32 v9, 8, v0
	s_add_u32 s0, s18, s12
	v_lshrrev_b32_e32 v10, 16, v0
	v_lshrrev_b32_e32 v11, 24, v0
	v_add_nc_u16 v0, v6, v0
	s_addc_u32 s1, s19, 0
	v_add_co_u32 v6, s0, s0, v8
	v_lshrrev_b32_e32 v12, 8, v1
	v_lshrrev_b32_e32 v13, 16, v1
	;; [unrolled: 1-line block ×3, first 2 shown]
	v_add_nc_u16 v9, v7, v9
	v_add_co_ci_u32_e64 v7, null, s1, 0, s0
	v_add_nc_u16 v10, v23, v10
	v_add_nc_u16 v11, v24, v11
	;; [unrolled: 1-line block ×6, first 2 shown]
	s_clause 0x7
	global_store_b8 v[6:7], v0, off
	global_store_b8 v[6:7], v9, off offset:64
	global_store_b8 v[6:7], v10, off offset:128
	;; [unrolled: 1-line block ×7, first 2 shown]
	s_nop 0
	s_sendmsg sendmsg(MSG_DEALLOC_VGPRS)
	s_endpgm
	.section	.rodata,"a",@progbits
	.p2align	6, 0x0
	.amdhsa_kernel _Z17sort_pairs_kernelI22helper_blocked_blockedaLj64ELj8ELj10EEvPKT0_PS1_
		.amdhsa_group_segment_fixed_size 2064
		.amdhsa_private_segment_fixed_size 0
		.amdhsa_kernarg_size 272
		.amdhsa_user_sgpr_count 15
		.amdhsa_user_sgpr_dispatch_ptr 0
		.amdhsa_user_sgpr_queue_ptr 0
		.amdhsa_user_sgpr_kernarg_segment_ptr 1
		.amdhsa_user_sgpr_dispatch_id 0
		.amdhsa_user_sgpr_private_segment_size 0
		.amdhsa_wavefront_size32 1
		.amdhsa_uses_dynamic_stack 0
		.amdhsa_enable_private_segment 0
		.amdhsa_system_sgpr_workgroup_id_x 1
		.amdhsa_system_sgpr_workgroup_id_y 0
		.amdhsa_system_sgpr_workgroup_id_z 0
		.amdhsa_system_sgpr_workgroup_info 0
		.amdhsa_system_vgpr_workitem_id 2
		.amdhsa_next_free_vgpr 64
		.amdhsa_next_free_sgpr 20
		.amdhsa_reserve_vcc 1
		.amdhsa_float_round_mode_32 0
		.amdhsa_float_round_mode_16_64 0
		.amdhsa_float_denorm_mode_32 3
		.amdhsa_float_denorm_mode_16_64 3
		.amdhsa_dx10_clamp 1
		.amdhsa_ieee_mode 1
		.amdhsa_fp16_overflow 0
		.amdhsa_workgroup_processor_mode 1
		.amdhsa_memory_ordered 1
		.amdhsa_forward_progress 0
		.amdhsa_shared_vgpr_count 0
		.amdhsa_exception_fp_ieee_invalid_op 0
		.amdhsa_exception_fp_denorm_src 0
		.amdhsa_exception_fp_ieee_div_zero 0
		.amdhsa_exception_fp_ieee_overflow 0
		.amdhsa_exception_fp_ieee_underflow 0
		.amdhsa_exception_fp_ieee_inexact 0
		.amdhsa_exception_int_div_zero 0
	.end_amdhsa_kernel
	.section	.text._Z17sort_pairs_kernelI22helper_blocked_blockedaLj64ELj8ELj10EEvPKT0_PS1_,"axG",@progbits,_Z17sort_pairs_kernelI22helper_blocked_blockedaLj64ELj8ELj10EEvPKT0_PS1_,comdat
.Lfunc_end55:
	.size	_Z17sort_pairs_kernelI22helper_blocked_blockedaLj64ELj8ELj10EEvPKT0_PS1_, .Lfunc_end55-_Z17sort_pairs_kernelI22helper_blocked_blockedaLj64ELj8ELj10EEvPKT0_PS1_
                                        ; -- End function
	.section	.AMDGPU.csdata,"",@progbits
; Kernel info:
; codeLenInByte = 5060
; NumSgprs: 22
; NumVgprs: 64
; ScratchSize: 0
; MemoryBound: 0
; FloatMode: 240
; IeeeMode: 1
; LDSByteSize: 2064 bytes/workgroup (compile time only)
; SGPRBlocks: 2
; VGPRBlocks: 7
; NumSGPRsForWavesPerEU: 22
; NumVGPRsForWavesPerEU: 64
; Occupancy: 16
; WaveLimiterHint : 0
; COMPUTE_PGM_RSRC2:SCRATCH_EN: 0
; COMPUTE_PGM_RSRC2:USER_SGPR: 15
; COMPUTE_PGM_RSRC2:TRAP_HANDLER: 0
; COMPUTE_PGM_RSRC2:TGID_X_EN: 1
; COMPUTE_PGM_RSRC2:TGID_Y_EN: 0
; COMPUTE_PGM_RSRC2:TGID_Z_EN: 0
; COMPUTE_PGM_RSRC2:TIDIG_COMP_CNT: 2
	.section	.text._Z16sort_keys_kernelI22helper_blocked_blockedaLj128ELj1ELj10EEvPKT0_PS1_,"axG",@progbits,_Z16sort_keys_kernelI22helper_blocked_blockedaLj128ELj1ELj10EEvPKT0_PS1_,comdat
	.protected	_Z16sort_keys_kernelI22helper_blocked_blockedaLj128ELj1ELj10EEvPKT0_PS1_ ; -- Begin function _Z16sort_keys_kernelI22helper_blocked_blockedaLj128ELj1ELj10EEvPKT0_PS1_
	.globl	_Z16sort_keys_kernelI22helper_blocked_blockedaLj128ELj1ELj10EEvPKT0_PS1_
	.p2align	8
	.type	_Z16sort_keys_kernelI22helper_blocked_blockedaLj128ELj1ELj10EEvPKT0_PS1_,@function
_Z16sort_keys_kernelI22helper_blocked_blockedaLj128ELj1ELj10EEvPKT0_PS1_: ; @_Z16sort_keys_kernelI22helper_blocked_blockedaLj128ELj1ELj10EEvPKT0_PS1_
; %bb.0:
	s_clause 0x1
	s_load_b128 s[16:19], s[0:1], 0x0
	s_load_b32 s8, s[0:1], 0x1c
	s_lshl_b32 s14, s15, 7
	v_and_b32_e32 v8, 0x3ff, v0
	v_mbcnt_lo_u32_b32 v1, -1, 0
	v_bfe_u32 v3, v0, 10, 10
	v_bfe_u32 v0, v0, 20, 10
	s_mov_b32 s15, 10
	s_delay_alu instid0(VALU_DEP_3)
	v_add_nc_u32_e32 v6, -1, v1
	v_and_b32_e32 v4, 15, v1
	v_cmp_eq_u32_e32 vcc_lo, 0, v1
	v_and_b32_e32 v7, 3, v1
	v_and_b32_e32 v5, 16, v1
	v_cmp_gt_i32_e64 s7, 0, v6
	s_delay_alu instid0(VALU_DEP_2) | instskip(NEXT) | instid1(VALU_DEP_2)
	v_cmp_eq_u32_e64 s4, 0, v5
	v_cndmask_b32_e64 v5, v6, v1, s7
	s_waitcnt lgkmcnt(0)
	s_add_u32 s0, s16, s14
	s_addc_u32 s1, s17, 0
	s_lshr_b32 s9, s8, 16
	global_load_u8 v2, v8, s[0:1]
	s_mov_b32 s0, 0
	v_mad_u32_u24 v3, v0, s9, v3
	s_mov_b32 s3, s0
	s_mov_b32 s1, s0
	;; [unrolled: 1-line block ×3, first 2 shown]
	v_mov_b32_e32 v12, s3
	v_dual_mov_b32 v10, s1 :: v_dual_mov_b32 v11, s2
	v_mov_b32_e32 v9, s0
	v_lshrrev_b32_e32 v6, 3, v8
	s_and_b32 s8, s8, 0xffff
	v_lshlrev_b32_e32 v13, 5, v8
	v_cmp_eq_u32_e64 s0, 0, v4
	v_mad_u64_u32 v[0:1], null, v3, s8, v[8:9]
	v_cmp_lt_u32_e64 s1, 1, v4
	v_cmp_lt_u32_e64 s2, 3, v4
	;; [unrolled: 1-line block ×3, first 2 shown]
	v_or_b32_e32 v4, 31, v8
	v_mul_u32_u24_e32 v19, 3, v8
	v_and_b32_e32 v14, 12, v6
	v_cmp_gt_u32_e64 s5, 4, v8
	v_cmp_lt_u32_e64 s6, 31, v8
	v_cmp_eq_u32_e64 s7, 0, v8
	v_cmp_eq_u32_e64 s8, 0, v7
	v_cmp_lt_u32_e64 s9, 1, v7
	v_or_b32_e32 v15, 16, v13
	v_cmp_eq_u32_e64 s10, v4, v8
	v_lshlrev_b32_e32 v16, 2, v5
	v_add_nc_u32_e32 v17, -4, v14
	v_lshrrev_b32_e32 v18, 5, v0
	v_add_nc_u32_e32 v19, v8, v19
	s_waitcnt vmcnt(0)
	v_xor_b32_e32 v20, 0xffffff80, v2
	s_branch .LBB56_2
.LBB56_1:                               ;   in Loop: Header=BB56_2 Depth=1
	s_or_b32 exec_lo, exec_lo, s11
	s_waitcnt lgkmcnt(0)
	v_add_nc_u32_e32 v3, v23, v3
	s_add_i32 s15, s15, -1
	s_delay_alu instid0(SALU_CYCLE_1) | instskip(SKIP_3) | instid1(VALU_DEP_1)
	s_cmp_eq_u32 s15, 0
	ds_bpermute_b32 v3, v16, v3
	s_waitcnt lgkmcnt(0)
	v_cndmask_b32_e32 v3, v3, v23, vcc_lo
	v_cndmask_b32_e64 v3, v3, 0, s7
	s_delay_alu instid0(VALU_DEP_1) | instskip(NEXT) | instid1(VALU_DEP_1)
	v_add_nc_u32_e32 v4, v3, v4
	v_add_nc_u32_e32 v5, v4, v5
	s_delay_alu instid0(VALU_DEP_1) | instskip(NEXT) | instid1(VALU_DEP_1)
	v_add_nc_u32_e32 v6, v5, v6
	v_add_nc_u32_e32 v23, v6, v7
	;; [unrolled: 3-line block ×3, first 2 shown]
	s_delay_alu instid0(VALU_DEP_1)
	v_add_nc_u32_e32 v1, v0, v2
	ds_store_2addr_b64 v13, v[3:4], v[5:6] offset0:2 offset1:3
	ds_store_2addr_b64 v15, v[23:24], v[0:1] offset0:2 offset1:3
	s_waitcnt lgkmcnt(0)
	s_barrier
	buffer_gl0_inv
	ds_load_b32 v0, v22
	s_waitcnt lgkmcnt(0)
	s_barrier
	buffer_gl0_inv
	v_add_nc_u32_e32 v0, v0, v21
	ds_store_b8 v0, v20
	s_waitcnt lgkmcnt(0)
	s_barrier
	buffer_gl0_inv
	ds_load_u8 v20, v8
	s_cbranch_scc1 .LBB56_10
.LBB56_2:                               ; =>This Inner Loop Header: Depth=1
	s_waitcnt lgkmcnt(0)
	s_delay_alu instid0(VALU_DEP_1)
	v_and_b32_e32 v0, 1, v20
	v_lshlrev_b32_e32 v1, 30, v20
	v_lshlrev_b32_e32 v2, 29, v20
	;; [unrolled: 1-line block ×4, first 2 shown]
	v_add_co_u32 v0, s11, v0, -1
	s_delay_alu instid0(VALU_DEP_1)
	v_cndmask_b32_e64 v3, 0, 1, s11
	v_not_b32_e32 v7, v1
	v_cmp_gt_i32_e64 s12, 0, v1
	v_not_b32_e32 v1, v2
	v_lshlrev_b32_e32 v6, 26, v20
	v_cmp_ne_u32_e64 s11, 0, v3
	v_ashrrev_i32_e32 v7, 31, v7
	v_lshlrev_b32_e32 v3, 25, v20
	v_ashrrev_i32_e32 v1, 31, v1
	v_cmp_gt_i32_e64 s13, 0, v5
	v_xor_b32_e32 v0, s11, v0
	v_cmp_gt_i32_e64 s11, 0, v2
	v_not_b32_e32 v2, v4
	v_xor_b32_e32 v7, s12, v7
	v_cmp_gt_i32_e64 s12, 0, v4
	v_and_b32_e32 v0, exec_lo, v0
	v_xor_b32_e32 v1, s11, v1
	v_ashrrev_i32_e32 v2, 31, v2
	v_not_b32_e32 v4, v5
	v_not_b32_e32 v5, v6
	v_and_b32_e32 v0, v0, v7
	v_cmp_gt_i32_e64 s11, 0, v6
	v_xor_b32_e32 v2, s12, v2
	v_not_b32_e32 v6, v3
	ds_store_2addr_b64 v13, v[9:10], v[11:12] offset0:2 offset1:3
	ds_store_2addr_b64 v15, v[9:10], v[11:12] offset0:2 offset1:3
	v_and_b32_e32 v0, v0, v1
	v_ashrrev_i32_e32 v1, 31, v4
	v_ashrrev_i32_e32 v4, 31, v5
	v_lshlrev_b32_e32 v5, 24, v20
	s_waitcnt lgkmcnt(0)
	v_and_b32_e32 v0, v0, v2
	v_xor_b32_e32 v1, s13, v1
	v_xor_b32_e32 v2, s11, v4
	v_cmp_gt_i32_e64 s11, 0, v3
	v_not_b32_e32 v3, v5
	v_ashrrev_i32_e32 v4, 31, v6
	v_and_b32_e32 v0, v0, v1
	v_cmp_gt_i32_e64 s12, 0, v5
	s_barrier
	v_ashrrev_i32_e32 v1, 31, v3
	v_xor_b32_e32 v3, s11, v4
	v_and_b32_e32 v0, v0, v2
	buffer_gl0_inv
	v_xor_b32_e32 v1, s12, v1
	; wave barrier
	v_and_b32_e32 v0, v0, v3
	s_delay_alu instid0(VALU_DEP_1) | instskip(SKIP_1) | instid1(VALU_DEP_2)
	v_and_b32_e32 v0, v0, v1
	v_and_b32_e32 v1, 0xff, v20
	v_mbcnt_lo_u32_b32 v21, v0, 0
	s_delay_alu instid0(VALU_DEP_2) | instskip(SKIP_1) | instid1(VALU_DEP_3)
	v_lshl_add_u32 v1, v1, 2, v18
	v_cmp_ne_u32_e64 s12, 0, v0
	v_cmp_eq_u32_e64 s11, 0, v21
	s_delay_alu instid0(VALU_DEP_3) | instskip(NEXT) | instid1(VALU_DEP_2)
	v_lshl_add_u32 v22, v1, 2, 16
	s_and_b32 s12, s12, s11
	s_delay_alu instid0(SALU_CYCLE_1)
	s_and_saveexec_b32 s11, s12
	s_cbranch_execz .LBB56_4
; %bb.3:                                ;   in Loop: Header=BB56_2 Depth=1
	v_bcnt_u32_b32 v0, v0, 0
	ds_store_b32 v22, v0
.LBB56_4:                               ;   in Loop: Header=BB56_2 Depth=1
	s_or_b32 exec_lo, exec_lo, s11
	; wave barrier
	s_waitcnt lgkmcnt(0)
	s_barrier
	buffer_gl0_inv
	ds_load_2addr_b64 v[4:7], v13 offset0:2 offset1:3
	ds_load_2addr_b64 v[0:3], v15 offset0:2 offset1:3
	s_waitcnt lgkmcnt(1)
	v_add_nc_u32_e32 v23, v5, v4
	s_delay_alu instid0(VALU_DEP_1) | instskip(SKIP_1) | instid1(VALU_DEP_1)
	v_add3_u32 v23, v23, v6, v7
	s_waitcnt lgkmcnt(0)
	v_add3_u32 v23, v23, v0, v1
	s_delay_alu instid0(VALU_DEP_1) | instskip(NEXT) | instid1(VALU_DEP_1)
	v_add3_u32 v3, v23, v2, v3
	v_mov_b32_dpp v23, v3 row_shr:1 row_mask:0xf bank_mask:0xf
	s_delay_alu instid0(VALU_DEP_1) | instskip(NEXT) | instid1(VALU_DEP_1)
	v_cndmask_b32_e64 v23, v23, 0, s0
	v_add_nc_u32_e32 v3, v23, v3
	s_delay_alu instid0(VALU_DEP_1) | instskip(NEXT) | instid1(VALU_DEP_1)
	v_mov_b32_dpp v23, v3 row_shr:2 row_mask:0xf bank_mask:0xf
	v_cndmask_b32_e64 v23, 0, v23, s1
	s_delay_alu instid0(VALU_DEP_1) | instskip(NEXT) | instid1(VALU_DEP_1)
	v_add_nc_u32_e32 v3, v3, v23
	v_mov_b32_dpp v23, v3 row_shr:4 row_mask:0xf bank_mask:0xf
	s_delay_alu instid0(VALU_DEP_1) | instskip(NEXT) | instid1(VALU_DEP_1)
	v_cndmask_b32_e64 v23, 0, v23, s2
	v_add_nc_u32_e32 v3, v3, v23
	s_delay_alu instid0(VALU_DEP_1) | instskip(NEXT) | instid1(VALU_DEP_1)
	v_mov_b32_dpp v23, v3 row_shr:8 row_mask:0xf bank_mask:0xf
	v_cndmask_b32_e64 v23, 0, v23, s3
	s_delay_alu instid0(VALU_DEP_1) | instskip(SKIP_3) | instid1(VALU_DEP_1)
	v_add_nc_u32_e32 v3, v3, v23
	ds_swizzle_b32 v23, v3 offset:swizzle(BROADCAST,32,15)
	s_waitcnt lgkmcnt(0)
	v_cndmask_b32_e64 v23, v23, 0, s4
	v_add_nc_u32_e32 v3, v3, v23
	s_and_saveexec_b32 s11, s10
	s_cbranch_execz .LBB56_6
; %bb.5:                                ;   in Loop: Header=BB56_2 Depth=1
	ds_store_b32 v14, v3
.LBB56_6:                               ;   in Loop: Header=BB56_2 Depth=1
	s_or_b32 exec_lo, exec_lo, s11
	s_waitcnt lgkmcnt(0)
	s_barrier
	buffer_gl0_inv
	s_and_saveexec_b32 s11, s5
	s_cbranch_execz .LBB56_8
; %bb.7:                                ;   in Loop: Header=BB56_2 Depth=1
	ds_load_b32 v23, v19
	s_waitcnt lgkmcnt(0)
	v_mov_b32_dpp v24, v23 row_shr:1 row_mask:0xf bank_mask:0xf
	s_delay_alu instid0(VALU_DEP_1) | instskip(NEXT) | instid1(VALU_DEP_1)
	v_cndmask_b32_e64 v24, v24, 0, s8
	v_add_nc_u32_e32 v23, v24, v23
	s_delay_alu instid0(VALU_DEP_1) | instskip(NEXT) | instid1(VALU_DEP_1)
	v_mov_b32_dpp v24, v23 row_shr:2 row_mask:0xf bank_mask:0xf
	v_cndmask_b32_e64 v24, 0, v24, s9
	s_delay_alu instid0(VALU_DEP_1)
	v_add_nc_u32_e32 v23, v23, v24
	ds_store_b32 v19, v23
.LBB56_8:                               ;   in Loop: Header=BB56_2 Depth=1
	s_or_b32 exec_lo, exec_lo, s11
	v_mov_b32_e32 v23, 0
	s_waitcnt lgkmcnt(0)
	s_barrier
	buffer_gl0_inv
	s_and_saveexec_b32 s11, s6
	s_cbranch_execz .LBB56_1
; %bb.9:                                ;   in Loop: Header=BB56_2 Depth=1
	ds_load_b32 v23, v17
	s_branch .LBB56_1
.LBB56_10:
	s_add_u32 s0, s18, s14
	s_addc_u32 s1, s19, 0
	v_add_co_u32 v0, s0, s0, v8
	s_waitcnt lgkmcnt(0)
	v_xor_b32_e32 v2, 0x80, v20
	v_add_co_ci_u32_e64 v1, null, s1, 0, s0
	global_store_b8 v[0:1], v2, off
	s_nop 0
	s_sendmsg sendmsg(MSG_DEALLOC_VGPRS)
	s_endpgm
	.section	.rodata,"a",@progbits
	.p2align	6, 0x0
	.amdhsa_kernel _Z16sort_keys_kernelI22helper_blocked_blockedaLj128ELj1ELj10EEvPKT0_PS1_
		.amdhsa_group_segment_fixed_size 4112
		.amdhsa_private_segment_fixed_size 0
		.amdhsa_kernarg_size 272
		.amdhsa_user_sgpr_count 15
		.amdhsa_user_sgpr_dispatch_ptr 0
		.amdhsa_user_sgpr_queue_ptr 0
		.amdhsa_user_sgpr_kernarg_segment_ptr 1
		.amdhsa_user_sgpr_dispatch_id 0
		.amdhsa_user_sgpr_private_segment_size 0
		.amdhsa_wavefront_size32 1
		.amdhsa_uses_dynamic_stack 0
		.amdhsa_enable_private_segment 0
		.amdhsa_system_sgpr_workgroup_id_x 1
		.amdhsa_system_sgpr_workgroup_id_y 0
		.amdhsa_system_sgpr_workgroup_id_z 0
		.amdhsa_system_sgpr_workgroup_info 0
		.amdhsa_system_vgpr_workitem_id 2
		.amdhsa_next_free_vgpr 25
		.amdhsa_next_free_sgpr 20
		.amdhsa_reserve_vcc 1
		.amdhsa_float_round_mode_32 0
		.amdhsa_float_round_mode_16_64 0
		.amdhsa_float_denorm_mode_32 3
		.amdhsa_float_denorm_mode_16_64 3
		.amdhsa_dx10_clamp 1
		.amdhsa_ieee_mode 1
		.amdhsa_fp16_overflow 0
		.amdhsa_workgroup_processor_mode 1
		.amdhsa_memory_ordered 1
		.amdhsa_forward_progress 0
		.amdhsa_shared_vgpr_count 0
		.amdhsa_exception_fp_ieee_invalid_op 0
		.amdhsa_exception_fp_denorm_src 0
		.amdhsa_exception_fp_ieee_div_zero 0
		.amdhsa_exception_fp_ieee_overflow 0
		.amdhsa_exception_fp_ieee_underflow 0
		.amdhsa_exception_fp_ieee_inexact 0
		.amdhsa_exception_int_div_zero 0
	.end_amdhsa_kernel
	.section	.text._Z16sort_keys_kernelI22helper_blocked_blockedaLj128ELj1ELj10EEvPKT0_PS1_,"axG",@progbits,_Z16sort_keys_kernelI22helper_blocked_blockedaLj128ELj1ELj10EEvPKT0_PS1_,comdat
.Lfunc_end56:
	.size	_Z16sort_keys_kernelI22helper_blocked_blockedaLj128ELj1ELj10EEvPKT0_PS1_, .Lfunc_end56-_Z16sort_keys_kernelI22helper_blocked_blockedaLj128ELj1ELj10EEvPKT0_PS1_
                                        ; -- End function
	.section	.AMDGPU.csdata,"",@progbits
; Kernel info:
; codeLenInByte = 1308
; NumSgprs: 22
; NumVgprs: 25
; ScratchSize: 0
; MemoryBound: 0
; FloatMode: 240
; IeeeMode: 1
; LDSByteSize: 4112 bytes/workgroup (compile time only)
; SGPRBlocks: 2
; VGPRBlocks: 3
; NumSGPRsForWavesPerEU: 22
; NumVGPRsForWavesPerEU: 25
; Occupancy: 16
; WaveLimiterHint : 0
; COMPUTE_PGM_RSRC2:SCRATCH_EN: 0
; COMPUTE_PGM_RSRC2:USER_SGPR: 15
; COMPUTE_PGM_RSRC2:TRAP_HANDLER: 0
; COMPUTE_PGM_RSRC2:TGID_X_EN: 1
; COMPUTE_PGM_RSRC2:TGID_Y_EN: 0
; COMPUTE_PGM_RSRC2:TGID_Z_EN: 0
; COMPUTE_PGM_RSRC2:TIDIG_COMP_CNT: 2
	.section	.text._Z17sort_pairs_kernelI22helper_blocked_blockedaLj128ELj1ELj10EEvPKT0_PS1_,"axG",@progbits,_Z17sort_pairs_kernelI22helper_blocked_blockedaLj128ELj1ELj10EEvPKT0_PS1_,comdat
	.protected	_Z17sort_pairs_kernelI22helper_blocked_blockedaLj128ELj1ELj10EEvPKT0_PS1_ ; -- Begin function _Z17sort_pairs_kernelI22helper_blocked_blockedaLj128ELj1ELj10EEvPKT0_PS1_
	.globl	_Z17sort_pairs_kernelI22helper_blocked_blockedaLj128ELj1ELj10EEvPKT0_PS1_
	.p2align	8
	.type	_Z17sort_pairs_kernelI22helper_blocked_blockedaLj128ELj1ELj10EEvPKT0_PS1_,@function
_Z17sort_pairs_kernelI22helper_blocked_blockedaLj128ELj1ELj10EEvPKT0_PS1_: ; @_Z17sort_pairs_kernelI22helper_blocked_blockedaLj128ELj1ELj10EEvPKT0_PS1_
; %bb.0:
	s_clause 0x1
	s_load_b128 s[16:19], s[0:1], 0x0
	s_load_b32 s8, s[0:1], 0x1c
	s_lshl_b32 s14, s15, 7
	v_and_b32_e32 v8, 0x3ff, v0
	v_mbcnt_lo_u32_b32 v1, -1, 0
	v_bfe_u32 v3, v0, 10, 10
	v_bfe_u32 v0, v0, 20, 10
	s_mov_b32 s15, 10
	s_delay_alu instid0(VALU_DEP_3)
	v_add_nc_u32_e32 v6, -1, v1
	v_and_b32_e32 v4, 15, v1
	v_cmp_eq_u32_e32 vcc_lo, 0, v1
	v_and_b32_e32 v7, 3, v1
	v_and_b32_e32 v5, 16, v1
	v_cmp_gt_i32_e64 s7, 0, v6
	s_delay_alu instid0(VALU_DEP_2) | instskip(NEXT) | instid1(VALU_DEP_2)
	v_cmp_eq_u32_e64 s4, 0, v5
	v_cndmask_b32_e64 v5, v6, v1, s7
	s_waitcnt lgkmcnt(0)
	s_add_u32 s0, s16, s14
	s_addc_u32 s1, s17, 0
	s_lshr_b32 s9, s8, 16
	global_load_u8 v2, v8, s[0:1]
	s_mov_b32 s0, 0
	v_mad_u32_u24 v3, v0, s9, v3
	s_mov_b32 s3, s0
	s_mov_b32 s1, s0
	s_mov_b32 s2, s0
	v_mov_b32_e32 v12, s3
	v_dual_mov_b32 v10, s1 :: v_dual_mov_b32 v11, s2
	v_mov_b32_e32 v9, s0
	v_lshrrev_b32_e32 v6, 3, v8
	s_and_b32 s8, s8, 0xffff
	v_lshlrev_b32_e32 v13, 5, v8
	v_cmp_eq_u32_e64 s0, 0, v4
	v_mad_u64_u32 v[0:1], null, v3, s8, v[8:9]
	v_cmp_lt_u32_e64 s1, 1, v4
	v_cmp_lt_u32_e64 s2, 3, v4
	;; [unrolled: 1-line block ×3, first 2 shown]
	v_or_b32_e32 v4, 31, v8
	v_mul_u32_u24_e32 v19, 3, v8
	v_and_b32_e32 v14, 12, v6
	v_cmp_gt_u32_e64 s5, 4, v8
	v_cmp_lt_u32_e64 s6, 31, v8
	v_cmp_eq_u32_e64 s7, 0, v8
	v_cmp_eq_u32_e64 s8, 0, v7
	v_cmp_lt_u32_e64 s9, 1, v7
	v_or_b32_e32 v15, 16, v13
	v_cmp_eq_u32_e64 s10, v4, v8
	v_lshlrev_b32_e32 v16, 2, v5
	v_add_nc_u32_e32 v17, -4, v14
	v_lshrrev_b32_e32 v18, 5, v0
	v_add_nc_u32_e32 v19, v8, v19
	s_waitcnt vmcnt(0)
	v_add_nc_u16 v20, v2, 1
	v_xor_b32_e32 v21, 0xffffff80, v2
	s_branch .LBB57_2
.LBB57_1:                               ;   in Loop: Header=BB57_2 Depth=1
	s_or_b32 exec_lo, exec_lo, s11
	s_waitcnt lgkmcnt(0)
	v_add_nc_u32_e32 v3, v24, v3
	s_add_i32 s15, s15, -1
	s_delay_alu instid0(SALU_CYCLE_1) | instskip(SKIP_3) | instid1(VALU_DEP_1)
	s_cmp_lg_u32 s15, 0
	ds_bpermute_b32 v3, v16, v3
	s_waitcnt lgkmcnt(0)
	v_cndmask_b32_e32 v3, v3, v24, vcc_lo
	v_cndmask_b32_e64 v3, v3, 0, s7
	s_delay_alu instid0(VALU_DEP_1) | instskip(NEXT) | instid1(VALU_DEP_1)
	v_add_nc_u32_e32 v4, v3, v4
	v_add_nc_u32_e32 v5, v4, v5
	s_delay_alu instid0(VALU_DEP_1) | instskip(NEXT) | instid1(VALU_DEP_1)
	v_add_nc_u32_e32 v6, v5, v6
	v_add_nc_u32_e32 v24, v6, v7
	;; [unrolled: 3-line block ×3, first 2 shown]
	s_delay_alu instid0(VALU_DEP_1)
	v_add_nc_u32_e32 v1, v0, v2
	ds_store_2addr_b64 v13, v[3:4], v[5:6] offset0:2 offset1:3
	ds_store_2addr_b64 v15, v[24:25], v[0:1] offset0:2 offset1:3
	s_waitcnt lgkmcnt(0)
	s_barrier
	buffer_gl0_inv
	ds_load_b32 v0, v23
	s_waitcnt lgkmcnt(0)
	s_barrier
	buffer_gl0_inv
	v_add_nc_u32_e32 v0, v0, v22
	ds_store_b8 v0, v21
	s_waitcnt lgkmcnt(0)
	s_barrier
	buffer_gl0_inv
	ds_load_u8 v21, v8
	s_waitcnt lgkmcnt(0)
	s_barrier
	buffer_gl0_inv
	ds_store_b8 v0, v20
	s_waitcnt lgkmcnt(0)
	s_barrier
	buffer_gl0_inv
	ds_load_u8 v20, v8
	s_cbranch_scc0 .LBB57_10
.LBB57_2:                               ; =>This Inner Loop Header: Depth=1
	s_delay_alu instid0(VALU_DEP_1)
	v_and_b32_e32 v0, 1, v21
	v_lshlrev_b32_e32 v1, 30, v21
	v_lshlrev_b32_e32 v2, 29, v21
	v_lshlrev_b32_e32 v4, 28, v21
	v_lshlrev_b32_e32 v5, 27, v21
	v_add_co_u32 v0, s11, v0, -1
	s_delay_alu instid0(VALU_DEP_1)
	v_cndmask_b32_e64 v3, 0, 1, s11
	v_not_b32_e32 v7, v1
	v_cmp_gt_i32_e64 s12, 0, v1
	v_not_b32_e32 v1, v2
	v_lshlrev_b32_e32 v6, 26, v21
	v_cmp_ne_u32_e64 s11, 0, v3
	v_ashrrev_i32_e32 v7, 31, v7
	v_lshlrev_b32_e32 v3, 25, v21
	v_ashrrev_i32_e32 v1, 31, v1
	v_cmp_gt_i32_e64 s13, 0, v5
	v_xor_b32_e32 v0, s11, v0
	v_cmp_gt_i32_e64 s11, 0, v2
	v_not_b32_e32 v2, v4
	v_xor_b32_e32 v7, s12, v7
	v_cmp_gt_i32_e64 s12, 0, v4
	v_and_b32_e32 v0, exec_lo, v0
	v_xor_b32_e32 v1, s11, v1
	v_ashrrev_i32_e32 v2, 31, v2
	v_not_b32_e32 v4, v5
	v_not_b32_e32 v5, v6
	v_and_b32_e32 v0, v0, v7
	v_cmp_gt_i32_e64 s11, 0, v6
	v_xor_b32_e32 v2, s12, v2
	v_not_b32_e32 v6, v3
	ds_store_2addr_b64 v13, v[9:10], v[11:12] offset0:2 offset1:3
	ds_store_2addr_b64 v15, v[9:10], v[11:12] offset0:2 offset1:3
	v_and_b32_e32 v0, v0, v1
	v_ashrrev_i32_e32 v1, 31, v4
	v_ashrrev_i32_e32 v4, 31, v5
	v_lshlrev_b32_e32 v5, 24, v21
	s_waitcnt lgkmcnt(0)
	v_and_b32_e32 v0, v0, v2
	v_xor_b32_e32 v1, s13, v1
	v_xor_b32_e32 v2, s11, v4
	v_cmp_gt_i32_e64 s11, 0, v3
	v_not_b32_e32 v3, v5
	v_ashrrev_i32_e32 v4, 31, v6
	v_and_b32_e32 v0, v0, v1
	v_cmp_gt_i32_e64 s12, 0, v5
	s_barrier
	v_ashrrev_i32_e32 v1, 31, v3
	v_xor_b32_e32 v3, s11, v4
	v_and_b32_e32 v0, v0, v2
	buffer_gl0_inv
	v_xor_b32_e32 v1, s12, v1
	; wave barrier
	v_and_b32_e32 v0, v0, v3
	s_delay_alu instid0(VALU_DEP_1) | instskip(SKIP_1) | instid1(VALU_DEP_2)
	v_and_b32_e32 v0, v0, v1
	v_and_b32_e32 v1, 0xff, v21
	v_mbcnt_lo_u32_b32 v22, v0, 0
	s_delay_alu instid0(VALU_DEP_2) | instskip(SKIP_1) | instid1(VALU_DEP_3)
	v_lshl_add_u32 v1, v1, 2, v18
	v_cmp_ne_u32_e64 s12, 0, v0
	v_cmp_eq_u32_e64 s11, 0, v22
	s_delay_alu instid0(VALU_DEP_3) | instskip(NEXT) | instid1(VALU_DEP_2)
	v_lshl_add_u32 v23, v1, 2, 16
	s_and_b32 s12, s12, s11
	s_delay_alu instid0(SALU_CYCLE_1)
	s_and_saveexec_b32 s11, s12
	s_cbranch_execz .LBB57_4
; %bb.3:                                ;   in Loop: Header=BB57_2 Depth=1
	v_bcnt_u32_b32 v0, v0, 0
	ds_store_b32 v23, v0
.LBB57_4:                               ;   in Loop: Header=BB57_2 Depth=1
	s_or_b32 exec_lo, exec_lo, s11
	; wave barrier
	s_waitcnt lgkmcnt(0)
	s_barrier
	buffer_gl0_inv
	ds_load_2addr_b64 v[4:7], v13 offset0:2 offset1:3
	ds_load_2addr_b64 v[0:3], v15 offset0:2 offset1:3
	s_waitcnt lgkmcnt(1)
	v_add_nc_u32_e32 v24, v5, v4
	s_delay_alu instid0(VALU_DEP_1) | instskip(SKIP_1) | instid1(VALU_DEP_1)
	v_add3_u32 v24, v24, v6, v7
	s_waitcnt lgkmcnt(0)
	v_add3_u32 v24, v24, v0, v1
	s_delay_alu instid0(VALU_DEP_1) | instskip(NEXT) | instid1(VALU_DEP_1)
	v_add3_u32 v3, v24, v2, v3
	v_mov_b32_dpp v24, v3 row_shr:1 row_mask:0xf bank_mask:0xf
	s_delay_alu instid0(VALU_DEP_1) | instskip(NEXT) | instid1(VALU_DEP_1)
	v_cndmask_b32_e64 v24, v24, 0, s0
	v_add_nc_u32_e32 v3, v24, v3
	s_delay_alu instid0(VALU_DEP_1) | instskip(NEXT) | instid1(VALU_DEP_1)
	v_mov_b32_dpp v24, v3 row_shr:2 row_mask:0xf bank_mask:0xf
	v_cndmask_b32_e64 v24, 0, v24, s1
	s_delay_alu instid0(VALU_DEP_1) | instskip(NEXT) | instid1(VALU_DEP_1)
	v_add_nc_u32_e32 v3, v3, v24
	v_mov_b32_dpp v24, v3 row_shr:4 row_mask:0xf bank_mask:0xf
	s_delay_alu instid0(VALU_DEP_1) | instskip(NEXT) | instid1(VALU_DEP_1)
	v_cndmask_b32_e64 v24, 0, v24, s2
	v_add_nc_u32_e32 v3, v3, v24
	s_delay_alu instid0(VALU_DEP_1) | instskip(NEXT) | instid1(VALU_DEP_1)
	v_mov_b32_dpp v24, v3 row_shr:8 row_mask:0xf bank_mask:0xf
	v_cndmask_b32_e64 v24, 0, v24, s3
	s_delay_alu instid0(VALU_DEP_1) | instskip(SKIP_3) | instid1(VALU_DEP_1)
	v_add_nc_u32_e32 v3, v3, v24
	ds_swizzle_b32 v24, v3 offset:swizzle(BROADCAST,32,15)
	s_waitcnt lgkmcnt(0)
	v_cndmask_b32_e64 v24, v24, 0, s4
	v_add_nc_u32_e32 v3, v3, v24
	s_and_saveexec_b32 s11, s10
	s_cbranch_execz .LBB57_6
; %bb.5:                                ;   in Loop: Header=BB57_2 Depth=1
	ds_store_b32 v14, v3
.LBB57_6:                               ;   in Loop: Header=BB57_2 Depth=1
	s_or_b32 exec_lo, exec_lo, s11
	s_waitcnt lgkmcnt(0)
	s_barrier
	buffer_gl0_inv
	s_and_saveexec_b32 s11, s5
	s_cbranch_execz .LBB57_8
; %bb.7:                                ;   in Loop: Header=BB57_2 Depth=1
	ds_load_b32 v24, v19
	s_waitcnt lgkmcnt(0)
	v_mov_b32_dpp v25, v24 row_shr:1 row_mask:0xf bank_mask:0xf
	s_delay_alu instid0(VALU_DEP_1) | instskip(NEXT) | instid1(VALU_DEP_1)
	v_cndmask_b32_e64 v25, v25, 0, s8
	v_add_nc_u32_e32 v24, v25, v24
	s_delay_alu instid0(VALU_DEP_1) | instskip(NEXT) | instid1(VALU_DEP_1)
	v_mov_b32_dpp v25, v24 row_shr:2 row_mask:0xf bank_mask:0xf
	v_cndmask_b32_e64 v25, 0, v25, s9
	s_delay_alu instid0(VALU_DEP_1)
	v_add_nc_u32_e32 v24, v24, v25
	ds_store_b32 v19, v24
.LBB57_8:                               ;   in Loop: Header=BB57_2 Depth=1
	s_or_b32 exec_lo, exec_lo, s11
	v_mov_b32_e32 v24, 0
	s_waitcnt lgkmcnt(0)
	s_barrier
	buffer_gl0_inv
	s_and_saveexec_b32 s11, s6
	s_cbranch_execz .LBB57_1
; %bb.9:                                ;   in Loop: Header=BB57_2 Depth=1
	ds_load_b32 v24, v17
	s_branch .LBB57_1
.LBB57_10:
	s_waitcnt lgkmcnt(0)
	v_add_nc_u16 v0, v20, v21
	s_add_u32 s0, s18, s14
	s_addc_u32 s1, s19, 0
	s_delay_alu instid0(VALU_DEP_1) | instskip(SKIP_1) | instid1(VALU_DEP_1)
	v_add_nc_u16 v2, v0, 0xff80
	v_add_co_u32 v0, s0, s0, v8
	v_add_co_ci_u32_e64 v1, null, s1, 0, s0
	global_store_b8 v[0:1], v2, off
	s_nop 0
	s_sendmsg sendmsg(MSG_DEALLOC_VGPRS)
	s_endpgm
	.section	.rodata,"a",@progbits
	.p2align	6, 0x0
	.amdhsa_kernel _Z17sort_pairs_kernelI22helper_blocked_blockedaLj128ELj1ELj10EEvPKT0_PS1_
		.amdhsa_group_segment_fixed_size 4112
		.amdhsa_private_segment_fixed_size 0
		.amdhsa_kernarg_size 272
		.amdhsa_user_sgpr_count 15
		.amdhsa_user_sgpr_dispatch_ptr 0
		.amdhsa_user_sgpr_queue_ptr 0
		.amdhsa_user_sgpr_kernarg_segment_ptr 1
		.amdhsa_user_sgpr_dispatch_id 0
		.amdhsa_user_sgpr_private_segment_size 0
		.amdhsa_wavefront_size32 1
		.amdhsa_uses_dynamic_stack 0
		.amdhsa_enable_private_segment 0
		.amdhsa_system_sgpr_workgroup_id_x 1
		.amdhsa_system_sgpr_workgroup_id_y 0
		.amdhsa_system_sgpr_workgroup_id_z 0
		.amdhsa_system_sgpr_workgroup_info 0
		.amdhsa_system_vgpr_workitem_id 2
		.amdhsa_next_free_vgpr 26
		.amdhsa_next_free_sgpr 20
		.amdhsa_reserve_vcc 1
		.amdhsa_float_round_mode_32 0
		.amdhsa_float_round_mode_16_64 0
		.amdhsa_float_denorm_mode_32 3
		.amdhsa_float_denorm_mode_16_64 3
		.amdhsa_dx10_clamp 1
		.amdhsa_ieee_mode 1
		.amdhsa_fp16_overflow 0
		.amdhsa_workgroup_processor_mode 1
		.amdhsa_memory_ordered 1
		.amdhsa_forward_progress 0
		.amdhsa_shared_vgpr_count 0
		.amdhsa_exception_fp_ieee_invalid_op 0
		.amdhsa_exception_fp_denorm_src 0
		.amdhsa_exception_fp_ieee_div_zero 0
		.amdhsa_exception_fp_ieee_overflow 0
		.amdhsa_exception_fp_ieee_underflow 0
		.amdhsa_exception_fp_ieee_inexact 0
		.amdhsa_exception_int_div_zero 0
	.end_amdhsa_kernel
	.section	.text._Z17sort_pairs_kernelI22helper_blocked_blockedaLj128ELj1ELj10EEvPKT0_PS1_,"axG",@progbits,_Z17sort_pairs_kernelI22helper_blocked_blockedaLj128ELj1ELj10EEvPKT0_PS1_,comdat
.Lfunc_end57:
	.size	_Z17sort_pairs_kernelI22helper_blocked_blockedaLj128ELj1ELj10EEvPKT0_PS1_, .Lfunc_end57-_Z17sort_pairs_kernelI22helper_blocked_blockedaLj128ELj1ELj10EEvPKT0_PS1_
                                        ; -- End function
	.section	.AMDGPU.csdata,"",@progbits
; Kernel info:
; codeLenInByte = 1376
; NumSgprs: 22
; NumVgprs: 26
; ScratchSize: 0
; MemoryBound: 0
; FloatMode: 240
; IeeeMode: 1
; LDSByteSize: 4112 bytes/workgroup (compile time only)
; SGPRBlocks: 2
; VGPRBlocks: 3
; NumSGPRsForWavesPerEU: 22
; NumVGPRsForWavesPerEU: 26
; Occupancy: 16
; WaveLimiterHint : 0
; COMPUTE_PGM_RSRC2:SCRATCH_EN: 0
; COMPUTE_PGM_RSRC2:USER_SGPR: 15
; COMPUTE_PGM_RSRC2:TRAP_HANDLER: 0
; COMPUTE_PGM_RSRC2:TGID_X_EN: 1
; COMPUTE_PGM_RSRC2:TGID_Y_EN: 0
; COMPUTE_PGM_RSRC2:TGID_Z_EN: 0
; COMPUTE_PGM_RSRC2:TIDIG_COMP_CNT: 2
	.section	.text._Z16sort_keys_kernelI22helper_blocked_blockedaLj128ELj3ELj10EEvPKT0_PS1_,"axG",@progbits,_Z16sort_keys_kernelI22helper_blocked_blockedaLj128ELj3ELj10EEvPKT0_PS1_,comdat
	.protected	_Z16sort_keys_kernelI22helper_blocked_blockedaLj128ELj3ELj10EEvPKT0_PS1_ ; -- Begin function _Z16sort_keys_kernelI22helper_blocked_blockedaLj128ELj3ELj10EEvPKT0_PS1_
	.globl	_Z16sort_keys_kernelI22helper_blocked_blockedaLj128ELj3ELj10EEvPKT0_PS1_
	.p2align	8
	.type	_Z16sort_keys_kernelI22helper_blocked_blockedaLj128ELj3ELj10EEvPKT0_PS1_,@function
_Z16sort_keys_kernelI22helper_blocked_blockedaLj128ELj3ELj10EEvPKT0_PS1_: ; @_Z16sort_keys_kernelI22helper_blocked_blockedaLj128ELj3ELj10EEvPKT0_PS1_
; %bb.0:
	s_clause 0x1
	s_load_b128 s[16:19], s[0:1], 0x0
	s_load_b32 s11, s[0:1], 0x1c
	s_mul_i32 s13, s15, 0x180
	v_and_b32_e32 v8, 0x3ff, v0
	v_mbcnt_lo_u32_b32 v4, -1, 0
	v_bfe_u32 v6, v0, 10, 10
	v_bfe_u32 v0, v0, 20, 10
	s_mov_b32 s14, 10
	s_delay_alu instid0(VALU_DEP_3)
	v_add_nc_u32_e32 v15, -1, v4
	v_mul_u32_u24_e32 v5, 3, v4
	v_and_b32_e32 v14, 16, v4
	v_and_b32_e32 v16, 3, v4
	v_cmp_eq_u32_e32 vcc_lo, 0, v4
	v_cmp_gt_i32_e64 s7, 0, v15
	v_and_b32_e32 v7, 15, v4
	v_cmp_eq_u32_e64 s4, 0, v14
	v_cmp_eq_u32_e64 s8, 0, v16
	v_cmp_lt_u32_e64 s9, 1, v16
	v_cndmask_b32_e64 v18, v15, v4, s7
	s_waitcnt lgkmcnt(0)
	s_add_u32 s0, s16, s13
	s_addc_u32 s1, s17, 0
	s_clause 0x2
	global_load_u8 v1, v8, s[0:1] offset:128
	global_load_u8 v2, v8, s[0:1]
	global_load_u8 v3, v8, s[0:1] offset:256
	s_mov_b32 s0, 0
	s_lshr_b32 s10, s11, 16
	s_mov_b32 s1, s0
	s_mov_b32 s2, s0
	s_mov_b32 s3, s0
	v_dual_mov_b32 v10, s1 :: v_dual_mov_b32 v9, s0
	v_mad_u32_u24 v6, v0, s10, v6
	v_mov_b32_e32 v12, s3
	v_lshrrev_b32_e32 v17, 5, v8
	v_lshlrev_b32_e32 v13, 5, v8
	s_and_b32 s11, s11, 0xffff
	v_mov_b32_e32 v11, s2
	v_cmp_eq_u32_e64 s0, 0, v7
	v_cmp_lt_u32_e64 s1, 1, v7
	v_cmp_lt_u32_e64 s2, 3, v7
	;; [unrolled: 1-line block ×3, first 2 shown]
	v_or_b32_e32 v7, 31, v8
	v_mul_u32_u24_e32 v20, 0x60, v17
	v_lshlrev_b32_e32 v15, 2, v17
	v_mad_i32_i24 v17, 0xffffffe3, v8, v13
	v_cmp_gt_u32_e64 s5, 4, v8
	v_cmp_lt_u32_e64 s6, 31, v8
	v_cmp_eq_u32_e64 s7, 0, v8
	v_or_b32_e32 v14, 16, v13
	v_cmp_eq_u32_e64 s10, v7, v8
	v_lshlrev_b32_e32 v16, 2, v18
	v_or_b32_e32 v18, v4, v20
	v_add_nc_u32_e32 v19, -4, v15
	v_add_nc_u32_e32 v20, v5, v20
	v_add_nc_u32_e32 v22, v17, v8
	s_waitcnt vmcnt(2)
	v_lshlrev_b16 v1, 8, v1
	s_waitcnt vmcnt(1)
	s_delay_alu instid0(VALU_DEP_1) | instskip(SKIP_1) | instid1(VALU_DEP_2)
	v_or_b32_e32 v2, v2, v1
	v_mad_u64_u32 v[0:1], null, v6, s11, v[8:9]
	v_and_b32_e32 v1, 0xffff, v2
	s_delay_alu instid0(VALU_DEP_2) | instskip(SKIP_1) | instid1(VALU_DEP_2)
	v_lshrrev_b32_e32 v21, 5, v0
	s_waitcnt vmcnt(0)
	v_lshl_or_b32 v3, v3, 16, v1
	s_branch .LBB58_2
.LBB58_1:                               ;   in Loop: Header=BB58_2 Depth=1
	s_or_b32 exec_lo, exec_lo, s11
	s_waitcnt lgkmcnt(0)
	v_add_nc_u32_e32 v3, v34, v3
	s_add_i32 s14, s14, -1
	s_delay_alu instid0(SALU_CYCLE_1) | instskip(SKIP_3) | instid1(VALU_DEP_1)
	s_cmp_eq_u32 s14, 0
	ds_bpermute_b32 v3, v16, v3
	s_waitcnt lgkmcnt(0)
	v_cndmask_b32_e32 v3, v3, v34, vcc_lo
	v_cndmask_b32_e64 v3, v3, 0, s7
	s_delay_alu instid0(VALU_DEP_1) | instskip(NEXT) | instid1(VALU_DEP_1)
	v_add_nc_u32_e32 v4, v3, v4
	v_add_nc_u32_e32 v5, v4, v5
	s_delay_alu instid0(VALU_DEP_1) | instskip(NEXT) | instid1(VALU_DEP_1)
	v_add_nc_u32_e32 v6, v5, v6
	v_add_nc_u32_e32 v34, v6, v7
	s_delay_alu instid0(VALU_DEP_1) | instskip(NEXT) | instid1(VALU_DEP_1)
	v_add_nc_u32_e32 v35, v34, v0
	v_add_nc_u32_e32 v0, v35, v1
	s_delay_alu instid0(VALU_DEP_1)
	v_add_nc_u32_e32 v1, v0, v2
	ds_store_2addr_b64 v13, v[3:4], v[5:6] offset0:2 offset1:3
	ds_store_2addr_b64 v14, v[34:35], v[0:1] offset0:2 offset1:3
	s_waitcnt lgkmcnt(0)
	s_barrier
	buffer_gl0_inv
	ds_load_b32 v0, v27
	ds_load_b32 v1, v30
	;; [unrolled: 1-line block ×3, first 2 shown]
	s_waitcnt lgkmcnt(0)
	s_barrier
	buffer_gl0_inv
	v_add_nc_u32_e32 v0, v0, v26
	v_add3_u32 v1, v29, v28, v1
	v_add3_u32 v2, v32, v31, v2
	ds_store_b8 v0, v23
	ds_store_b8 v1, v24
	;; [unrolled: 1-line block ×3, first 2 shown]
	s_waitcnt lgkmcnt(0)
	s_barrier
	buffer_gl0_inv
	ds_load_u8 v0, v17 offset:1
	ds_load_u8 v1, v17
	ds_load_u8 v3, v17 offset:2
	s_waitcnt lgkmcnt(2)
	v_xor_b32_e32 v0, 0xffffff80, v0
	s_waitcnt lgkmcnt(1)
	v_xor_b32_e32 v2, 0xffffff80, v1
	;; [unrolled: 2-line block ×3, first 2 shown]
	v_lshlrev_b16 v3, 8, v0
	s_delay_alu instid0(VALU_DEP_3) | instskip(NEXT) | instid1(VALU_DEP_3)
	v_and_b32_e32 v4, 0xff, v2
	v_and_b32_e32 v5, 0xff, v1
	s_delay_alu instid0(VALU_DEP_2) | instskip(NEXT) | instid1(VALU_DEP_2)
	v_or_b32_e32 v3, v4, v3
	v_lshlrev_b32_e32 v4, 16, v5
	s_delay_alu instid0(VALU_DEP_2) | instskip(NEXT) | instid1(VALU_DEP_1)
	v_and_b32_e32 v3, 0xffff, v3
	v_or_b32_e32 v3, v3, v4
	s_cbranch_scc1 .LBB58_14
.LBB58_2:                               ; =>This Inner Loop Header: Depth=1
	s_delay_alu instid0(VALU_DEP_1) | instskip(SKIP_2) | instid1(VALU_DEP_3)
	v_lshrrev_b32_e32 v0, 8, v3
	v_lshrrev_b32_e32 v1, 16, v3
	v_xor_b32_e32 v2, 0x80, v3
	v_xor_b32_e32 v0, 0x80, v0
	s_delay_alu instid0(VALU_DEP_3)
	v_xor_b32_e32 v1, 0x80, v1
	ds_store_b8 v20, v2
	ds_store_b8 v20, v0 offset:1
	ds_store_b8 v20, v1 offset:2
	; wave barrier
	ds_load_u8 v23, v18
	ds_load_u8 v24, v18 offset:32
	ds_load_u8 v25, v18 offset:64
	; wave barrier
	; wave barrier
	s_waitcnt lgkmcnt(0)
	s_barrier
	buffer_gl0_inv
	ds_store_2addr_b64 v13, v[9:10], v[11:12] offset0:2 offset1:3
	ds_store_2addr_b64 v14, v[9:10], v[11:12] offset0:2 offset1:3
	s_waitcnt lgkmcnt(0)
	s_barrier
	buffer_gl0_inv
	; wave barrier
	v_and_b32_e32 v0, 1, v23
	v_lshlrev_b32_e32 v1, 30, v23
	v_lshlrev_b32_e32 v2, 29, v23
	;; [unrolled: 1-line block ×4, first 2 shown]
	v_add_co_u32 v0, s11, v0, -1
	s_delay_alu instid0(VALU_DEP_1)
	v_cndmask_b32_e64 v4, 0, 1, s11
	v_not_b32_e32 v26, v1
	v_cmp_gt_i32_e64 s12, 0, v1
	v_not_b32_e32 v1, v2
	v_lshlrev_b32_e32 v6, 26, v23
	v_cmp_ne_u32_e64 s11, 0, v4
	v_ashrrev_i32_e32 v26, 31, v26
	v_lshlrev_b32_e32 v7, 25, v23
	v_ashrrev_i32_e32 v1, 31, v1
	v_lshlrev_b32_e32 v4, 24, v23
	v_xor_b32_e32 v0, s11, v0
	v_cmp_gt_i32_e64 s11, 0, v2
	v_not_b32_e32 v2, v3
	v_xor_b32_e32 v26, s12, v26
	v_cmp_gt_i32_e64 s12, 0, v3
	v_and_b32_e32 v0, exec_lo, v0
	v_not_b32_e32 v3, v5
	v_ashrrev_i32_e32 v2, 31, v2
	v_xor_b32_e32 v1, s11, v1
	v_cmp_gt_i32_e64 s11, 0, v5
	v_and_b32_e32 v0, v0, v26
	v_not_b32_e32 v5, v6
	v_ashrrev_i32_e32 v3, 31, v3
	v_xor_b32_e32 v2, s12, v2
	v_cmp_gt_i32_e64 s12, 0, v6
	v_and_b32_e32 v0, v0, v1
	v_not_b32_e32 v1, v7
	v_ashrrev_i32_e32 v5, 31, v5
	v_xor_b32_e32 v3, s11, v3
	v_cmp_gt_i32_e64 s11, 0, v7
	v_and_b32_e32 v0, v0, v2
	v_not_b32_e32 v2, v4
	v_ashrrev_i32_e32 v1, 31, v1
	v_xor_b32_e32 v5, s12, v5
	v_cmp_gt_i32_e64 s12, 0, v4
	v_and_b32_e32 v0, v0, v3
	v_ashrrev_i32_e32 v2, 31, v2
	v_xor_b32_e32 v1, s11, v1
	s_delay_alu instid0(VALU_DEP_3) | instskip(NEXT) | instid1(VALU_DEP_3)
	v_and_b32_e32 v0, v0, v5
	v_xor_b32_e32 v2, s12, v2
	s_delay_alu instid0(VALU_DEP_2) | instskip(SKIP_1) | instid1(VALU_DEP_2)
	v_and_b32_e32 v0, v0, v1
	v_and_b32_e32 v1, 0xff, v23
	;; [unrolled: 1-line block ×3, first 2 shown]
	s_delay_alu instid0(VALU_DEP_2) | instskip(NEXT) | instid1(VALU_DEP_2)
	v_lshl_add_u32 v1, v1, 2, v21
	v_mbcnt_lo_u32_b32 v26, v0, 0
	v_cmp_ne_u32_e64 s12, 0, v0
	s_delay_alu instid0(VALU_DEP_3) | instskip(NEXT) | instid1(VALU_DEP_3)
	v_lshl_add_u32 v27, v1, 2, 16
	v_cmp_eq_u32_e64 s11, 0, v26
	s_delay_alu instid0(VALU_DEP_1) | instskip(NEXT) | instid1(SALU_CYCLE_1)
	s_and_b32 s12, s12, s11
	s_and_saveexec_b32 s11, s12
	s_cbranch_execz .LBB58_4
; %bb.3:                                ;   in Loop: Header=BB58_2 Depth=1
	v_bcnt_u32_b32 v0, v0, 0
	ds_store_b32 v27, v0
.LBB58_4:                               ;   in Loop: Header=BB58_2 Depth=1
	s_or_b32 exec_lo, exec_lo, s11
	v_and_b32_e32 v0, 1, v24
	v_lshlrev_b32_e32 v2, 30, v24
	v_lshlrev_b32_e32 v4, 29, v24
	;; [unrolled: 1-line block ×4, first 2 shown]
	v_add_co_u32 v0, s11, v0, -1
	s_delay_alu instid0(VALU_DEP_1)
	v_cndmask_b32_e64 v3, 0, 1, s11
	v_not_b32_e32 v7, v2
	v_cmp_gt_i32_e64 s12, 0, v2
	v_not_b32_e32 v2, v4
	v_and_b32_e32 v1, 0xff, v24
	v_cmp_ne_u32_e64 s11, 0, v3
	v_ashrrev_i32_e32 v7, 31, v7
	v_lshlrev_b32_e32 v3, 26, v24
	v_ashrrev_i32_e32 v2, 31, v2
	v_lshlrev_b32_e32 v1, 2, v1
	v_xor_b32_e32 v0, s11, v0
	v_cmp_gt_i32_e64 s11, 0, v4
	v_not_b32_e32 v4, v5
	v_xor_b32_e32 v7, s12, v7
	v_cmp_gt_i32_e64 s12, 0, v5
	v_and_b32_e32 v0, exec_lo, v0
	v_not_b32_e32 v5, v6
	v_ashrrev_i32_e32 v4, 31, v4
	v_xor_b32_e32 v2, s11, v2
	v_cmp_gt_i32_e64 s11, 0, v6
	v_and_b32_e32 v0, v0, v7
	v_lshlrev_b32_e32 v7, 25, v24
	v_ashrrev_i32_e32 v5, 31, v5
	v_xor_b32_e32 v4, s12, v4
	v_not_b32_e32 v6, v3
	v_and_b32_e32 v0, v0, v2
	v_lshlrev_b32_e32 v2, 24, v24
	v_not_b32_e32 v28, v7
	v_xor_b32_e32 v5, s11, v5
	v_cmp_gt_i32_e64 s11, 0, v3
	v_and_b32_e32 v0, v0, v4
	v_ashrrev_i32_e32 v3, 31, v6
	v_cmp_gt_i32_e64 s12, 0, v7
	v_ashrrev_i32_e32 v4, 31, v28
	v_add_lshl_u32 v1, v21, v1, 2
	v_and_b32_e32 v0, v0, v5
	v_not_b32_e32 v5, v2
	v_xor_b32_e32 v3, s11, v3
	v_xor_b32_e32 v4, s12, v4
	v_cmp_gt_i32_e64 s11, 0, v2
	s_delay_alu instid0(VALU_DEP_4) | instskip(NEXT) | instid1(VALU_DEP_4)
	v_ashrrev_i32_e32 v2, 31, v5
	v_and_b32_e32 v0, v0, v3
	; wave barrier
	ds_load_b32 v28, v1 offset:16
	v_add_nc_u32_e32 v30, 16, v1
	v_xor_b32_e32 v2, s11, v2
	v_and_b32_e32 v0, v0, v4
	; wave barrier
	s_delay_alu instid0(VALU_DEP_1) | instskip(NEXT) | instid1(VALU_DEP_1)
	v_and_b32_e32 v0, v0, v2
	v_mbcnt_lo_u32_b32 v29, v0, 0
	v_cmp_ne_u32_e64 s12, 0, v0
	s_delay_alu instid0(VALU_DEP_2) | instskip(NEXT) | instid1(VALU_DEP_1)
	v_cmp_eq_u32_e64 s11, 0, v29
	s_and_b32 s12, s12, s11
	s_delay_alu instid0(SALU_CYCLE_1)
	s_and_saveexec_b32 s11, s12
	s_cbranch_execz .LBB58_6
; %bb.5:                                ;   in Loop: Header=BB58_2 Depth=1
	s_waitcnt lgkmcnt(0)
	v_bcnt_u32_b32 v0, v0, v28
	ds_store_b32 v30, v0
.LBB58_6:                               ;   in Loop: Header=BB58_2 Depth=1
	s_or_b32 exec_lo, exec_lo, s11
	v_and_b32_e32 v0, 1, v25
	v_lshlrev_b32_e32 v2, 30, v25
	v_lshlrev_b32_e32 v4, 29, v25
	;; [unrolled: 1-line block ×4, first 2 shown]
	v_add_co_u32 v0, s11, v0, -1
	s_delay_alu instid0(VALU_DEP_1)
	v_cndmask_b32_e64 v3, 0, 1, s11
	v_not_b32_e32 v7, v2
	v_cmp_gt_i32_e64 s12, 0, v2
	v_not_b32_e32 v2, v4
	v_and_b32_e32 v1, 0xff, v25
	v_cmp_ne_u32_e64 s11, 0, v3
	v_ashrrev_i32_e32 v7, 31, v7
	v_lshlrev_b32_e32 v3, 26, v25
	v_ashrrev_i32_e32 v2, 31, v2
	v_lshlrev_b32_e32 v1, 2, v1
	v_xor_b32_e32 v0, s11, v0
	v_cmp_gt_i32_e64 s11, 0, v4
	v_not_b32_e32 v4, v5
	v_xor_b32_e32 v7, s12, v7
	v_cmp_gt_i32_e64 s12, 0, v5
	v_and_b32_e32 v0, exec_lo, v0
	v_not_b32_e32 v5, v6
	v_ashrrev_i32_e32 v4, 31, v4
	v_xor_b32_e32 v2, s11, v2
	v_cmp_gt_i32_e64 s11, 0, v6
	v_and_b32_e32 v0, v0, v7
	v_lshlrev_b32_e32 v7, 25, v25
	v_ashrrev_i32_e32 v5, 31, v5
	v_xor_b32_e32 v4, s12, v4
	v_not_b32_e32 v6, v3
	v_and_b32_e32 v0, v0, v2
	v_lshlrev_b32_e32 v2, 24, v25
	v_not_b32_e32 v31, v7
	v_xor_b32_e32 v5, s11, v5
	v_cmp_gt_i32_e64 s11, 0, v3
	v_and_b32_e32 v0, v0, v4
	v_ashrrev_i32_e32 v3, 31, v6
	v_cmp_gt_i32_e64 s12, 0, v7
	v_ashrrev_i32_e32 v4, 31, v31
	v_add_lshl_u32 v1, v21, v1, 2
	v_and_b32_e32 v0, v0, v5
	v_not_b32_e32 v5, v2
	v_xor_b32_e32 v3, s11, v3
	v_xor_b32_e32 v4, s12, v4
	v_cmp_gt_i32_e64 s11, 0, v2
	s_delay_alu instid0(VALU_DEP_4) | instskip(NEXT) | instid1(VALU_DEP_4)
	v_ashrrev_i32_e32 v2, 31, v5
	v_and_b32_e32 v0, v0, v3
	; wave barrier
	ds_load_b32 v31, v1 offset:16
	v_add_nc_u32_e32 v33, 16, v1
	v_xor_b32_e32 v2, s11, v2
	v_and_b32_e32 v0, v0, v4
	; wave barrier
	s_delay_alu instid0(VALU_DEP_1) | instskip(NEXT) | instid1(VALU_DEP_1)
	v_and_b32_e32 v0, v0, v2
	v_mbcnt_lo_u32_b32 v32, v0, 0
	v_cmp_ne_u32_e64 s12, 0, v0
	s_delay_alu instid0(VALU_DEP_2) | instskip(NEXT) | instid1(VALU_DEP_1)
	v_cmp_eq_u32_e64 s11, 0, v32
	s_and_b32 s12, s12, s11
	s_delay_alu instid0(SALU_CYCLE_1)
	s_and_saveexec_b32 s11, s12
	s_cbranch_execz .LBB58_8
; %bb.7:                                ;   in Loop: Header=BB58_2 Depth=1
	s_waitcnt lgkmcnt(0)
	v_bcnt_u32_b32 v0, v0, v31
	ds_store_b32 v33, v0
.LBB58_8:                               ;   in Loop: Header=BB58_2 Depth=1
	s_or_b32 exec_lo, exec_lo, s11
	; wave barrier
	s_waitcnt lgkmcnt(0)
	s_barrier
	buffer_gl0_inv
	ds_load_2addr_b64 v[4:7], v13 offset0:2 offset1:3
	ds_load_2addr_b64 v[0:3], v14 offset0:2 offset1:3
	s_waitcnt lgkmcnt(1)
	v_add_nc_u32_e32 v34, v5, v4
	s_delay_alu instid0(VALU_DEP_1) | instskip(SKIP_1) | instid1(VALU_DEP_1)
	v_add3_u32 v34, v34, v6, v7
	s_waitcnt lgkmcnt(0)
	v_add3_u32 v34, v34, v0, v1
	s_delay_alu instid0(VALU_DEP_1) | instskip(NEXT) | instid1(VALU_DEP_1)
	v_add3_u32 v3, v34, v2, v3
	v_mov_b32_dpp v34, v3 row_shr:1 row_mask:0xf bank_mask:0xf
	s_delay_alu instid0(VALU_DEP_1) | instskip(NEXT) | instid1(VALU_DEP_1)
	v_cndmask_b32_e64 v34, v34, 0, s0
	v_add_nc_u32_e32 v3, v34, v3
	s_delay_alu instid0(VALU_DEP_1) | instskip(NEXT) | instid1(VALU_DEP_1)
	v_mov_b32_dpp v34, v3 row_shr:2 row_mask:0xf bank_mask:0xf
	v_cndmask_b32_e64 v34, 0, v34, s1
	s_delay_alu instid0(VALU_DEP_1) | instskip(NEXT) | instid1(VALU_DEP_1)
	v_add_nc_u32_e32 v3, v3, v34
	v_mov_b32_dpp v34, v3 row_shr:4 row_mask:0xf bank_mask:0xf
	s_delay_alu instid0(VALU_DEP_1) | instskip(NEXT) | instid1(VALU_DEP_1)
	v_cndmask_b32_e64 v34, 0, v34, s2
	v_add_nc_u32_e32 v3, v3, v34
	s_delay_alu instid0(VALU_DEP_1) | instskip(NEXT) | instid1(VALU_DEP_1)
	v_mov_b32_dpp v34, v3 row_shr:8 row_mask:0xf bank_mask:0xf
	v_cndmask_b32_e64 v34, 0, v34, s3
	s_delay_alu instid0(VALU_DEP_1) | instskip(SKIP_3) | instid1(VALU_DEP_1)
	v_add_nc_u32_e32 v3, v3, v34
	ds_swizzle_b32 v34, v3 offset:swizzle(BROADCAST,32,15)
	s_waitcnt lgkmcnt(0)
	v_cndmask_b32_e64 v34, v34, 0, s4
	v_add_nc_u32_e32 v3, v3, v34
	s_and_saveexec_b32 s11, s10
	s_cbranch_execz .LBB58_10
; %bb.9:                                ;   in Loop: Header=BB58_2 Depth=1
	ds_store_b32 v15, v3
.LBB58_10:                              ;   in Loop: Header=BB58_2 Depth=1
	s_or_b32 exec_lo, exec_lo, s11
	s_waitcnt lgkmcnt(0)
	s_barrier
	buffer_gl0_inv
	s_and_saveexec_b32 s11, s5
	s_cbranch_execz .LBB58_12
; %bb.11:                               ;   in Loop: Header=BB58_2 Depth=1
	ds_load_b32 v34, v22
	s_waitcnt lgkmcnt(0)
	v_mov_b32_dpp v35, v34 row_shr:1 row_mask:0xf bank_mask:0xf
	s_delay_alu instid0(VALU_DEP_1) | instskip(NEXT) | instid1(VALU_DEP_1)
	v_cndmask_b32_e64 v35, v35, 0, s8
	v_add_nc_u32_e32 v34, v35, v34
	s_delay_alu instid0(VALU_DEP_1) | instskip(NEXT) | instid1(VALU_DEP_1)
	v_mov_b32_dpp v35, v34 row_shr:2 row_mask:0xf bank_mask:0xf
	v_cndmask_b32_e64 v35, 0, v35, s9
	s_delay_alu instid0(VALU_DEP_1)
	v_add_nc_u32_e32 v34, v34, v35
	ds_store_b32 v22, v34
.LBB58_12:                              ;   in Loop: Header=BB58_2 Depth=1
	s_or_b32 exec_lo, exec_lo, s11
	v_mov_b32_e32 v34, 0
	s_waitcnt lgkmcnt(0)
	s_barrier
	buffer_gl0_inv
	s_and_saveexec_b32 s11, s6
	s_cbranch_execz .LBB58_1
; %bb.13:                               ;   in Loop: Header=BB58_2 Depth=1
	ds_load_b32 v34, v19
	s_branch .LBB58_1
.LBB58_14:
	s_add_u32 s0, s18, s13
	s_addc_u32 s1, s19, 0
	v_add_co_u32 v3, s0, s0, v8
	s_delay_alu instid0(VALU_DEP_1)
	v_add_co_ci_u32_e64 v4, null, s1, 0, s0
	s_clause 0x2
	global_store_b8 v[3:4], v2, off
	global_store_b8 v[3:4], v0, off offset:128
	global_store_b8 v[3:4], v1, off offset:256
	s_nop 0
	s_sendmsg sendmsg(MSG_DEALLOC_VGPRS)
	s_endpgm
	.section	.rodata,"a",@progbits
	.p2align	6, 0x0
	.amdhsa_kernel _Z16sort_keys_kernelI22helper_blocked_blockedaLj128ELj3ELj10EEvPKT0_PS1_
		.amdhsa_group_segment_fixed_size 4112
		.amdhsa_private_segment_fixed_size 0
		.amdhsa_kernarg_size 272
		.amdhsa_user_sgpr_count 15
		.amdhsa_user_sgpr_dispatch_ptr 0
		.amdhsa_user_sgpr_queue_ptr 0
		.amdhsa_user_sgpr_kernarg_segment_ptr 1
		.amdhsa_user_sgpr_dispatch_id 0
		.amdhsa_user_sgpr_private_segment_size 0
		.amdhsa_wavefront_size32 1
		.amdhsa_uses_dynamic_stack 0
		.amdhsa_enable_private_segment 0
		.amdhsa_system_sgpr_workgroup_id_x 1
		.amdhsa_system_sgpr_workgroup_id_y 0
		.amdhsa_system_sgpr_workgroup_id_z 0
		.amdhsa_system_sgpr_workgroup_info 0
		.amdhsa_system_vgpr_workitem_id 2
		.amdhsa_next_free_vgpr 36
		.amdhsa_next_free_sgpr 20
		.amdhsa_reserve_vcc 1
		.amdhsa_float_round_mode_32 0
		.amdhsa_float_round_mode_16_64 0
		.amdhsa_float_denorm_mode_32 3
		.amdhsa_float_denorm_mode_16_64 3
		.amdhsa_dx10_clamp 1
		.amdhsa_ieee_mode 1
		.amdhsa_fp16_overflow 0
		.amdhsa_workgroup_processor_mode 1
		.amdhsa_memory_ordered 1
		.amdhsa_forward_progress 0
		.amdhsa_shared_vgpr_count 0
		.amdhsa_exception_fp_ieee_invalid_op 0
		.amdhsa_exception_fp_denorm_src 0
		.amdhsa_exception_fp_ieee_div_zero 0
		.amdhsa_exception_fp_ieee_overflow 0
		.amdhsa_exception_fp_ieee_underflow 0
		.amdhsa_exception_fp_ieee_inexact 0
		.amdhsa_exception_int_div_zero 0
	.end_amdhsa_kernel
	.section	.text._Z16sort_keys_kernelI22helper_blocked_blockedaLj128ELj3ELj10EEvPKT0_PS1_,"axG",@progbits,_Z16sort_keys_kernelI22helper_blocked_blockedaLj128ELj3ELj10EEvPKT0_PS1_,comdat
.Lfunc_end58:
	.size	_Z16sort_keys_kernelI22helper_blocked_blockedaLj128ELj3ELj10EEvPKT0_PS1_, .Lfunc_end58-_Z16sort_keys_kernelI22helper_blocked_blockedaLj128ELj3ELj10EEvPKT0_PS1_
                                        ; -- End function
	.section	.AMDGPU.csdata,"",@progbits
; Kernel info:
; codeLenInByte = 2348
; NumSgprs: 22
; NumVgprs: 36
; ScratchSize: 0
; MemoryBound: 0
; FloatMode: 240
; IeeeMode: 1
; LDSByteSize: 4112 bytes/workgroup (compile time only)
; SGPRBlocks: 2
; VGPRBlocks: 4
; NumSGPRsForWavesPerEU: 22
; NumVGPRsForWavesPerEU: 36
; Occupancy: 16
; WaveLimiterHint : 1
; COMPUTE_PGM_RSRC2:SCRATCH_EN: 0
; COMPUTE_PGM_RSRC2:USER_SGPR: 15
; COMPUTE_PGM_RSRC2:TRAP_HANDLER: 0
; COMPUTE_PGM_RSRC2:TGID_X_EN: 1
; COMPUTE_PGM_RSRC2:TGID_Y_EN: 0
; COMPUTE_PGM_RSRC2:TGID_Z_EN: 0
; COMPUTE_PGM_RSRC2:TIDIG_COMP_CNT: 2
	.section	.text._Z17sort_pairs_kernelI22helper_blocked_blockedaLj128ELj3ELj10EEvPKT0_PS1_,"axG",@progbits,_Z17sort_pairs_kernelI22helper_blocked_blockedaLj128ELj3ELj10EEvPKT0_PS1_,comdat
	.protected	_Z17sort_pairs_kernelI22helper_blocked_blockedaLj128ELj3ELj10EEvPKT0_PS1_ ; -- Begin function _Z17sort_pairs_kernelI22helper_blocked_blockedaLj128ELj3ELj10EEvPKT0_PS1_
	.globl	_Z17sort_pairs_kernelI22helper_blocked_blockedaLj128ELj3ELj10EEvPKT0_PS1_
	.p2align	8
	.type	_Z17sort_pairs_kernelI22helper_blocked_blockedaLj128ELj3ELj10EEvPKT0_PS1_,@function
_Z17sort_pairs_kernelI22helper_blocked_blockedaLj128ELj3ELj10EEvPKT0_PS1_: ; @_Z17sort_pairs_kernelI22helper_blocked_blockedaLj128ELj3ELj10EEvPKT0_PS1_
; %bb.0:
	s_clause 0x1
	s_load_b128 s[16:19], s[0:1], 0x0
	s_load_b32 s11, s[0:1], 0x1c
	s_mul_i32 s13, s15, 0x180
	v_and_b32_e32 v8, 0x3ff, v0
	v_mbcnt_lo_u32_b32 v4, -1, 0
	v_bfe_u32 v6, v0, 10, 10
	v_bfe_u32 v0, v0, 20, 10
	s_mov_b32 s14, 10
	s_delay_alu instid0(VALU_DEP_3)
	v_add_nc_u32_e32 v15, -1, v4
	v_and_b32_e32 v16, 3, v4
	v_mul_u32_u24_e32 v5, 3, v4
	v_and_b32_e32 v14, 16, v4
	v_cmp_eq_u32_e32 vcc_lo, 0, v4
	v_cmp_gt_i32_e64 s7, 0, v15
	v_cmp_eq_u32_e64 s8, 0, v16
	v_cmp_lt_u32_e64 s9, 1, v16
	v_cmp_eq_u32_e64 s4, 0, v14
	v_and_b32_e32 v7, 15, v4
	v_cndmask_b32_e64 v15, v15, v4, s7
	s_waitcnt lgkmcnt(0)
	s_add_u32 s0, s16, s13
	s_addc_u32 s1, s17, 0
	s_clause 0x2
	global_load_u8 v2, v8, s[0:1]
	global_load_u8 v1, v8, s[0:1] offset:128
	global_load_u8 v3, v8, s[0:1] offset:256
	s_mov_b32 s0, 0
	s_lshr_b32 s12, s11, 16
	s_mov_b32 s3, s0
	s_mov_b32 s2, s0
	v_mov_b32_e32 v12, s3
	s_mov_b32 s1, s0
	s_delay_alu instid0(SALU_CYCLE_1)
	v_dual_mov_b32 v11, s2 :: v_dual_mov_b32 v10, s1
	v_mov_b32_e32 v9, s0
	v_cmp_eq_u32_e64 s0, 0, v7
	v_cmp_lt_u32_e64 s1, 1, v7
	v_cmp_lt_u32_e64 s2, 3, v7
	;; [unrolled: 1-line block ×3, first 2 shown]
	v_or_b32_e32 v7, 31, v8
	v_mad_u32_u24 v6, v0, s12, v6
	v_lshrrev_b32_e32 v17, 5, v8
	s_and_b32 s11, s11, 0xffff
	v_lshlrev_b32_e32 v13, 5, v8
	v_cmp_eq_u32_e64 s10, v7, v8
	v_cmp_gt_u32_e64 s5, 4, v8
	v_mul_u32_u24_e32 v20, 0x60, v17
	v_lshlrev_b32_e32 v17, 2, v17
	v_mad_i32_i24 v16, 0xffffffe3, v8, v13
	v_cmp_lt_u32_e64 s6, 31, v8
	v_cmp_eq_u32_e64 s7, 0, v8
	v_or_b32_e32 v14, 16, v13
	v_lshlrev_b32_e32 v15, 2, v15
	v_add_nc_u32_e32 v22, v16, v8
	s_waitcnt vmcnt(2)
	v_add_nc_u16 v7, v2, 1
	s_waitcnt vmcnt(1)
	v_lshlrev_b16 v18, 8, v1
	s_delay_alu instid0(VALU_DEP_2) | instskip(SKIP_3) | instid1(VALU_DEP_3)
	v_and_b32_e32 v1, 0xff, v7
	s_waitcnt vmcnt(0)
	v_add_nc_u16 v7, v3, 1
	v_lshlrev_b32_e32 v3, 16, v3
	v_or_b32_e32 v19, v18, v1
	v_mad_u64_u32 v[0:1], null, v6, s11, v[8:9]
	v_or_b32_e32 v1, v2, v18
	v_and_b32_e32 v2, 0xff, v7
	s_delay_alu instid0(VALU_DEP_4)
	v_add_nc_u16 v6, v19, 0x100
	v_or_b32_e32 v18, v4, v20
	v_add_nc_u32_e32 v19, -4, v17
	v_and_b32_e32 v1, 0xffff, v1
	v_lshlrev_b32_e32 v2, 16, v2
	v_and_b32_e32 v4, 0xffff, v6
	v_add_nc_u32_e32 v20, v5, v20
	v_lshrrev_b32_e32 v21, 5, v0
	v_or_b32_e32 v7, v1, v3
	s_delay_alu instid0(VALU_DEP_4)
	v_or_b32_e32 v0, v4, v2
	s_branch .LBB59_2
.LBB59_1:                               ;   in Loop: Header=BB59_2 Depth=1
	s_or_b32 exec_lo, exec_lo, s11
	s_waitcnt lgkmcnt(0)
	v_add_nc_u32_e32 v3, v37, v3
	s_add_i32 s14, s14, -1
	s_delay_alu instid0(SALU_CYCLE_1) | instskip(SKIP_3) | instid1(VALU_DEP_1)
	s_cmp_eq_u32 s14, 0
	ds_bpermute_b32 v3, v15, v3
	s_waitcnt lgkmcnt(0)
	v_cndmask_b32_e32 v3, v3, v37, vcc_lo
	v_cndmask_b32_e64 v3, v3, 0, s7
	s_delay_alu instid0(VALU_DEP_1) | instskip(NEXT) | instid1(VALU_DEP_1)
	v_add_nc_u32_e32 v4, v3, v4
	v_add_nc_u32_e32 v5, v4, v5
	s_delay_alu instid0(VALU_DEP_1) | instskip(NEXT) | instid1(VALU_DEP_1)
	v_add_nc_u32_e32 v6, v5, v6
	v_add_nc_u32_e32 v37, v6, v7
	;; [unrolled: 3-line block ×3, first 2 shown]
	s_delay_alu instid0(VALU_DEP_1)
	v_add_nc_u32_e32 v1, v0, v2
	ds_store_2addr_b64 v13, v[3:4], v[5:6] offset0:2 offset1:3
	ds_store_2addr_b64 v14, v[37:38], v[0:1] offset0:2 offset1:3
	s_waitcnt lgkmcnt(0)
	s_barrier
	buffer_gl0_inv
	ds_load_b32 v0, v30
	ds_load_b32 v1, v33
	;; [unrolled: 1-line block ×3, first 2 shown]
	s_waitcnt lgkmcnt(0)
	s_barrier
	buffer_gl0_inv
	v_add_nc_u32_e32 v0, v0, v29
	v_add3_u32 v1, v32, v31, v1
	v_add3_u32 v2, v35, v34, v2
	ds_store_b8 v0, v23
	ds_store_b8 v1, v24
	;; [unrolled: 1-line block ×3, first 2 shown]
	s_waitcnt lgkmcnt(0)
	s_barrier
	buffer_gl0_inv
	ds_load_u8 v5, v16
	ds_load_u8 v4, v16 offset:1
	ds_load_u8 v7, v16 offset:2
	s_waitcnt lgkmcnt(0)
	s_barrier
	buffer_gl0_inv
	ds_store_b8 v0, v26
	ds_store_b8 v1, v27
	;; [unrolled: 1-line block ×3, first 2 shown]
	s_waitcnt lgkmcnt(0)
	s_barrier
	buffer_gl0_inv
	ds_load_u8 v1, v16 offset:1
	ds_load_u8 v3, v16
	ds_load_u8 v2, v16 offset:2
	v_xor_b32_e32 v6, 0xffffff80, v5
	v_xor_b32_e32 v4, 0xffffff80, v4
	;; [unrolled: 1-line block ×3, first 2 shown]
	s_delay_alu instid0(VALU_DEP_3) | instskip(NEXT) | instid1(VALU_DEP_3)
	v_and_b32_e32 v23, 0xff, v6
	v_lshlrev_b16 v7, 8, v4
	s_delay_alu instid0(VALU_DEP_3) | instskip(SKIP_2) | instid1(VALU_DEP_3)
	v_and_b32_e32 v24, 0xff, v5
	s_waitcnt lgkmcnt(2)
	v_lshlrev_b16 v0, 8, v1
	v_or_b32_e32 v7, v23, v7
	s_waitcnt lgkmcnt(0)
	v_lshlrev_b32_e32 v23, 16, v2
	s_delay_alu instid0(VALU_DEP_3) | instskip(SKIP_2) | instid1(VALU_DEP_3)
	v_or_b32_e32 v0, v3, v0
	v_lshlrev_b32_e32 v24, 16, v24
	v_and_b32_e32 v7, 0xffff, v7
	v_and_b32_e32 v0, 0xffff, v0
	s_delay_alu instid0(VALU_DEP_2) | instskip(NEXT) | instid1(VALU_DEP_2)
	v_or_b32_e32 v7, v7, v24
	v_or_b32_e32 v0, v0, v23
	s_cbranch_scc1 .LBB59_14
.LBB59_2:                               ; =>This Inner Loop Header: Depth=1
	s_delay_alu instid0(VALU_DEP_2) | instskip(SKIP_2) | instid1(VALU_DEP_3)
	v_lshrrev_b32_e32 v1, 8, v7
	v_lshrrev_b32_e32 v2, 16, v7
	v_xor_b32_e32 v3, 0x80, v7
	v_xor_b32_e32 v1, 0x80, v1
	s_delay_alu instid0(VALU_DEP_3)
	v_xor_b32_e32 v2, 0x80, v2
	ds_store_b8 v20, v3
	ds_store_b8 v20, v1 offset:1
	ds_store_b8 v20, v2 offset:2
	; wave barrier
	ds_load_u8 v23, v18
	v_lshrrev_b32_e32 v1, 8, v0
	ds_load_u8 v24, v18 offset:32
	ds_load_u8 v25, v18 offset:64
	; wave barrier
	ds_store_b8 v20, v0
	ds_store_b8 v20, v1 offset:1
	ds_store_b8_d16_hi v20, v0 offset:2
	; wave barrier
	s_waitcnt lgkmcnt(5)
	v_and_b32_e32 v2, 1, v23
	v_lshlrev_b32_e32 v3, 30, v23
	v_lshlrev_b32_e32 v4, 29, v23
	;; [unrolled: 1-line block ×4, first 2 shown]
	v_add_co_u32 v2, s11, v2, -1
	s_delay_alu instid0(VALU_DEP_1)
	v_cndmask_b32_e64 v6, 0, 1, s11
	v_not_b32_e32 v28, v3
	v_cmp_gt_i32_e64 s12, 0, v3
	v_not_b32_e32 v3, v4
	v_lshlrev_b32_e32 v26, 26, v23
	v_cmp_ne_u32_e64 s11, 0, v6
	v_ashrrev_i32_e32 v28, 31, v28
	v_lshlrev_b32_e32 v27, 25, v23
	v_ashrrev_i32_e32 v3, 31, v3
	v_lshlrev_b32_e32 v6, 24, v23
	v_xor_b32_e32 v2, s11, v2
	v_cmp_gt_i32_e64 s11, 0, v4
	v_not_b32_e32 v4, v5
	v_xor_b32_e32 v28, s12, v28
	v_cmp_gt_i32_e64 s12, 0, v5
	v_and_b32_e32 v2, exec_lo, v2
	v_not_b32_e32 v5, v7
	v_ashrrev_i32_e32 v4, 31, v4
	v_xor_b32_e32 v3, s11, v3
	v_cmp_gt_i32_e64 s11, 0, v7
	v_and_b32_e32 v2, v2, v28
	v_not_b32_e32 v7, v26
	v_ashrrev_i32_e32 v5, 31, v5
	v_xor_b32_e32 v4, s12, v4
	v_cmp_gt_i32_e64 s12, 0, v26
	v_and_b32_e32 v2, v2, v3
	;; [unrolled: 5-line block ×4, first 2 shown]
	v_ashrrev_i32_e32 v4, 31, v4
	v_xor_b32_e32 v3, s11, v3
	ds_load_u8 v26, v18
	ds_load_u8 v27, v18 offset:32
	ds_load_u8 v28, v18 offset:64
	s_waitcnt lgkmcnt(0)
	v_and_b32_e32 v2, v2, v7
	v_xor_b32_e32 v0, s12, v4
	s_barrier
	buffer_gl0_inv
	ds_store_2addr_b64 v13, v[9:10], v[11:12] offset0:2 offset1:3
	ds_store_2addr_b64 v14, v[9:10], v[11:12] offset0:2 offset1:3
	v_and_b32_e32 v1, v2, v3
	s_waitcnt lgkmcnt(0)
	s_barrier
	buffer_gl0_inv
	v_and_b32_e32 v0, v1, v0
	v_and_b32_e32 v1, 0xff, v23
	; wave barrier
	s_delay_alu instid0(VALU_DEP_2) | instskip(NEXT) | instid1(VALU_DEP_2)
	v_mbcnt_lo_u32_b32 v29, v0, 0
	v_lshl_add_u32 v1, v1, 2, v21
	v_cmp_ne_u32_e64 s12, 0, v0
	s_delay_alu instid0(VALU_DEP_3) | instskip(NEXT) | instid1(VALU_DEP_3)
	v_cmp_eq_u32_e64 s11, 0, v29
	v_lshl_add_u32 v30, v1, 2, 16
	s_delay_alu instid0(VALU_DEP_2) | instskip(NEXT) | instid1(SALU_CYCLE_1)
	s_and_b32 s12, s12, s11
	s_and_saveexec_b32 s11, s12
	s_cbranch_execz .LBB59_4
; %bb.3:                                ;   in Loop: Header=BB59_2 Depth=1
	v_bcnt_u32_b32 v0, v0, 0
	ds_store_b32 v30, v0
.LBB59_4:                               ;   in Loop: Header=BB59_2 Depth=1
	s_or_b32 exec_lo, exec_lo, s11
	v_and_b32_e32 v0, 1, v24
	v_lshlrev_b32_e32 v2, 30, v24
	v_lshlrev_b32_e32 v4, 29, v24
	;; [unrolled: 1-line block ×4, first 2 shown]
	v_add_co_u32 v0, s11, v0, -1
	s_delay_alu instid0(VALU_DEP_1)
	v_cndmask_b32_e64 v3, 0, 1, s11
	v_not_b32_e32 v7, v2
	v_cmp_gt_i32_e64 s12, 0, v2
	v_not_b32_e32 v2, v4
	v_and_b32_e32 v1, 0xff, v24
	v_cmp_ne_u32_e64 s11, 0, v3
	v_ashrrev_i32_e32 v7, 31, v7
	v_lshlrev_b32_e32 v3, 26, v24
	v_ashrrev_i32_e32 v2, 31, v2
	v_lshlrev_b32_e32 v1, 2, v1
	v_xor_b32_e32 v0, s11, v0
	v_cmp_gt_i32_e64 s11, 0, v4
	v_not_b32_e32 v4, v5
	v_xor_b32_e32 v7, s12, v7
	v_cmp_gt_i32_e64 s12, 0, v5
	v_and_b32_e32 v0, exec_lo, v0
	v_not_b32_e32 v5, v6
	v_ashrrev_i32_e32 v4, 31, v4
	v_xor_b32_e32 v2, s11, v2
	v_cmp_gt_i32_e64 s11, 0, v6
	v_and_b32_e32 v0, v0, v7
	v_lshlrev_b32_e32 v7, 25, v24
	v_ashrrev_i32_e32 v5, 31, v5
	v_xor_b32_e32 v4, s12, v4
	v_not_b32_e32 v6, v3
	v_and_b32_e32 v0, v0, v2
	v_lshlrev_b32_e32 v2, 24, v24
	v_not_b32_e32 v31, v7
	v_xor_b32_e32 v5, s11, v5
	v_cmp_gt_i32_e64 s11, 0, v3
	v_and_b32_e32 v0, v0, v4
	v_ashrrev_i32_e32 v3, 31, v6
	v_cmp_gt_i32_e64 s12, 0, v7
	v_ashrrev_i32_e32 v4, 31, v31
	v_add_lshl_u32 v1, v21, v1, 2
	v_and_b32_e32 v0, v0, v5
	v_not_b32_e32 v5, v2
	v_xor_b32_e32 v3, s11, v3
	v_xor_b32_e32 v4, s12, v4
	v_cmp_gt_i32_e64 s11, 0, v2
	s_delay_alu instid0(VALU_DEP_4) | instskip(NEXT) | instid1(VALU_DEP_4)
	v_ashrrev_i32_e32 v2, 31, v5
	v_and_b32_e32 v0, v0, v3
	; wave barrier
	ds_load_b32 v31, v1 offset:16
	v_add_nc_u32_e32 v33, 16, v1
	v_xor_b32_e32 v2, s11, v2
	v_and_b32_e32 v0, v0, v4
	; wave barrier
	s_delay_alu instid0(VALU_DEP_1) | instskip(NEXT) | instid1(VALU_DEP_1)
	v_and_b32_e32 v0, v0, v2
	v_mbcnt_lo_u32_b32 v32, v0, 0
	v_cmp_ne_u32_e64 s12, 0, v0
	s_delay_alu instid0(VALU_DEP_2) | instskip(NEXT) | instid1(VALU_DEP_1)
	v_cmp_eq_u32_e64 s11, 0, v32
	s_and_b32 s12, s12, s11
	s_delay_alu instid0(SALU_CYCLE_1)
	s_and_saveexec_b32 s11, s12
	s_cbranch_execz .LBB59_6
; %bb.5:                                ;   in Loop: Header=BB59_2 Depth=1
	s_waitcnt lgkmcnt(0)
	v_bcnt_u32_b32 v0, v0, v31
	ds_store_b32 v33, v0
.LBB59_6:                               ;   in Loop: Header=BB59_2 Depth=1
	s_or_b32 exec_lo, exec_lo, s11
	v_and_b32_e32 v0, 1, v25
	v_lshlrev_b32_e32 v2, 30, v25
	v_lshlrev_b32_e32 v4, 29, v25
	;; [unrolled: 1-line block ×4, first 2 shown]
	v_add_co_u32 v0, s11, v0, -1
	s_delay_alu instid0(VALU_DEP_1)
	v_cndmask_b32_e64 v3, 0, 1, s11
	v_not_b32_e32 v7, v2
	v_cmp_gt_i32_e64 s12, 0, v2
	v_not_b32_e32 v2, v4
	v_and_b32_e32 v1, 0xff, v25
	v_cmp_ne_u32_e64 s11, 0, v3
	v_ashrrev_i32_e32 v7, 31, v7
	v_lshlrev_b32_e32 v3, 26, v25
	v_ashrrev_i32_e32 v2, 31, v2
	v_lshlrev_b32_e32 v1, 2, v1
	v_xor_b32_e32 v0, s11, v0
	v_cmp_gt_i32_e64 s11, 0, v4
	v_not_b32_e32 v4, v5
	v_xor_b32_e32 v7, s12, v7
	v_cmp_gt_i32_e64 s12, 0, v5
	v_and_b32_e32 v0, exec_lo, v0
	v_not_b32_e32 v5, v6
	v_ashrrev_i32_e32 v4, 31, v4
	v_xor_b32_e32 v2, s11, v2
	v_cmp_gt_i32_e64 s11, 0, v6
	v_and_b32_e32 v0, v0, v7
	v_lshlrev_b32_e32 v7, 25, v25
	v_ashrrev_i32_e32 v5, 31, v5
	v_xor_b32_e32 v4, s12, v4
	v_not_b32_e32 v6, v3
	v_and_b32_e32 v0, v0, v2
	v_lshlrev_b32_e32 v2, 24, v25
	v_not_b32_e32 v34, v7
	v_xor_b32_e32 v5, s11, v5
	v_cmp_gt_i32_e64 s11, 0, v3
	v_and_b32_e32 v0, v0, v4
	v_ashrrev_i32_e32 v3, 31, v6
	v_cmp_gt_i32_e64 s12, 0, v7
	v_ashrrev_i32_e32 v4, 31, v34
	v_add_lshl_u32 v1, v21, v1, 2
	v_and_b32_e32 v0, v0, v5
	v_not_b32_e32 v5, v2
	v_xor_b32_e32 v3, s11, v3
	v_xor_b32_e32 v4, s12, v4
	v_cmp_gt_i32_e64 s11, 0, v2
	s_delay_alu instid0(VALU_DEP_4) | instskip(NEXT) | instid1(VALU_DEP_4)
	v_ashrrev_i32_e32 v2, 31, v5
	v_and_b32_e32 v0, v0, v3
	; wave barrier
	ds_load_b32 v34, v1 offset:16
	v_add_nc_u32_e32 v36, 16, v1
	v_xor_b32_e32 v2, s11, v2
	v_and_b32_e32 v0, v0, v4
	; wave barrier
	s_delay_alu instid0(VALU_DEP_1) | instskip(NEXT) | instid1(VALU_DEP_1)
	v_and_b32_e32 v0, v0, v2
	v_mbcnt_lo_u32_b32 v35, v0, 0
	v_cmp_ne_u32_e64 s12, 0, v0
	s_delay_alu instid0(VALU_DEP_2) | instskip(NEXT) | instid1(VALU_DEP_1)
	v_cmp_eq_u32_e64 s11, 0, v35
	s_and_b32 s12, s12, s11
	s_delay_alu instid0(SALU_CYCLE_1)
	s_and_saveexec_b32 s11, s12
	s_cbranch_execz .LBB59_8
; %bb.7:                                ;   in Loop: Header=BB59_2 Depth=1
	s_waitcnt lgkmcnt(0)
	v_bcnt_u32_b32 v0, v0, v34
	ds_store_b32 v36, v0
.LBB59_8:                               ;   in Loop: Header=BB59_2 Depth=1
	s_or_b32 exec_lo, exec_lo, s11
	; wave barrier
	s_waitcnt lgkmcnt(0)
	s_barrier
	buffer_gl0_inv
	ds_load_2addr_b64 v[4:7], v13 offset0:2 offset1:3
	ds_load_2addr_b64 v[0:3], v14 offset0:2 offset1:3
	s_waitcnt lgkmcnt(1)
	v_add_nc_u32_e32 v37, v5, v4
	s_delay_alu instid0(VALU_DEP_1) | instskip(SKIP_1) | instid1(VALU_DEP_1)
	v_add3_u32 v37, v37, v6, v7
	s_waitcnt lgkmcnt(0)
	v_add3_u32 v37, v37, v0, v1
	s_delay_alu instid0(VALU_DEP_1) | instskip(NEXT) | instid1(VALU_DEP_1)
	v_add3_u32 v3, v37, v2, v3
	v_mov_b32_dpp v37, v3 row_shr:1 row_mask:0xf bank_mask:0xf
	s_delay_alu instid0(VALU_DEP_1) | instskip(NEXT) | instid1(VALU_DEP_1)
	v_cndmask_b32_e64 v37, v37, 0, s0
	v_add_nc_u32_e32 v3, v37, v3
	s_delay_alu instid0(VALU_DEP_1) | instskip(NEXT) | instid1(VALU_DEP_1)
	v_mov_b32_dpp v37, v3 row_shr:2 row_mask:0xf bank_mask:0xf
	v_cndmask_b32_e64 v37, 0, v37, s1
	s_delay_alu instid0(VALU_DEP_1) | instskip(NEXT) | instid1(VALU_DEP_1)
	v_add_nc_u32_e32 v3, v3, v37
	v_mov_b32_dpp v37, v3 row_shr:4 row_mask:0xf bank_mask:0xf
	s_delay_alu instid0(VALU_DEP_1) | instskip(NEXT) | instid1(VALU_DEP_1)
	v_cndmask_b32_e64 v37, 0, v37, s2
	v_add_nc_u32_e32 v3, v3, v37
	s_delay_alu instid0(VALU_DEP_1) | instskip(NEXT) | instid1(VALU_DEP_1)
	v_mov_b32_dpp v37, v3 row_shr:8 row_mask:0xf bank_mask:0xf
	v_cndmask_b32_e64 v37, 0, v37, s3
	s_delay_alu instid0(VALU_DEP_1) | instskip(SKIP_3) | instid1(VALU_DEP_1)
	v_add_nc_u32_e32 v3, v3, v37
	ds_swizzle_b32 v37, v3 offset:swizzle(BROADCAST,32,15)
	s_waitcnt lgkmcnt(0)
	v_cndmask_b32_e64 v37, v37, 0, s4
	v_add_nc_u32_e32 v3, v3, v37
	s_and_saveexec_b32 s11, s10
	s_cbranch_execz .LBB59_10
; %bb.9:                                ;   in Loop: Header=BB59_2 Depth=1
	ds_store_b32 v17, v3
.LBB59_10:                              ;   in Loop: Header=BB59_2 Depth=1
	s_or_b32 exec_lo, exec_lo, s11
	s_waitcnt lgkmcnt(0)
	s_barrier
	buffer_gl0_inv
	s_and_saveexec_b32 s11, s5
	s_cbranch_execz .LBB59_12
; %bb.11:                               ;   in Loop: Header=BB59_2 Depth=1
	ds_load_b32 v37, v22
	s_waitcnt lgkmcnt(0)
	v_mov_b32_dpp v38, v37 row_shr:1 row_mask:0xf bank_mask:0xf
	s_delay_alu instid0(VALU_DEP_1) | instskip(NEXT) | instid1(VALU_DEP_1)
	v_cndmask_b32_e64 v38, v38, 0, s8
	v_add_nc_u32_e32 v37, v38, v37
	s_delay_alu instid0(VALU_DEP_1) | instskip(NEXT) | instid1(VALU_DEP_1)
	v_mov_b32_dpp v38, v37 row_shr:2 row_mask:0xf bank_mask:0xf
	v_cndmask_b32_e64 v38, 0, v38, s9
	s_delay_alu instid0(VALU_DEP_1)
	v_add_nc_u32_e32 v37, v37, v38
	ds_store_b32 v22, v37
.LBB59_12:                              ;   in Loop: Header=BB59_2 Depth=1
	s_or_b32 exec_lo, exec_lo, s11
	v_mov_b32_e32 v37, 0
	s_waitcnt lgkmcnt(0)
	s_barrier
	buffer_gl0_inv
	s_and_saveexec_b32 s11, s6
	s_cbranch_execz .LBB59_1
; %bb.13:                               ;   in Loop: Header=BB59_2 Depth=1
	ds_load_b32 v37, v19
	s_branch .LBB59_1
.LBB59_14:
	s_add_u32 s0, s18, s13
	v_add_nc_u16 v0, v6, v3
	s_addc_u32 s1, s19, 0
	v_add_co_u32 v6, s0, s0, v8
	s_delay_alu instid0(VALU_DEP_1)
	v_add_co_ci_u32_e64 v7, null, s1, 0, s0
	v_add_nc_u16 v1, v4, v1
	v_add_nc_u16 v2, v5, v2
	s_clause 0x2
	global_store_b8 v[6:7], v0, off
	global_store_b8 v[6:7], v1, off offset:128
	global_store_b8 v[6:7], v2, off offset:256
	s_nop 0
	s_sendmsg sendmsg(MSG_DEALLOC_VGPRS)
	s_endpgm
	.section	.rodata,"a",@progbits
	.p2align	6, 0x0
	.amdhsa_kernel _Z17sort_pairs_kernelI22helper_blocked_blockedaLj128ELj3ELj10EEvPKT0_PS1_
		.amdhsa_group_segment_fixed_size 4112
		.amdhsa_private_segment_fixed_size 0
		.amdhsa_kernarg_size 272
		.amdhsa_user_sgpr_count 15
		.amdhsa_user_sgpr_dispatch_ptr 0
		.amdhsa_user_sgpr_queue_ptr 0
		.amdhsa_user_sgpr_kernarg_segment_ptr 1
		.amdhsa_user_sgpr_dispatch_id 0
		.amdhsa_user_sgpr_private_segment_size 0
		.amdhsa_wavefront_size32 1
		.amdhsa_uses_dynamic_stack 0
		.amdhsa_enable_private_segment 0
		.amdhsa_system_sgpr_workgroup_id_x 1
		.amdhsa_system_sgpr_workgroup_id_y 0
		.amdhsa_system_sgpr_workgroup_id_z 0
		.amdhsa_system_sgpr_workgroup_info 0
		.amdhsa_system_vgpr_workitem_id 2
		.amdhsa_next_free_vgpr 39
		.amdhsa_next_free_sgpr 20
		.amdhsa_reserve_vcc 1
		.amdhsa_float_round_mode_32 0
		.amdhsa_float_round_mode_16_64 0
		.amdhsa_float_denorm_mode_32 3
		.amdhsa_float_denorm_mode_16_64 3
		.amdhsa_dx10_clamp 1
		.amdhsa_ieee_mode 1
		.amdhsa_fp16_overflow 0
		.amdhsa_workgroup_processor_mode 1
		.amdhsa_memory_ordered 1
		.amdhsa_forward_progress 0
		.amdhsa_shared_vgpr_count 0
		.amdhsa_exception_fp_ieee_invalid_op 0
		.amdhsa_exception_fp_denorm_src 0
		.amdhsa_exception_fp_ieee_div_zero 0
		.amdhsa_exception_fp_ieee_overflow 0
		.amdhsa_exception_fp_ieee_underflow 0
		.amdhsa_exception_fp_ieee_inexact 0
		.amdhsa_exception_int_div_zero 0
	.end_amdhsa_kernel
	.section	.text._Z17sort_pairs_kernelI22helper_blocked_blockedaLj128ELj3ELj10EEvPKT0_PS1_,"axG",@progbits,_Z17sort_pairs_kernelI22helper_blocked_blockedaLj128ELj3ELj10EEvPKT0_PS1_,comdat
.Lfunc_end59:
	.size	_Z17sort_pairs_kernelI22helper_blocked_blockedaLj128ELj3ELj10EEvPKT0_PS1_, .Lfunc_end59-_Z17sort_pairs_kernelI22helper_blocked_blockedaLj128ELj3ELj10EEvPKT0_PS1_
                                        ; -- End function
	.section	.AMDGPU.csdata,"",@progbits
; Kernel info:
; codeLenInByte = 2600
; NumSgprs: 22
; NumVgprs: 39
; ScratchSize: 0
; MemoryBound: 0
; FloatMode: 240
; IeeeMode: 1
; LDSByteSize: 4112 bytes/workgroup (compile time only)
; SGPRBlocks: 2
; VGPRBlocks: 4
; NumSGPRsForWavesPerEU: 22
; NumVGPRsForWavesPerEU: 39
; Occupancy: 16
; WaveLimiterHint : 1
; COMPUTE_PGM_RSRC2:SCRATCH_EN: 0
; COMPUTE_PGM_RSRC2:USER_SGPR: 15
; COMPUTE_PGM_RSRC2:TRAP_HANDLER: 0
; COMPUTE_PGM_RSRC2:TGID_X_EN: 1
; COMPUTE_PGM_RSRC2:TGID_Y_EN: 0
; COMPUTE_PGM_RSRC2:TGID_Z_EN: 0
; COMPUTE_PGM_RSRC2:TIDIG_COMP_CNT: 2
	.section	.text._Z16sort_keys_kernelI22helper_blocked_blockedaLj128ELj4ELj10EEvPKT0_PS1_,"axG",@progbits,_Z16sort_keys_kernelI22helper_blocked_blockedaLj128ELj4ELj10EEvPKT0_PS1_,comdat
	.protected	_Z16sort_keys_kernelI22helper_blocked_blockedaLj128ELj4ELj10EEvPKT0_PS1_ ; -- Begin function _Z16sort_keys_kernelI22helper_blocked_blockedaLj128ELj4ELj10EEvPKT0_PS1_
	.globl	_Z16sort_keys_kernelI22helper_blocked_blockedaLj128ELj4ELj10EEvPKT0_PS1_
	.p2align	8
	.type	_Z16sort_keys_kernelI22helper_blocked_blockedaLj128ELj4ELj10EEvPKT0_PS1_,@function
_Z16sort_keys_kernelI22helper_blocked_blockedaLj128ELj4ELj10EEvPKT0_PS1_: ; @_Z16sort_keys_kernelI22helper_blocked_blockedaLj128ELj4ELj10EEvPKT0_PS1_
; %bb.0:
	s_clause 0x1
	s_load_b128 s[16:19], s[0:1], 0x0
	s_load_b32 s13, s[0:1], 0x1c
	s_lshl_b32 s20, s15, 9
	v_and_b32_e32 v8, 0x3ff, v0
	v_mbcnt_lo_u32_b32 v5, -1, 0
	v_bfe_u32 v7, v0, 10, 10
	v_bfe_u32 v0, v0, 20, 10
	s_delay_alu instid0(VALU_DEP_3)
	v_and_b32_e32 v6, 3, v5
	v_and_b32_e32 v19, 16, v5
	v_add_nc_u32_e32 v20, -1, v5
	v_and_b32_e32 v18, 15, v5
	v_cmp_eq_u32_e32 vcc_lo, 0, v5
	v_cmp_lt_u32_e64 s12, 1, v6
	v_cmp_eq_u32_e64 s8, 0, v19
	v_cmp_gt_i32_e64 s11, 0, v20
	v_cmp_eq_u32_e64 s4, 0, v18
	v_cmp_lt_u32_e64 s5, 1, v18
	v_cmp_lt_u32_e64 s6, 3, v18
	s_waitcnt lgkmcnt(0)
	s_add_u32 s0, s16, s20
	s_addc_u32 s1, s17, 0
	s_lshr_b32 s14, s13, 16
	s_clause 0x3
	global_load_u8 v1, v8, s[0:1] offset:128
	global_load_u8 v2, v8, s[0:1] offset:384
	global_load_u8 v3, v8, s[0:1]
	global_load_u8 v4, v8, s[0:1] offset:256
	s_mov_b32 s0, 0
	s_and_b32 s13, s13, 0xffff
	s_mov_b32 s1, s0
	s_mov_b32 s3, s0
	;; [unrolled: 1-line block ×3, first 2 shown]
	v_mov_b32_e32 v10, s1
	v_dual_mov_b32 v12, s3 :: v_dual_and_b32 v13, 28, v5
	v_mov_b32_e32 v9, s0
	v_mov_b32_e32 v11, s2
	v_cmp_eq_u32_e64 s0, 3, v6
	v_cmp_eq_u32_e64 s1, 2, v6
	;; [unrolled: 1-line block ×4, first 2 shown]
	v_mad_u32_u24 v6, v0, s14, v7
	v_lshrrev_b32_e32 v19, 3, v8
	v_lshlrev_b32_e32 v17, 5, v8
	v_or_b32_e32 v21, 31, v8
	v_cndmask_b32_e64 v5, v20, v5, s11
	v_mul_i32_i24_e32 v23, 0xffffffe4, v8
	v_and_b32_e32 v19, 12, v19
	v_or_b32_e32 v14, 32, v13
	v_or_b32_e32 v15, 64, v13
	;; [unrolled: 1-line block ×3, first 2 shown]
	v_cmp_lt_u32_e64 s7, 7, v18
	v_cmp_gt_u32_e64 s9, 4, v8
	v_cmp_lt_u32_e64 s10, 31, v8
	v_cmp_eq_u32_e64 s11, 0, v8
	v_or_b32_e32 v18, 16, v17
	v_lshlrev_b32_e32 v20, 2, v5
	v_add_nc_u32_e32 v23, v17, v23
	s_mov_b32 s16, 10
	s_waitcnt vmcnt(3)
	v_lshlrev_b16 v1, 8, v1
	s_waitcnt vmcnt(2)
	v_lshlrev_b16 v2, 8, v2
	s_waitcnt vmcnt(1)
	s_delay_alu instid0(VALU_DEP_2) | instskip(SKIP_1) | instid1(VALU_DEP_2)
	v_or_b32_e32 v3, v3, v1
	s_waitcnt vmcnt(0)
	v_or_b32_e32 v2, v4, v2
	v_mad_u64_u32 v[0:1], null, v6, s13, v[8:9]
	v_cmp_eq_u32_e64 s13, v21, v8
	v_and_b32_e32 v1, 0xffff, v3
	s_delay_alu instid0(VALU_DEP_4) | instskip(SKIP_2) | instid1(VALU_DEP_3)
	v_lshlrev_b32_e32 v2, 16, v2
	v_add_nc_u32_e32 v21, -4, v19
	v_lshrrev_b32_e32 v22, 5, v0
	v_or_b32_e32 v0, v1, v2
	s_branch .LBB60_2
.LBB60_1:                               ;   in Loop: Header=BB60_2 Depth=1
	s_or_b32 exec_lo, exec_lo, s14
	s_waitcnt lgkmcnt(0)
	v_add_nc_u32_e32 v3, v39, v3
	s_add_i32 s16, s16, -1
	s_delay_alu instid0(SALU_CYCLE_1) | instskip(SKIP_3) | instid1(VALU_DEP_1)
	s_cmp_eq_u32 s16, 0
	ds_bpermute_b32 v3, v20, v3
	s_waitcnt lgkmcnt(0)
	v_cndmask_b32_e32 v3, v3, v39, vcc_lo
	v_cndmask_b32_e64 v3, v3, 0, s11
	s_delay_alu instid0(VALU_DEP_1) | instskip(NEXT) | instid1(VALU_DEP_1)
	v_add_nc_u32_e32 v4, v3, v4
	v_add_nc_u32_e32 v5, v4, v5
	s_delay_alu instid0(VALU_DEP_1) | instskip(NEXT) | instid1(VALU_DEP_1)
	v_add_nc_u32_e32 v6, v5, v6
	v_add_nc_u32_e32 v39, v6, v7
	;; [unrolled: 3-line block ×3, first 2 shown]
	s_delay_alu instid0(VALU_DEP_1)
	v_add_nc_u32_e32 v1, v0, v2
	ds_store_2addr_b64 v17, v[3:4], v[5:6] offset0:2 offset1:3
	ds_store_2addr_b64 v18, v[39:40], v[0:1] offset0:2 offset1:3
	s_waitcnt lgkmcnt(0)
	s_barrier
	buffer_gl0_inv
	ds_load_b32 v0, v26
	ds_load_b32 v1, v30
	;; [unrolled: 1-line block ×4, first 2 shown]
	s_waitcnt lgkmcnt(0)
	s_barrier
	buffer_gl0_inv
	v_add_nc_u32_e32 v0, v0, v25
	v_add3_u32 v1, v29, v28, v1
	v_add3_u32 v2, v33, v32, v2
	;; [unrolled: 1-line block ×3, first 2 shown]
	ds_store_b8 v0, v24
	ds_store_b8 v1, v27
	;; [unrolled: 1-line block ×4, first 2 shown]
	s_waitcnt lgkmcnt(0)
	s_barrier
	buffer_gl0_inv
	ds_load_b32 v0, v23
	s_waitcnt lgkmcnt(0)
	v_lshrrev_b32_e32 v2, 8, v0
	v_lshrrev_b32_e32 v3, 24, v0
	;; [unrolled: 1-line block ×3, first 2 shown]
	v_xor_b32_e32 v1, 0xffffff80, v0
	s_delay_alu instid0(VALU_DEP_4) | instskip(NEXT) | instid1(VALU_DEP_4)
	v_xor_b32_e32 v2, 0xffffff80, v2
	v_xor_b32_e32 v3, 0xffffff80, v3
	s_delay_alu instid0(VALU_DEP_4) | instskip(NEXT) | instid1(VALU_DEP_4)
	v_xor_b32_e32 v4, 0xffffff80, v4
	v_and_b32_e32 v0, 0xff, v1
	s_delay_alu instid0(VALU_DEP_4) | instskip(NEXT) | instid1(VALU_DEP_4)
	v_lshlrev_b16 v5, 8, v2
	v_lshlrev_b16 v6, 8, v3
	s_delay_alu instid0(VALU_DEP_4) | instskip(NEXT) | instid1(VALU_DEP_3)
	v_and_b32_e32 v7, 0xff, v4
	v_or_b32_e32 v0, v0, v5
	s_delay_alu instid0(VALU_DEP_2) | instskip(NEXT) | instid1(VALU_DEP_2)
	v_or_b32_e32 v5, v7, v6
	v_and_b32_e32 v0, 0xffff, v0
	s_delay_alu instid0(VALU_DEP_2) | instskip(NEXT) | instid1(VALU_DEP_1)
	v_lshlrev_b32_e32 v5, 16, v5
	v_or_b32_e32 v0, v0, v5
	s_cbranch_scc1 .LBB60_16
.LBB60_2:                               ; =>This Inner Loop Header: Depth=1
	s_delay_alu instid0(VALU_DEP_1) | instskip(SKIP_3) | instid1(VALU_DEP_4)
	v_lshrrev_b32_e32 v1, 8, v0
	v_xor_b32_e32 v2, 0x80, v0
	v_lshrrev_b32_e32 v3, 16, v0
	v_lshrrev_b32_e32 v0, 24, v0
	v_xor_b32_e32 v1, 0x80, v1
	s_delay_alu instid0(VALU_DEP_4) | instskip(NEXT) | instid1(VALU_DEP_4)
	v_and_b32_e32 v2, 0xff, v2
	v_xor_b32_e32 v3, 0x80, v3
	s_delay_alu instid0(VALU_DEP_4)
	v_xor_b32_e32 v0, 0x80, v0
	s_barrier
	v_and_b32_e32 v1, 0xff, v1
	ds_bpermute_b32 v4, v13, v2
	v_and_b32_e32 v3, 0xff, v3
	v_and_b32_e32 v0, 0xffff, v0
	s_waitcnt lgkmcnt(0)
	buffer_gl0_inv
	ds_bpermute_b32 v5, v13, v1
	ds_store_2addr_b64 v17, v[9:10], v[11:12] offset0:2 offset1:3
	ds_store_2addr_b64 v18, v[9:10], v[11:12] offset0:2 offset1:3
	ds_bpermute_b32 v6, v13, v3
	ds_bpermute_b32 v7, v13, v0
	s_waitcnt lgkmcnt(0)
	s_barrier
	buffer_gl0_inv
	; wave barrier
	v_perm_b32 v5, v5, v4, 0x3020104
	s_delay_alu instid0(VALU_DEP_1) | instskip(SKIP_2) | instid1(VALU_DEP_1)
	v_cndmask_b32_e64 v4, v4, v5, s2
	ds_bpermute_b32 v5, v14, v2
	v_perm_b32 v6, v6, v4, 0x3020104
	v_cndmask_b32_e64 v4, v4, v6, s1
	s_delay_alu instid0(VALU_DEP_1) | instskip(SKIP_4) | instid1(VALU_DEP_2)
	v_perm_b32 v6, v7, v4, 0x3020104
	ds_bpermute_b32 v7, v14, v1
	v_cndmask_b32_e64 v4, v4, v6, s0
	s_waitcnt lgkmcnt(1)
	v_lshlrev_b16 v5, 8, v5
	v_and_b32_e32 v6, 0xff, v4
	s_delay_alu instid0(VALU_DEP_1) | instskip(NEXT) | instid1(VALU_DEP_1)
	v_or_b32_e32 v5, v6, v5
	v_and_b32_e32 v5, 0xffff, v5
	s_delay_alu instid0(VALU_DEP_1) | instskip(NEXT) | instid1(VALU_DEP_1)
	v_and_or_b32 v5, 0xffff0000, v4, v5
	v_cndmask_b32_e64 v4, v4, v5, s3
	s_waitcnt lgkmcnt(0)
	v_lshlrev_b16 v5, 8, v7
	ds_bpermute_b32 v7, v14, v3
	v_and_b32_e32 v6, 0xff, v4
	s_delay_alu instid0(VALU_DEP_1) | instskip(NEXT) | instid1(VALU_DEP_1)
	v_or_b32_e32 v5, v6, v5
	v_and_b32_e32 v5, 0xffff, v5
	s_delay_alu instid0(VALU_DEP_1) | instskip(NEXT) | instid1(VALU_DEP_1)
	v_and_or_b32 v5, 0xffff0000, v4, v5
	v_cndmask_b32_e64 v4, v4, v5, s2
	s_waitcnt lgkmcnt(0)
	v_lshlrev_b16 v5, 8, v7
	ds_bpermute_b32 v7, v14, v0
	v_and_b32_e32 v6, 0xff, v4
	s_delay_alu instid0(VALU_DEP_1) | instskip(NEXT) | instid1(VALU_DEP_1)
	v_or_b32_e32 v5, v6, v5
	v_and_b32_e32 v5, 0xffff, v5
	s_delay_alu instid0(VALU_DEP_1) | instskip(NEXT) | instid1(VALU_DEP_1)
	v_and_or_b32 v5, 0xffff0000, v4, v5
	v_cndmask_b32_e64 v4, v4, v5, s1
	s_waitcnt lgkmcnt(0)
	v_lshlrev_b16 v5, 8, v7
	s_delay_alu instid0(VALU_DEP_2) | instskip(NEXT) | instid1(VALU_DEP_1)
	v_and_b32_e32 v6, 0xff, v4
	v_or_b32_e32 v5, v6, v5
	ds_bpermute_b32 v6, v15, v2
	ds_bpermute_b32 v2, v16, v2
	v_and_b32_e32 v5, 0xffff, v5
	s_delay_alu instid0(VALU_DEP_1) | instskip(NEXT) | instid1(VALU_DEP_1)
	v_and_or_b32 v5, 0xffff0000, v4, v5
	v_cndmask_b32_e64 v4, v4, v5, s0
	s_delay_alu instid0(VALU_DEP_1)
	v_lshrrev_b32_e32 v5, 16, v4
	s_waitcnt lgkmcnt(1)
	v_and_b32_e32 v6, 0xff, v6
	s_waitcnt lgkmcnt(0)
	v_lshlrev_b16 v2, 8, v2
	v_and_b32_e32 v5, 0xffffff00, v5
	s_delay_alu instid0(VALU_DEP_1) | instskip(SKIP_3) | instid1(VALU_DEP_1)
	v_or_b32_e32 v5, v6, v5
	ds_bpermute_b32 v6, v15, v1
	ds_bpermute_b32 v1, v16, v1
	v_lshlrev_b32_e32 v5, 16, v5
	v_and_or_b32 v5, 0xffff, v4, v5
	s_delay_alu instid0(VALU_DEP_1) | instskip(NEXT) | instid1(VALU_DEP_1)
	v_cndmask_b32_e64 v4, v4, v5, s3
	v_lshrrev_b32_e32 v5, 16, v4
	s_waitcnt lgkmcnt(1)
	v_and_b32_e32 v6, 0xff, v6
	s_waitcnt lgkmcnt(0)
	v_lshlrev_b16 v1, 8, v1
	v_and_b32_e32 v5, 0xffffff00, v5
	s_delay_alu instid0(VALU_DEP_1) | instskip(SKIP_3) | instid1(VALU_DEP_1)
	v_or_b32_e32 v5, v6, v5
	ds_bpermute_b32 v6, v15, v3
	ds_bpermute_b32 v3, v16, v3
	v_lshlrev_b32_e32 v5, 16, v5
	v_and_or_b32 v5, 0xffff, v4, v5
	s_delay_alu instid0(VALU_DEP_1) | instskip(NEXT) | instid1(VALU_DEP_1)
	v_cndmask_b32_e64 v4, v4, v5, s2
	;; [unrolled: 14-line block ×3, first 2 shown]
	v_lshrrev_b32_e32 v5, 16, v4
	s_waitcnt lgkmcnt(1)
	v_and_b32_e32 v6, 0xff, v6
	s_waitcnt lgkmcnt(0)
	v_lshlrev_b16 v0, 8, v0
	v_and_b32_e32 v5, 0xffffff00, v5
	s_delay_alu instid0(VALU_DEP_1) | instskip(NEXT) | instid1(VALU_DEP_1)
	v_or_b32_e32 v5, v6, v5
	v_lshlrev_b32_e32 v5, 16, v5
	s_delay_alu instid0(VALU_DEP_1) | instskip(NEXT) | instid1(VALU_DEP_1)
	v_and_or_b32 v5, 0xffff, v4, v5
	v_cndmask_b32_e64 v4, v4, v5, s0
	s_delay_alu instid0(VALU_DEP_1) | instskip(NEXT) | instid1(VALU_DEP_1)
	v_lshrrev_b32_e32 v5, 16, v4
	v_and_b32_e32 v5, 0xff, v5
	s_delay_alu instid0(VALU_DEP_1) | instskip(NEXT) | instid1(VALU_DEP_1)
	v_or_b32_e32 v2, v5, v2
	v_lshlrev_b32_e32 v2, 16, v2
	s_delay_alu instid0(VALU_DEP_1) | instskip(NEXT) | instid1(VALU_DEP_1)
	v_and_or_b32 v2, 0xffff, v4, v2
	v_cndmask_b32_e64 v2, v4, v2, s3
	s_delay_alu instid0(VALU_DEP_1) | instskip(NEXT) | instid1(VALU_DEP_1)
	v_lshrrev_b32_e32 v4, 16, v2
	;; [unrolled: 9-line block ×4, first 2 shown]
	v_and_b32_e32 v2, 0xff, v2
	s_delay_alu instid0(VALU_DEP_1) | instskip(NEXT) | instid1(VALU_DEP_1)
	v_or_b32_e32 v0, v2, v0
	v_lshlrev_b32_e32 v0, 16, v0
	s_delay_alu instid0(VALU_DEP_1) | instskip(NEXT) | instid1(VALU_DEP_1)
	v_and_or_b32 v0, 0xffff, v1, v0
	v_cndmask_b32_e64 v24, v1, v0, s0
	s_delay_alu instid0(VALU_DEP_1)
	v_and_b32_e32 v0, 1, v24
	v_lshlrev_b32_e32 v1, 30, v24
	v_lshlrev_b32_e32 v2, 29, v24
	v_lshlrev_b32_e32 v3, 28, v24
	v_lshlrev_b32_e32 v5, 27, v24
	v_add_co_u32 v0, s14, v0, -1
	s_delay_alu instid0(VALU_DEP_1)
	v_cndmask_b32_e64 v4, 0, 1, s14
	v_not_b32_e32 v25, v1
	v_cmp_gt_i32_e64 s15, 0, v1
	v_not_b32_e32 v1, v2
	v_lshlrev_b32_e32 v6, 26, v24
	v_cmp_ne_u32_e64 s14, 0, v4
	v_ashrrev_i32_e32 v25, 31, v25
	v_lshlrev_b32_e32 v7, 25, v24
	v_ashrrev_i32_e32 v1, 31, v1
	v_lshlrev_b32_e32 v4, 24, v24
	v_xor_b32_e32 v0, s14, v0
	v_cmp_gt_i32_e64 s14, 0, v2
	v_not_b32_e32 v2, v3
	v_xor_b32_e32 v25, s15, v25
	v_cmp_gt_i32_e64 s15, 0, v3
	v_and_b32_e32 v0, exec_lo, v0
	v_not_b32_e32 v3, v5
	v_ashrrev_i32_e32 v2, 31, v2
	v_xor_b32_e32 v1, s14, v1
	v_cmp_gt_i32_e64 s14, 0, v5
	v_and_b32_e32 v0, v0, v25
	v_not_b32_e32 v5, v6
	v_ashrrev_i32_e32 v3, 31, v3
	v_xor_b32_e32 v2, s15, v2
	v_cmp_gt_i32_e64 s15, 0, v6
	v_and_b32_e32 v0, v0, v1
	;; [unrolled: 5-line block ×4, first 2 shown]
	v_ashrrev_i32_e32 v2, 31, v2
	v_xor_b32_e32 v1, s14, v1
	s_delay_alu instid0(VALU_DEP_3) | instskip(NEXT) | instid1(VALU_DEP_3)
	v_and_b32_e32 v0, v0, v5
	v_xor_b32_e32 v2, s15, v2
	s_delay_alu instid0(VALU_DEP_2) | instskip(SKIP_1) | instid1(VALU_DEP_2)
	v_and_b32_e32 v0, v0, v1
	v_and_b32_e32 v1, 0xff, v24
	;; [unrolled: 1-line block ×3, first 2 shown]
	s_delay_alu instid0(VALU_DEP_2) | instskip(NEXT) | instid1(VALU_DEP_2)
	v_lshl_add_u32 v1, v1, 2, v22
	v_mbcnt_lo_u32_b32 v25, v0, 0
	v_cmp_ne_u32_e64 s15, 0, v0
	s_delay_alu instid0(VALU_DEP_3) | instskip(NEXT) | instid1(VALU_DEP_3)
	v_lshl_add_u32 v26, v1, 2, 16
	v_cmp_eq_u32_e64 s14, 0, v25
	s_delay_alu instid0(VALU_DEP_1) | instskip(NEXT) | instid1(SALU_CYCLE_1)
	s_and_b32 s15, s14, s15
	s_and_saveexec_b32 s14, s15
	s_cbranch_execz .LBB60_4
; %bb.3:                                ;   in Loop: Header=BB60_2 Depth=1
	v_bcnt_u32_b32 v0, v0, 0
	ds_store_b32 v26, v0
.LBB60_4:                               ;   in Loop: Header=BB60_2 Depth=1
	s_or_b32 exec_lo, exec_lo, s14
	v_bfe_u32 v0, v24, 8, 1
	v_lshrrev_b32_e32 v27, 8, v24
	; wave barrier
	s_delay_alu instid0(VALU_DEP_2) | instskip(NEXT) | instid1(VALU_DEP_1)
	v_add_co_u32 v0, s14, v0, -1
	v_cndmask_b32_e64 v1, 0, 1, s14
	s_delay_alu instid0(VALU_DEP_3)
	v_lshlrev_b32_e32 v2, 30, v27
	v_lshlrev_b32_e32 v3, 29, v27
	;; [unrolled: 1-line block ×4, first 2 shown]
	v_cmp_ne_u32_e64 s14, 0, v1
	v_not_b32_e32 v1, v2
	v_cmp_gt_i32_e64 s15, 0, v2
	v_not_b32_e32 v2, v3
	v_lshlrev_b32_e32 v6, 26, v27
	v_xor_b32_e32 v0, s14, v0
	v_ashrrev_i32_e32 v1, 31, v1
	v_cmp_gt_i32_e64 s14, 0, v3
	v_not_b32_e32 v3, v4
	v_ashrrev_i32_e32 v2, 31, v2
	v_and_b32_e32 v0, exec_lo, v0
	v_xor_b32_e32 v1, s15, v1
	v_cmp_gt_i32_e64 s15, 0, v4
	v_not_b32_e32 v4, v5
	v_ashrrev_i32_e32 v3, 31, v3
	v_xor_b32_e32 v2, s14, v2
	v_and_b32_e32 v0, v0, v1
	v_cmp_gt_i32_e64 s14, 0, v5
	v_not_b32_e32 v1, v6
	v_ashrrev_i32_e32 v4, 31, v4
	v_xor_b32_e32 v3, s15, v3
	v_and_b32_e32 v0, v0, v2
	v_lshlrev_b32_e32 v2, 25, v27
	v_cmp_gt_i32_e64 s15, 0, v6
	v_ashrrev_i32_e32 v1, 31, v1
	v_xor_b32_e32 v4, s14, v4
	v_and_b32_e32 v0, v0, v3
	v_not_b32_e32 v5, v2
	v_lshlrev_b32_e32 v6, 24, v27
	v_lshrrev_b32_e32 v3, 6, v24
	v_xor_b32_e32 v1, s15, v1
	v_and_b32_e32 v0, v0, v4
	v_cmp_gt_i32_e64 s14, 0, v2
	v_ashrrev_i32_e32 v2, 31, v5
	v_not_b32_e32 v4, v6
	v_and_b32_e32 v3, 0x3fc, v3
	v_and_b32_e32 v0, v0, v1
	s_delay_alu instid0(VALU_DEP_4) | instskip(SKIP_3) | instid1(VALU_DEP_4)
	v_xor_b32_e32 v1, s14, v2
	v_cmp_gt_i32_e64 s14, 0, v6
	v_ashrrev_i32_e32 v2, 31, v4
	v_add_lshl_u32 v3, v3, v22, 2
	v_and_b32_e32 v0, v0, v1
	s_delay_alu instid0(VALU_DEP_3) | instskip(SKIP_3) | instid1(VALU_DEP_1)
	v_xor_b32_e32 v1, s14, v2
	ds_load_b32 v28, v3 offset:16
	v_add_nc_u32_e32 v30, 16, v3
	; wave barrier
	v_and_b32_e32 v0, v0, v1
	v_mbcnt_lo_u32_b32 v29, v0, 0
	v_cmp_ne_u32_e64 s15, 0, v0
	s_delay_alu instid0(VALU_DEP_2) | instskip(NEXT) | instid1(VALU_DEP_1)
	v_cmp_eq_u32_e64 s14, 0, v29
	s_and_b32 s15, s15, s14
	s_delay_alu instid0(SALU_CYCLE_1)
	s_and_saveexec_b32 s14, s15
	s_cbranch_execz .LBB60_6
; %bb.5:                                ;   in Loop: Header=BB60_2 Depth=1
	s_waitcnt lgkmcnt(0)
	v_bcnt_u32_b32 v0, v0, v28
	ds_store_b32 v30, v0
.LBB60_6:                               ;   in Loop: Header=BB60_2 Depth=1
	s_or_b32 exec_lo, exec_lo, s14
	v_bfe_u32 v0, v24, 16, 1
	v_lshrrev_b32_e32 v31, 16, v24
	; wave barrier
	s_delay_alu instid0(VALU_DEP_2) | instskip(NEXT) | instid1(VALU_DEP_1)
	v_add_co_u32 v0, s14, v0, -1
	v_cndmask_b32_e64 v1, 0, 1, s14
	s_delay_alu instid0(VALU_DEP_3)
	v_lshlrev_b32_e32 v2, 30, v31
	v_lshlrev_b32_e32 v3, 29, v31
	;; [unrolled: 1-line block ×4, first 2 shown]
	v_cmp_ne_u32_e64 s14, 0, v1
	v_not_b32_e32 v1, v2
	v_cmp_gt_i32_e64 s15, 0, v2
	v_not_b32_e32 v2, v3
	v_lshlrev_b32_e32 v6, 26, v31
	v_xor_b32_e32 v0, s14, v0
	v_ashrrev_i32_e32 v1, 31, v1
	v_cmp_gt_i32_e64 s14, 0, v3
	v_not_b32_e32 v3, v4
	v_ashrrev_i32_e32 v2, 31, v2
	v_and_b32_e32 v0, exec_lo, v0
	v_xor_b32_e32 v1, s15, v1
	v_cmp_gt_i32_e64 s15, 0, v4
	v_not_b32_e32 v4, v5
	v_ashrrev_i32_e32 v3, 31, v3
	v_xor_b32_e32 v2, s14, v2
	v_and_b32_e32 v0, v0, v1
	v_cmp_gt_i32_e64 s14, 0, v5
	v_not_b32_e32 v1, v6
	v_ashrrev_i32_e32 v4, 31, v4
	v_xor_b32_e32 v3, s15, v3
	v_and_b32_e32 v0, v0, v2
	v_lshlrev_b32_e32 v2, 25, v31
	v_cmp_gt_i32_e64 s15, 0, v6
	v_ashrrev_i32_e32 v1, 31, v1
	v_xor_b32_e32 v4, s14, v4
	v_and_b32_e32 v0, v0, v3
	v_not_b32_e32 v5, v2
	v_lshlrev_b32_e32 v6, 24, v31
	v_lshrrev_b32_e32 v3, 14, v24
	v_xor_b32_e32 v1, s15, v1
	v_and_b32_e32 v0, v0, v4
	v_cmp_gt_i32_e64 s14, 0, v2
	v_ashrrev_i32_e32 v2, 31, v5
	v_not_b32_e32 v4, v6
	v_and_b32_e32 v3, 0x3fc, v3
	v_and_b32_e32 v0, v0, v1
	s_delay_alu instid0(VALU_DEP_4) | instskip(SKIP_3) | instid1(VALU_DEP_4)
	v_xor_b32_e32 v1, s14, v2
	v_cmp_gt_i32_e64 s14, 0, v6
	v_ashrrev_i32_e32 v2, 31, v4
	v_add_lshl_u32 v3, v3, v22, 2
	v_and_b32_e32 v0, v0, v1
	s_delay_alu instid0(VALU_DEP_3) | instskip(SKIP_3) | instid1(VALU_DEP_1)
	v_xor_b32_e32 v1, s14, v2
	ds_load_b32 v32, v3 offset:16
	v_add_nc_u32_e32 v34, 16, v3
	; wave barrier
	v_and_b32_e32 v0, v0, v1
	v_mbcnt_lo_u32_b32 v33, v0, 0
	v_cmp_ne_u32_e64 s15, 0, v0
	s_delay_alu instid0(VALU_DEP_2) | instskip(NEXT) | instid1(VALU_DEP_1)
	v_cmp_eq_u32_e64 s14, 0, v33
	s_and_b32 s15, s15, s14
	s_delay_alu instid0(SALU_CYCLE_1)
	s_and_saveexec_b32 s14, s15
	s_cbranch_execz .LBB60_8
; %bb.7:                                ;   in Loop: Header=BB60_2 Depth=1
	s_waitcnt lgkmcnt(0)
	v_bcnt_u32_b32 v0, v0, v32
	ds_store_b32 v34, v0
.LBB60_8:                               ;   in Loop: Header=BB60_2 Depth=1
	s_or_b32 exec_lo, exec_lo, s14
	v_bfe_u32 v0, v24, 24, 1
	v_lshrrev_b32_e32 v35, 24, v24
	; wave barrier
	s_delay_alu instid0(VALU_DEP_2) | instskip(NEXT) | instid1(VALU_DEP_1)
	v_add_co_u32 v0, s14, v0, -1
	v_cndmask_b32_e64 v1, 0, 1, s14
	s_delay_alu instid0(VALU_DEP_3)
	v_lshlrev_b32_e32 v2, 30, v35
	v_lshlrev_b32_e32 v3, 29, v35
	;; [unrolled: 1-line block ×4, first 2 shown]
	v_cmp_ne_u32_e64 s14, 0, v1
	v_not_b32_e32 v1, v2
	v_cmp_gt_i32_e64 s15, 0, v2
	v_not_b32_e32 v2, v3
	v_lshlrev_b32_e32 v6, 26, v35
	v_xor_b32_e32 v0, s14, v0
	v_ashrrev_i32_e32 v1, 31, v1
	v_cmp_gt_i32_e64 s14, 0, v3
	v_not_b32_e32 v3, v4
	v_ashrrev_i32_e32 v2, 31, v2
	v_and_b32_e32 v0, exec_lo, v0
	v_xor_b32_e32 v1, s15, v1
	v_cmp_gt_i32_e64 s15, 0, v4
	v_not_b32_e32 v4, v5
	v_ashrrev_i32_e32 v3, 31, v3
	v_xor_b32_e32 v2, s14, v2
	v_and_b32_e32 v0, v0, v1
	v_lshlrev_b32_e32 v1, 25, v35
	v_cmp_gt_i32_e64 s14, 0, v5
	v_ashrrev_i32_e32 v4, 31, v4
	v_xor_b32_e32 v3, s15, v3
	v_and_b32_e32 v0, v0, v2
	v_not_b32_e32 v5, v6
	v_not_b32_e32 v7, v1
	v_xor_b32_e32 v4, s14, v4
	v_cmp_gt_i32_e64 s14, 0, v6
	v_and_b32_e32 v0, v0, v3
	v_ashrrev_i32_e32 v3, 31, v5
	v_and_b32_e32 v2, 0xff000000, v24
	v_cmp_gt_i32_e64 s15, 0, v1
	v_ashrrev_i32_e32 v1, 31, v7
	v_and_b32_e32 v0, v0, v4
	v_not_b32_e32 v4, v24
	v_xor_b32_e32 v3, s14, v3
	v_lshlrev_b32_e32 v5, 2, v35
	v_xor_b32_e32 v1, s15, v1
	v_cmp_gt_i32_e64 s14, 0, v2
	v_ashrrev_i32_e32 v2, 31, v4
	v_and_b32_e32 v0, v0, v3
	v_add_lshl_u32 v3, v5, v22, 2
	s_delay_alu instid0(VALU_DEP_3) | instskip(NEXT) | instid1(VALU_DEP_3)
	v_xor_b32_e32 v2, s14, v2
	v_and_b32_e32 v0, v0, v1
	ds_load_b32 v36, v3 offset:16
	v_add_nc_u32_e32 v38, 16, v3
	; wave barrier
	v_and_b32_e32 v0, v0, v2
	s_delay_alu instid0(VALU_DEP_1) | instskip(SKIP_1) | instid1(VALU_DEP_2)
	v_mbcnt_lo_u32_b32 v37, v0, 0
	v_cmp_ne_u32_e64 s15, 0, v0
	v_cmp_eq_u32_e64 s14, 0, v37
	s_delay_alu instid0(VALU_DEP_1) | instskip(NEXT) | instid1(SALU_CYCLE_1)
	s_and_b32 s15, s15, s14
	s_and_saveexec_b32 s14, s15
	s_cbranch_execz .LBB60_10
; %bb.9:                                ;   in Loop: Header=BB60_2 Depth=1
	s_waitcnt lgkmcnt(0)
	v_bcnt_u32_b32 v0, v0, v36
	ds_store_b32 v38, v0
.LBB60_10:                              ;   in Loop: Header=BB60_2 Depth=1
	s_or_b32 exec_lo, exec_lo, s14
	; wave barrier
	s_waitcnt lgkmcnt(0)
	s_barrier
	buffer_gl0_inv
	ds_load_2addr_b64 v[4:7], v17 offset0:2 offset1:3
	ds_load_2addr_b64 v[0:3], v18 offset0:2 offset1:3
	s_waitcnt lgkmcnt(1)
	v_add_nc_u32_e32 v39, v5, v4
	s_delay_alu instid0(VALU_DEP_1) | instskip(SKIP_1) | instid1(VALU_DEP_1)
	v_add3_u32 v39, v39, v6, v7
	s_waitcnt lgkmcnt(0)
	v_add3_u32 v39, v39, v0, v1
	s_delay_alu instid0(VALU_DEP_1) | instskip(NEXT) | instid1(VALU_DEP_1)
	v_add3_u32 v3, v39, v2, v3
	v_mov_b32_dpp v39, v3 row_shr:1 row_mask:0xf bank_mask:0xf
	s_delay_alu instid0(VALU_DEP_1) | instskip(NEXT) | instid1(VALU_DEP_1)
	v_cndmask_b32_e64 v39, v39, 0, s4
	v_add_nc_u32_e32 v3, v39, v3
	s_delay_alu instid0(VALU_DEP_1) | instskip(NEXT) | instid1(VALU_DEP_1)
	v_mov_b32_dpp v39, v3 row_shr:2 row_mask:0xf bank_mask:0xf
	v_cndmask_b32_e64 v39, 0, v39, s5
	s_delay_alu instid0(VALU_DEP_1) | instskip(NEXT) | instid1(VALU_DEP_1)
	v_add_nc_u32_e32 v3, v3, v39
	v_mov_b32_dpp v39, v3 row_shr:4 row_mask:0xf bank_mask:0xf
	s_delay_alu instid0(VALU_DEP_1) | instskip(NEXT) | instid1(VALU_DEP_1)
	v_cndmask_b32_e64 v39, 0, v39, s6
	v_add_nc_u32_e32 v3, v3, v39
	s_delay_alu instid0(VALU_DEP_1) | instskip(NEXT) | instid1(VALU_DEP_1)
	v_mov_b32_dpp v39, v3 row_shr:8 row_mask:0xf bank_mask:0xf
	v_cndmask_b32_e64 v39, 0, v39, s7
	s_delay_alu instid0(VALU_DEP_1) | instskip(SKIP_3) | instid1(VALU_DEP_1)
	v_add_nc_u32_e32 v3, v3, v39
	ds_swizzle_b32 v39, v3 offset:swizzle(BROADCAST,32,15)
	s_waitcnt lgkmcnt(0)
	v_cndmask_b32_e64 v39, v39, 0, s8
	v_add_nc_u32_e32 v3, v3, v39
	s_and_saveexec_b32 s14, s13
	s_cbranch_execz .LBB60_12
; %bb.11:                               ;   in Loop: Header=BB60_2 Depth=1
	ds_store_b32 v19, v3
.LBB60_12:                              ;   in Loop: Header=BB60_2 Depth=1
	s_or_b32 exec_lo, exec_lo, s14
	s_waitcnt lgkmcnt(0)
	s_barrier
	buffer_gl0_inv
	s_and_saveexec_b32 s14, s9
	s_cbranch_execz .LBB60_14
; %bb.13:                               ;   in Loop: Header=BB60_2 Depth=1
	ds_load_b32 v39, v23
	s_waitcnt lgkmcnt(0)
	v_mov_b32_dpp v40, v39 row_shr:1 row_mask:0xf bank_mask:0xf
	s_delay_alu instid0(VALU_DEP_1) | instskip(NEXT) | instid1(VALU_DEP_1)
	v_cndmask_b32_e64 v40, v40, 0, s3
	v_add_nc_u32_e32 v39, v40, v39
	s_delay_alu instid0(VALU_DEP_1) | instskip(NEXT) | instid1(VALU_DEP_1)
	v_mov_b32_dpp v40, v39 row_shr:2 row_mask:0xf bank_mask:0xf
	v_cndmask_b32_e64 v40, 0, v40, s12
	s_delay_alu instid0(VALU_DEP_1)
	v_add_nc_u32_e32 v39, v39, v40
	ds_store_b32 v23, v39
.LBB60_14:                              ;   in Loop: Header=BB60_2 Depth=1
	s_or_b32 exec_lo, exec_lo, s14
	v_mov_b32_e32 v39, 0
	s_waitcnt lgkmcnt(0)
	s_barrier
	buffer_gl0_inv
	s_and_saveexec_b32 s14, s10
	s_cbranch_execz .LBB60_1
; %bb.15:                               ;   in Loop: Header=BB60_2 Depth=1
	ds_load_b32 v39, v21
	s_branch .LBB60_1
.LBB60_16:
	s_add_u32 s0, s18, s20
	s_addc_u32 s1, s19, 0
	v_add_co_u32 v5, s0, s0, v8
	s_delay_alu instid0(VALU_DEP_1)
	v_add_co_ci_u32_e64 v6, null, s1, 0, s0
	s_clause 0x3
	global_store_b8 v[5:6], v1, off
	global_store_b8 v[5:6], v2, off offset:128
	global_store_b8 v[5:6], v4, off offset:256
	global_store_b8 v[5:6], v3, off offset:384
	s_nop 0
	s_sendmsg sendmsg(MSG_DEALLOC_VGPRS)
	s_endpgm
	.section	.rodata,"a",@progbits
	.p2align	6, 0x0
	.amdhsa_kernel _Z16sort_keys_kernelI22helper_blocked_blockedaLj128ELj4ELj10EEvPKT0_PS1_
		.amdhsa_group_segment_fixed_size 4112
		.amdhsa_private_segment_fixed_size 0
		.amdhsa_kernarg_size 272
		.amdhsa_user_sgpr_count 15
		.amdhsa_user_sgpr_dispatch_ptr 0
		.amdhsa_user_sgpr_queue_ptr 0
		.amdhsa_user_sgpr_kernarg_segment_ptr 1
		.amdhsa_user_sgpr_dispatch_id 0
		.amdhsa_user_sgpr_private_segment_size 0
		.amdhsa_wavefront_size32 1
		.amdhsa_uses_dynamic_stack 0
		.amdhsa_enable_private_segment 0
		.amdhsa_system_sgpr_workgroup_id_x 1
		.amdhsa_system_sgpr_workgroup_id_y 0
		.amdhsa_system_sgpr_workgroup_id_z 0
		.amdhsa_system_sgpr_workgroup_info 0
		.amdhsa_system_vgpr_workitem_id 2
		.amdhsa_next_free_vgpr 41
		.amdhsa_next_free_sgpr 21
		.amdhsa_reserve_vcc 1
		.amdhsa_float_round_mode_32 0
		.amdhsa_float_round_mode_16_64 0
		.amdhsa_float_denorm_mode_32 3
		.amdhsa_float_denorm_mode_16_64 3
		.amdhsa_dx10_clamp 1
		.amdhsa_ieee_mode 1
		.amdhsa_fp16_overflow 0
		.amdhsa_workgroup_processor_mode 1
		.amdhsa_memory_ordered 1
		.amdhsa_forward_progress 0
		.amdhsa_shared_vgpr_count 0
		.amdhsa_exception_fp_ieee_invalid_op 0
		.amdhsa_exception_fp_denorm_src 0
		.amdhsa_exception_fp_ieee_div_zero 0
		.amdhsa_exception_fp_ieee_overflow 0
		.amdhsa_exception_fp_ieee_underflow 0
		.amdhsa_exception_fp_ieee_inexact 0
		.amdhsa_exception_int_div_zero 0
	.end_amdhsa_kernel
	.section	.text._Z16sort_keys_kernelI22helper_blocked_blockedaLj128ELj4ELj10EEvPKT0_PS1_,"axG",@progbits,_Z16sort_keys_kernelI22helper_blocked_blockedaLj128ELj4ELj10EEvPKT0_PS1_,comdat
.Lfunc_end60:
	.size	_Z16sort_keys_kernelI22helper_blocked_blockedaLj128ELj4ELj10EEvPKT0_PS1_, .Lfunc_end60-_Z16sort_keys_kernelI22helper_blocked_blockedaLj128ELj4ELj10EEvPKT0_PS1_
                                        ; -- End function
	.section	.AMDGPU.csdata,"",@progbits
; Kernel info:
; codeLenInByte = 3752
; NumSgprs: 23
; NumVgprs: 41
; ScratchSize: 0
; MemoryBound: 0
; FloatMode: 240
; IeeeMode: 1
; LDSByteSize: 4112 bytes/workgroup (compile time only)
; SGPRBlocks: 2
; VGPRBlocks: 5
; NumSGPRsForWavesPerEU: 23
; NumVGPRsForWavesPerEU: 41
; Occupancy: 16
; WaveLimiterHint : 1
; COMPUTE_PGM_RSRC2:SCRATCH_EN: 0
; COMPUTE_PGM_RSRC2:USER_SGPR: 15
; COMPUTE_PGM_RSRC2:TRAP_HANDLER: 0
; COMPUTE_PGM_RSRC2:TGID_X_EN: 1
; COMPUTE_PGM_RSRC2:TGID_Y_EN: 0
; COMPUTE_PGM_RSRC2:TGID_Z_EN: 0
; COMPUTE_PGM_RSRC2:TIDIG_COMP_CNT: 2
	.section	.text._Z17sort_pairs_kernelI22helper_blocked_blockedaLj128ELj4ELj10EEvPKT0_PS1_,"axG",@progbits,_Z17sort_pairs_kernelI22helper_blocked_blockedaLj128ELj4ELj10EEvPKT0_PS1_,comdat
	.protected	_Z17sort_pairs_kernelI22helper_blocked_blockedaLj128ELj4ELj10EEvPKT0_PS1_ ; -- Begin function _Z17sort_pairs_kernelI22helper_blocked_blockedaLj128ELj4ELj10EEvPKT0_PS1_
	.globl	_Z17sort_pairs_kernelI22helper_blocked_blockedaLj128ELj4ELj10EEvPKT0_PS1_
	.p2align	8
	.type	_Z17sort_pairs_kernelI22helper_blocked_blockedaLj128ELj4ELj10EEvPKT0_PS1_,@function
_Z17sort_pairs_kernelI22helper_blocked_blockedaLj128ELj4ELj10EEvPKT0_PS1_: ; @_Z17sort_pairs_kernelI22helper_blocked_blockedaLj128ELj4ELj10EEvPKT0_PS1_
; %bb.0:
	s_clause 0x1
	s_load_b128 s[16:19], s[0:1], 0x0
	s_load_b32 s14, s[0:1], 0x1c
	s_lshl_b32 s20, s15, 9
	v_and_b32_e32 v8, 0x3ff, v0
	v_mbcnt_lo_u32_b32 v5, -1, 0
	v_bfe_u32 v7, v0, 10, 10
	v_bfe_u32 v0, v0, 20, 10
	s_delay_alu instid0(VALU_DEP_3)
	v_and_b32_e32 v6, 3, v5
	v_and_b32_e32 v19, 16, v5
	v_add_nc_u32_e32 v20, -1, v5
	v_and_b32_e32 v18, 15, v5
	v_cmp_eq_u32_e32 vcc_lo, 0, v5
	v_cmp_lt_u32_e64 s12, 1, v6
	v_cmp_eq_u32_e64 s8, 0, v19
	v_cmp_gt_i32_e64 s11, 0, v20
	v_cmp_eq_u32_e64 s4, 0, v18
	v_cmp_lt_u32_e64 s5, 1, v18
	v_cmp_lt_u32_e64 s6, 3, v18
	s_waitcnt lgkmcnt(0)
	s_add_u32 s0, s16, s20
	s_addc_u32 s1, s17, 0
	s_lshr_b32 s15, s14, 16
	s_clause 0x3
	global_load_u8 v2, v8, s[0:1]
	global_load_u8 v3, v8, s[0:1] offset:256
	global_load_u8 v1, v8, s[0:1] offset:128
	;; [unrolled: 1-line block ×3, first 2 shown]
	s_mov_b32 s0, 0
	v_mad_u32_u24 v7, v0, s15, v7
	s_mov_b32 s1, s0
	s_mov_b32 s3, s0
	;; [unrolled: 1-line block ×3, first 2 shown]
	v_mov_b32_e32 v10, s1
	v_dual_mov_b32 v12, s3 :: v_dual_and_b32 v13, 28, v5
	v_mov_b32_e32 v9, s0
	v_mov_b32_e32 v11, s2
	v_cmp_eq_u32_e64 s0, 3, v6
	v_cmp_eq_u32_e64 s1, 2, v6
	v_cmp_eq_u32_e64 s2, 1, v6
	v_cmp_eq_u32_e64 s3, 0, v6
	v_or_b32_e32 v19, 31, v8
	s_and_b32 s14, s14, 0xffff
	v_cndmask_b32_e64 v5, v20, v5, s11
	v_lshrrev_b32_e32 v20, 3, v8
	v_lshlrev_b32_e32 v17, 5, v8
	v_cmp_eq_u32_e64 s13, v19, v8
	v_mul_i32_i24_e32 v23, 0xffffffe4, v8
	v_or_b32_e32 v14, 32, v13
	v_or_b32_e32 v15, 64, v13
	;; [unrolled: 1-line block ×3, first 2 shown]
	v_cmp_lt_u32_e64 s7, 7, v18
	v_cmp_gt_u32_e64 s9, 4, v8
	v_cmp_lt_u32_e64 s10, 31, v8
	v_cmp_eq_u32_e64 s11, 0, v8
	v_or_b32_e32 v18, 16, v17
	v_add_nc_u32_e32 v23, v17, v23
	s_mov_b32 s16, 10
	s_waitcnt vmcnt(3)
	v_add_nc_u16 v6, v2, 1
	s_waitcnt vmcnt(2)
	v_add_nc_u16 v21, v3, 1
	s_waitcnt vmcnt(1)
	v_lshlrev_b16 v22, 8, v1
	s_waitcnt vmcnt(0)
	v_lshlrev_b16 v4, 8, v4
	v_and_b32_e32 v1, 0xff, v6
	v_and_b32_e32 v6, 0xff, v21
	s_delay_alu instid0(VALU_DEP_2) | instskip(NEXT) | instid1(VALU_DEP_2)
	v_or_b32_e32 v19, v22, v1
	v_or_b32_e32 v6, v4, v6
	v_mad_u64_u32 v[0:1], null, v7, s14, v[8:9]
	v_or_b32_e32 v1, v2, v22
	v_or_b32_e32 v2, v3, v4
	v_add_nc_u16 v3, v19, 0x100
	v_add_nc_u16 v4, v6, 0x100
	v_and_b32_e32 v19, 12, v20
	v_and_b32_e32 v1, 0xffff, v1
	v_lshlrev_b32_e32 v2, 16, v2
	v_and_b32_e32 v3, 0xffff, v3
	v_lshlrev_b32_e32 v6, 16, v4
	v_lshlrev_b32_e32 v20, 2, v5
	v_add_nc_u32_e32 v21, -4, v19
	v_lshrrev_b32_e32 v22, 5, v0
	v_or_b32_e32 v4, v1, v2
	v_or_b32_e32 v0, v3, v6
	s_branch .LBB61_2
.LBB61_1:                               ;   in Loop: Header=BB61_2 Depth=1
	s_or_b32 exec_lo, exec_lo, s14
	v_perm_b32 v36, v36, v30, 0x3020104
	s_waitcnt lgkmcnt(0)
	v_add_nc_u32_e32 v3, v55, v3
	s_add_i32 s16, s16, -1
	s_delay_alu instid0(SALU_CYCLE_1) | instskip(SKIP_4) | instid1(VALU_DEP_1)
	s_cmp_eq_u32 s16, 0
	v_cndmask_b32_e64 v30, v30, v36, s2
	ds_bpermute_b32 v3, v20, v3
	v_and_b32_e32 v26, 0xff, v26
	v_perm_b32 v35, v35, v30, 0x3020104
	v_cndmask_b32_e64 v30, v30, v35, s1
	s_delay_alu instid0(VALU_DEP_1) | instskip(NEXT) | instid1(VALU_DEP_1)
	v_perm_b32 v34, v34, v30, 0x3020104
	v_cndmask_b32_e64 v30, v30, v34, s0
	s_waitcnt lgkmcnt(0)
	v_cndmask_b32_e32 v3, v3, v55, vcc_lo
	s_delay_alu instid0(VALU_DEP_2) | instskip(NEXT) | instid1(VALU_DEP_2)
	v_perm_b32 v31, v30, v31, 0x7060004
	v_cndmask_b32_e64 v3, v3, 0, s11
	s_delay_alu instid0(VALU_DEP_2) | instskip(NEXT) | instid1(VALU_DEP_2)
	v_cndmask_b32_e64 v30, v30, v31, s3
	v_add_nc_u32_e32 v4, v3, v4
	s_delay_alu instid0(VALU_DEP_2) | instskip(NEXT) | instid1(VALU_DEP_2)
	v_perm_b32 v31, v30, v32, 0x7060004
	v_add_nc_u32_e32 v5, v4, v5
	s_delay_alu instid0(VALU_DEP_2) | instskip(NEXT) | instid1(VALU_DEP_2)
	v_cndmask_b32_e64 v30, v30, v31, s2
	v_add_nc_u32_e32 v6, v5, v6
	s_delay_alu instid0(VALU_DEP_2) | instskip(NEXT) | instid1(VALU_DEP_1)
	v_perm_b32 v29, v30, v29, 0x7060004
	v_cndmask_b32_e64 v29, v30, v29, s1
	s_delay_alu instid0(VALU_DEP_1) | instskip(NEXT) | instid1(VALU_DEP_1)
	v_perm_b32 v28, v29, v28, 0x7060004
	v_cndmask_b32_e64 v28, v29, v28, s0
	s_delay_alu instid0(VALU_DEP_1) | instskip(NEXT) | instid1(VALU_DEP_1)
	v_lshrrev_b32_e32 v29, 16, v28
	v_and_b32_e32 v29, 0xffffff00, v29
	s_delay_alu instid0(VALU_DEP_1) | instskip(SKIP_1) | instid1(VALU_DEP_2)
	v_or_b32_e32 v26, v26, v29
	v_and_b32_e32 v29, 0xff, v43
	v_lshlrev_b32_e32 v26, 16, v26
	s_delay_alu instid0(VALU_DEP_1) | instskip(NEXT) | instid1(VALU_DEP_1)
	v_and_or_b32 v26, 0xffff, v28, v26
	v_cndmask_b32_e64 v26, v28, v26, s3
	s_delay_alu instid0(VALU_DEP_1) | instskip(NEXT) | instid1(VALU_DEP_1)
	v_lshrrev_b32_e32 v28, 16, v26
	v_and_b32_e32 v28, 0xffffff00, v28
	s_delay_alu instid0(VALU_DEP_1) | instskip(SKIP_1) | instid1(VALU_DEP_2)
	v_or_b32_e32 v28, v29, v28
	v_and_b32_e32 v29, 0xff, v42
	v_lshlrev_b32_e32 v28, 16, v28
	s_delay_alu instid0(VALU_DEP_1) | instskip(NEXT) | instid1(VALU_DEP_1)
	v_and_or_b32 v28, 0xffff, v26, v28
	;; [unrolled: 10-line block ×3, first 2 shown]
	v_cndmask_b32_e64 v26, v26, v28, s1
	s_delay_alu instid0(VALU_DEP_1) | instskip(NEXT) | instid1(VALU_DEP_1)
	v_lshrrev_b32_e32 v28, 16, v26
	v_and_b32_e32 v28, 0xffffff00, v28
	s_delay_alu instid0(VALU_DEP_1) | instskip(SKIP_1) | instid1(VALU_DEP_2)
	v_or_b32_e32 v28, v29, v28
	v_lshlrev_b16 v29, 8, v40
	v_lshlrev_b32_e32 v28, 16, v28
	s_delay_alu instid0(VALU_DEP_1) | instskip(NEXT) | instid1(VALU_DEP_1)
	v_and_or_b32 v28, 0xffff, v26, v28
	v_cndmask_b32_e64 v26, v26, v28, s0
	s_delay_alu instid0(VALU_DEP_1) | instskip(NEXT) | instid1(VALU_DEP_1)
	v_lshrrev_b32_e32 v28, 16, v26
	v_and_b32_e32 v28, 0xff, v28
	s_delay_alu instid0(VALU_DEP_1) | instskip(NEXT) | instid1(VALU_DEP_1)
	v_or_b32_e32 v28, v28, v29
	v_lshlrev_b32_e32 v28, 16, v28
	s_delay_alu instid0(VALU_DEP_1) | instskip(NEXT) | instid1(VALU_DEP_1)
	v_and_or_b32 v28, 0xffff, v26, v28
	v_cndmask_b32_e64 v26, v26, v28, s3
	v_add_nc_u32_e32 v28, v6, v7
	v_lshlrev_b16 v7, 8, v38
	s_delay_alu instid0(VALU_DEP_3) | instskip(NEXT) | instid1(VALU_DEP_1)
	v_lshrrev_b32_e32 v29, 16, v26
	v_and_b32_e32 v30, 0xff, v29
	s_delay_alu instid0(VALU_DEP_4) | instskip(NEXT) | instid1(VALU_DEP_2)
	v_add_nc_u32_e32 v29, v28, v0
	v_or_b32_e32 v7, v30, v7
	s_delay_alu instid0(VALU_DEP_2) | instskip(NEXT) | instid1(VALU_DEP_2)
	v_add_nc_u32_e32 v0, v29, v1
	v_lshlrev_b32_e32 v7, 16, v7
	s_delay_alu instid0(VALU_DEP_2)
	v_add_nc_u32_e32 v1, v0, v2
	ds_store_2addr_b64 v17, v[3:4], v[5:6] offset0:2 offset1:3
	ds_store_2addr_b64 v18, v[28:29], v[0:1] offset0:2 offset1:3
	v_and_or_b32 v2, 0xffff, v26, v7
	s_waitcnt lgkmcnt(0)
	s_barrier
	buffer_gl0_inv
	v_lshlrev_b16 v6, 8, v27
	v_cndmask_b32_e64 v0, v26, v2, s2
	ds_load_b32 v1, v37
	ds_load_b32 v2, v46
	;; [unrolled: 1-line block ×4, first 2 shown]
	s_waitcnt lgkmcnt(0)
	s_barrier
	buffer_gl0_inv
	v_lshrrev_b32_e32 v5, 16, v0
	s_delay_alu instid0(VALU_DEP_1) | instskip(NEXT) | instid1(VALU_DEP_1)
	v_and_b32_e32 v5, 0xff, v5
	v_or_b32_e32 v5, v5, v6
	v_add_nc_u32_e32 v6, v1, v33
	v_add3_u32 v7, v45, v44, v2
	s_delay_alu instid0(VALU_DEP_3)
	v_lshlrev_b32_e32 v5, 16, v5
	v_add3_u32 v26, v49, v48, v3
	v_add3_u32 v4, v53, v52, v4
	ds_store_b8 v6, v24
	ds_store_b8 v7, v39
	;; [unrolled: 1-line block ×4, first 2 shown]
	v_and_or_b32 v1, 0xffff, v0, v5
	s_waitcnt lgkmcnt(0)
	s_barrier
	buffer_gl0_inv
	v_lshlrev_b16 v3, 8, v25
	v_cndmask_b32_e64 v0, v0, v1, s1
	ds_load_b32 v1, v23
	s_waitcnt lgkmcnt(0)
	s_barrier
	buffer_gl0_inv
	v_lshrrev_b32_e32 v2, 16, v0
	s_delay_alu instid0(VALU_DEP_1) | instskip(NEXT) | instid1(VALU_DEP_1)
	v_and_b32_e32 v2, 0xff, v2
	v_or_b32_e32 v2, v2, v3
	s_delay_alu instid0(VALU_DEP_1)
	v_lshlrev_b32_e32 v2, 16, v2
	v_lshrrev_b32_e32 v3, 8, v1
	v_lshrrev_b32_e32 v24, 24, v1
	;; [unrolled: 1-line block ×3, first 2 shown]
	v_xor_b32_e32 v5, 0xffffff80, v1
	v_and_or_b32 v2, 0xffff, v0, v2
	v_xor_b32_e32 v1, 0xffffff80, v3
	s_delay_alu instid0(VALU_DEP_4) | instskip(NEXT) | instid1(VALU_DEP_3)
	v_xor_b32_e32 v3, 0xffffff80, v25
	v_cndmask_b32_e64 v0, v0, v2, s0
	v_xor_b32_e32 v2, 0xffffff80, v24
	v_and_b32_e32 v24, 0xff, v5
	v_lshlrev_b16 v25, 8, v1
	v_and_b32_e32 v30, 0xff, v3
	v_lshrrev_b32_e32 v27, 8, v0
	v_lshrrev_b32_e32 v29, 24, v0
	v_lshlrev_b16 v28, 8, v2
	ds_store_b8 v6, v0
	ds_store_b8 v7, v27
	ds_store_b8_d16_hi v26, v0
	ds_store_b8 v4, v29
	s_waitcnt lgkmcnt(0)
	s_barrier
	buffer_gl0_inv
	ds_load_b32 v0, v23
	v_or_b32_e32 v4, v24, v25
	v_or_b32_e32 v6, v30, v28
	s_delay_alu instid0(VALU_DEP_2) | instskip(NEXT) | instid1(VALU_DEP_2)
	v_and_b32_e32 v4, 0xffff, v4
	v_lshlrev_b32_e32 v6, 16, v6
	s_delay_alu instid0(VALU_DEP_1)
	v_or_b32_e32 v4, v4, v6
	s_cbranch_scc1 .LBB61_16
.LBB61_2:                               ; =>This Inner Loop Header: Depth=1
	s_delay_alu instid0(VALU_DEP_1) | instskip(SKIP_3) | instid1(VALU_DEP_4)
	v_lshrrev_b32_e32 v1, 8, v4
	v_xor_b32_e32 v2, 0x80, v4
	v_lshrrev_b32_e32 v3, 16, v4
	v_lshrrev_b32_e32 v4, 24, v4
	v_xor_b32_e32 v1, 0x80, v1
	s_delay_alu instid0(VALU_DEP_4) | instskip(NEXT) | instid1(VALU_DEP_4)
	v_and_b32_e32 v2, 0xff, v2
	v_xor_b32_e32 v3, 0x80, v3
	s_delay_alu instid0(VALU_DEP_4)
	v_xor_b32_e32 v4, 0x80, v4
	s_waitcnt lgkmcnt(0)
	s_barrier
	v_and_b32_e32 v1, 0xff, v1
	ds_bpermute_b32 v5, v13, v2
	v_and_b32_e32 v3, 0xff, v3
	v_and_b32_e32 v4, 0xffff, v4
	s_waitcnt lgkmcnt(0)
	buffer_gl0_inv
	ds_bpermute_b32 v6, v13, v1
	ds_store_2addr_b64 v17, v[9:10], v[11:12] offset0:2 offset1:3
	ds_store_2addr_b64 v18, v[9:10], v[11:12] offset0:2 offset1:3
	ds_bpermute_b32 v7, v13, v3
	ds_bpermute_b32 v24, v13, v4
	s_waitcnt lgkmcnt(0)
	s_barrier
	buffer_gl0_inv
	; wave barrier
	v_perm_b32 v6, v6, v5, 0x3020104
	s_delay_alu instid0(VALU_DEP_1) | instskip(SKIP_2) | instid1(VALU_DEP_1)
	v_cndmask_b32_e64 v5, v5, v6, s2
	ds_bpermute_b32 v6, v14, v2
	v_perm_b32 v7, v7, v5, 0x3020104
	v_cndmask_b32_e64 v5, v5, v7, s1
	s_delay_alu instid0(VALU_DEP_1) | instskip(SKIP_4) | instid1(VALU_DEP_2)
	v_perm_b32 v7, v24, v5, 0x3020104
	ds_bpermute_b32 v24, v14, v1
	v_cndmask_b32_e64 v5, v5, v7, s0
	s_waitcnt lgkmcnt(1)
	v_lshlrev_b16 v6, 8, v6
	v_and_b32_e32 v7, 0xff, v5
	s_delay_alu instid0(VALU_DEP_1) | instskip(NEXT) | instid1(VALU_DEP_1)
	v_or_b32_e32 v6, v7, v6
	v_and_b32_e32 v6, 0xffff, v6
	s_delay_alu instid0(VALU_DEP_1) | instskip(NEXT) | instid1(VALU_DEP_1)
	v_and_or_b32 v6, 0xffff0000, v5, v6
	v_cndmask_b32_e64 v5, v5, v6, s3
	s_waitcnt lgkmcnt(0)
	v_lshlrev_b16 v6, 8, v24
	ds_bpermute_b32 v24, v14, v3
	v_and_b32_e32 v7, 0xff, v5
	s_delay_alu instid0(VALU_DEP_1) | instskip(NEXT) | instid1(VALU_DEP_1)
	v_or_b32_e32 v6, v7, v6
	v_and_b32_e32 v6, 0xffff, v6
	s_delay_alu instid0(VALU_DEP_1) | instskip(NEXT) | instid1(VALU_DEP_1)
	v_and_or_b32 v6, 0xffff0000, v5, v6
	v_cndmask_b32_e64 v5, v5, v6, s2
	s_waitcnt lgkmcnt(0)
	v_lshlrev_b16 v6, 8, v24
	ds_bpermute_b32 v24, v14, v4
	v_and_b32_e32 v7, 0xff, v5
	s_delay_alu instid0(VALU_DEP_1) | instskip(NEXT) | instid1(VALU_DEP_1)
	v_or_b32_e32 v6, v7, v6
	v_and_b32_e32 v6, 0xffff, v6
	s_delay_alu instid0(VALU_DEP_1) | instskip(NEXT) | instid1(VALU_DEP_1)
	v_and_or_b32 v6, 0xffff0000, v5, v6
	v_cndmask_b32_e64 v5, v5, v6, s1
	s_waitcnt lgkmcnt(0)
	v_lshlrev_b16 v6, 8, v24
	s_delay_alu instid0(VALU_DEP_2) | instskip(NEXT) | instid1(VALU_DEP_1)
	v_and_b32_e32 v7, 0xff, v5
	v_or_b32_e32 v6, v7, v6
	ds_bpermute_b32 v7, v15, v2
	ds_bpermute_b32 v2, v16, v2
	v_and_b32_e32 v6, 0xffff, v6
	s_delay_alu instid0(VALU_DEP_1) | instskip(NEXT) | instid1(VALU_DEP_1)
	v_and_or_b32 v6, 0xffff0000, v5, v6
	v_cndmask_b32_e64 v5, v5, v6, s0
	s_delay_alu instid0(VALU_DEP_1)
	v_lshrrev_b32_e32 v6, 16, v5
	s_waitcnt lgkmcnt(1)
	v_and_b32_e32 v7, 0xff, v7
	s_waitcnt lgkmcnt(0)
	v_lshlrev_b16 v2, 8, v2
	v_and_b32_e32 v6, 0xffffff00, v6
	s_delay_alu instid0(VALU_DEP_1) | instskip(SKIP_3) | instid1(VALU_DEP_1)
	v_or_b32_e32 v6, v7, v6
	ds_bpermute_b32 v7, v15, v1
	ds_bpermute_b32 v1, v16, v1
	v_lshlrev_b32_e32 v6, 16, v6
	v_and_or_b32 v6, 0xffff, v5, v6
	s_delay_alu instid0(VALU_DEP_1) | instskip(NEXT) | instid1(VALU_DEP_1)
	v_cndmask_b32_e64 v5, v5, v6, s3
	v_lshrrev_b32_e32 v6, 16, v5
	s_waitcnt lgkmcnt(1)
	v_and_b32_e32 v7, 0xff, v7
	s_waitcnt lgkmcnt(0)
	v_lshlrev_b16 v1, 8, v1
	v_and_b32_e32 v6, 0xffffff00, v6
	s_delay_alu instid0(VALU_DEP_1) | instskip(SKIP_3) | instid1(VALU_DEP_1)
	v_or_b32_e32 v6, v7, v6
	ds_bpermute_b32 v7, v15, v3
	ds_bpermute_b32 v3, v16, v3
	v_lshlrev_b32_e32 v6, 16, v6
	v_and_or_b32 v6, 0xffff, v5, v6
	s_delay_alu instid0(VALU_DEP_1) | instskip(NEXT) | instid1(VALU_DEP_1)
	v_cndmask_b32_e64 v5, v5, v6, s2
	v_lshrrev_b32_e32 v6, 16, v5
	s_waitcnt lgkmcnt(1)
	v_and_b32_e32 v7, 0xff, v7
	s_waitcnt lgkmcnt(0)
	v_lshlrev_b16 v3, 8, v3
	v_and_b32_e32 v6, 0xffffff00, v6
	s_delay_alu instid0(VALU_DEP_1) | instskip(SKIP_2) | instid1(VALU_DEP_1)
	v_or_b32_e32 v6, v7, v6
	ds_bpermute_b32 v7, v15, v4
	v_lshlrev_b32_e32 v6, 16, v6
	v_and_or_b32 v6, 0xffff, v5, v6
	s_delay_alu instid0(VALU_DEP_1) | instskip(NEXT) | instid1(VALU_DEP_1)
	v_cndmask_b32_e64 v5, v5, v6, s1
	v_lshrrev_b32_e32 v6, 16, v5
	s_waitcnt lgkmcnt(0)
	v_and_b32_e32 v7, 0xff, v7
	s_delay_alu instid0(VALU_DEP_2) | instskip(NEXT) | instid1(VALU_DEP_1)
	v_and_b32_e32 v6, 0xffffff00, v6
	v_or_b32_e32 v6, v7, v6
	s_delay_alu instid0(VALU_DEP_1) | instskip(NEXT) | instid1(VALU_DEP_1)
	v_lshlrev_b32_e32 v6, 16, v6
	v_and_or_b32 v6, 0xffff, v5, v6
	s_delay_alu instid0(VALU_DEP_1) | instskip(NEXT) | instid1(VALU_DEP_1)
	v_cndmask_b32_e64 v5, v5, v6, s0
	v_lshrrev_b32_e32 v6, 16, v5
	s_delay_alu instid0(VALU_DEP_1) | instskip(NEXT) | instid1(VALU_DEP_1)
	v_and_b32_e32 v6, 0xff, v6
	v_or_b32_e32 v2, v6, v2
	s_delay_alu instid0(VALU_DEP_1) | instskip(NEXT) | instid1(VALU_DEP_1)
	v_lshlrev_b32_e32 v2, 16, v2
	v_and_or_b32 v2, 0xffff, v5, v2
	s_delay_alu instid0(VALU_DEP_1) | instskip(NEXT) | instid1(VALU_DEP_1)
	v_cndmask_b32_e64 v2, v5, v2, s3
	v_lshrrev_b32_e32 v5, 16, v2
	s_delay_alu instid0(VALU_DEP_1) | instskip(NEXT) | instid1(VALU_DEP_1)
	v_and_b32_e32 v5, 0xff, v5
	v_or_b32_e32 v1, v5, v1
	v_bfe_u32 v5, v0, 16, 8
	s_delay_alu instid0(VALU_DEP_2) | instskip(SKIP_4) | instid1(VALU_DEP_1)
	v_lshlrev_b32_e32 v1, 16, v1
	ds_bpermute_b32 v35, v13, v5
	ds_bpermute_b32 v29, v14, v5
	;; [unrolled: 1-line block ×3, first 2 shown]
	v_and_or_b32 v1, 0xffff, v2, v1
	v_cndmask_b32_e64 v1, v2, v1, s2
	s_delay_alu instid0(VALU_DEP_1) | instskip(NEXT) | instid1(VALU_DEP_1)
	v_lshrrev_b32_e32 v2, 16, v1
	v_and_b32_e32 v2, 0xff, v2
	s_delay_alu instid0(VALU_DEP_1)
	v_or_b32_e32 v2, v2, v3
	ds_bpermute_b32 v3, v16, v4
	v_bfe_u32 v4, v0, 8, 8
	v_lshlrev_b32_e32 v2, 16, v2
	ds_bpermute_b32 v36, v13, v4
	ds_bpermute_b32 v32, v14, v4
	;; [unrolled: 1-line block ×3, first 2 shown]
	v_and_or_b32 v2, 0xffff, v1, v2
	s_delay_alu instid0(VALU_DEP_1) | instskip(NEXT) | instid1(VALU_DEP_1)
	v_cndmask_b32_e64 v1, v1, v2, s1
	v_lshrrev_b32_e32 v2, 16, v1
	s_waitcnt lgkmcnt(3)
	v_lshlrev_b16 v3, 8, v3
	s_delay_alu instid0(VALU_DEP_2) | instskip(NEXT) | instid1(VALU_DEP_1)
	v_and_b32_e32 v2, 0xff, v2
	v_or_b32_e32 v2, v2, v3
	v_and_b32_e32 v3, 0xff, v0
	v_lshrrev_b32_e32 v0, 24, v0
	s_delay_alu instid0(VALU_DEP_3)
	v_lshlrev_b32_e32 v2, 16, v2
	ds_bpermute_b32 v30, v13, v3
	ds_bpermute_b32 v31, v14, v3
	;; [unrolled: 1-line block ×4, first 2 shown]
	v_and_or_b32 v2, 0xffff, v1, v2
	ds_bpermute_b32 v34, v13, v0
	ds_bpermute_b32 v28, v14, v0
	;; [unrolled: 1-line block ×3, first 2 shown]
	v_cndmask_b32_e64 v24, v1, v2, s0
	s_delay_alu instid0(VALU_DEP_1)
	v_and_b32_e32 v1, 1, v24
	v_lshlrev_b32_e32 v2, 30, v24
	v_lshlrev_b32_e32 v6, 29, v24
	;; [unrolled: 1-line block ×4, first 2 shown]
	v_add_co_u32 v1, s14, v1, -1
	s_delay_alu instid0(VALU_DEP_1)
	v_cndmask_b32_e64 v25, 0, 1, s14
	v_not_b32_e32 v38, v2
	v_cmp_gt_i32_e64 s15, 0, v2
	v_not_b32_e32 v2, v6
	v_lshlrev_b32_e32 v33, 26, v24
	v_cmp_ne_u32_e64 s14, 0, v25
	v_ashrrev_i32_e32 v38, 31, v38
	v_lshlrev_b32_e32 v37, 25, v24
	v_ashrrev_i32_e32 v2, 31, v2
	v_lshlrev_b32_e32 v25, 24, v24
	v_xor_b32_e32 v1, s14, v1
	v_cmp_gt_i32_e64 s14, 0, v6
	v_not_b32_e32 v6, v7
	v_xor_b32_e32 v38, s15, v38
	v_cmp_gt_i32_e64 s15, 0, v7
	v_and_b32_e32 v1, exec_lo, v1
	v_not_b32_e32 v7, v27
	v_ashrrev_i32_e32 v6, 31, v6
	v_xor_b32_e32 v2, s14, v2
	v_cmp_gt_i32_e64 s14, 0, v27
	v_and_b32_e32 v1, v1, v38
	v_not_b32_e32 v27, v33
	v_ashrrev_i32_e32 v7, 31, v7
	v_xor_b32_e32 v6, s15, v6
	v_cmp_gt_i32_e64 s15, 0, v33
	v_and_b32_e32 v1, v1, v2
	;; [unrolled: 5-line block ×4, first 2 shown]
	v_ashrrev_i32_e32 v6, 31, v6
	v_xor_b32_e32 v2, s14, v2
	ds_bpermute_b32 v38, v16, v4
	ds_bpermute_b32 v25, v16, v0
	v_and_b32_e32 v1, v1, v27
	v_xor_b32_e32 v3, s15, v6
	ds_bpermute_b32 v27, v16, v5
	v_and_b32_e32 v1, v1, v2
	s_delay_alu instid0(VALU_DEP_1) | instskip(SKIP_1) | instid1(VALU_DEP_2)
	v_and_b32_e32 v0, v1, v3
	v_and_b32_e32 v1, 0xff, v24
	v_mbcnt_lo_u32_b32 v33, v0, 0
	s_delay_alu instid0(VALU_DEP_2) | instskip(SKIP_1) | instid1(VALU_DEP_3)
	v_lshl_add_u32 v1, v1, 2, v22
	v_cmp_ne_u32_e64 s15, 0, v0
	v_cmp_eq_u32_e64 s14, 0, v33
	s_delay_alu instid0(VALU_DEP_3) | instskip(NEXT) | instid1(VALU_DEP_2)
	v_lshl_add_u32 v37, v1, 2, 16
	s_and_b32 s15, s15, s14
	s_delay_alu instid0(SALU_CYCLE_1)
	s_and_saveexec_b32 s14, s15
	s_cbranch_execz .LBB61_4
; %bb.3:                                ;   in Loop: Header=BB61_2 Depth=1
	v_bcnt_u32_b32 v0, v0, 0
	ds_store_b32 v37, v0
.LBB61_4:                               ;   in Loop: Header=BB61_2 Depth=1
	s_or_b32 exec_lo, exec_lo, s14
	v_bfe_u32 v0, v24, 8, 1
	v_lshrrev_b32_e32 v39, 8, v24
	; wave barrier
	s_delay_alu instid0(VALU_DEP_2) | instskip(NEXT) | instid1(VALU_DEP_1)
	v_add_co_u32 v0, s14, v0, -1
	v_cndmask_b32_e64 v1, 0, 1, s14
	s_delay_alu instid0(VALU_DEP_3)
	v_lshlrev_b32_e32 v2, 30, v39
	v_lshlrev_b32_e32 v3, 29, v39
	;; [unrolled: 1-line block ×4, first 2 shown]
	v_cmp_ne_u32_e64 s14, 0, v1
	v_not_b32_e32 v1, v2
	v_cmp_gt_i32_e64 s15, 0, v2
	v_not_b32_e32 v2, v3
	v_lshlrev_b32_e32 v6, 26, v39
	v_xor_b32_e32 v0, s14, v0
	v_ashrrev_i32_e32 v1, 31, v1
	v_cmp_gt_i32_e64 s14, 0, v3
	v_not_b32_e32 v3, v4
	v_ashrrev_i32_e32 v2, 31, v2
	v_and_b32_e32 v0, exec_lo, v0
	v_xor_b32_e32 v1, s15, v1
	v_cmp_gt_i32_e64 s15, 0, v4
	v_not_b32_e32 v4, v5
	v_ashrrev_i32_e32 v3, 31, v3
	v_xor_b32_e32 v2, s14, v2
	v_and_b32_e32 v0, v0, v1
	v_cmp_gt_i32_e64 s14, 0, v5
	v_not_b32_e32 v1, v6
	v_ashrrev_i32_e32 v4, 31, v4
	v_xor_b32_e32 v3, s15, v3
	v_and_b32_e32 v0, v0, v2
	v_lshlrev_b32_e32 v2, 25, v39
	v_cmp_gt_i32_e64 s15, 0, v6
	v_ashrrev_i32_e32 v1, 31, v1
	v_xor_b32_e32 v4, s14, v4
	v_and_b32_e32 v0, v0, v3
	v_not_b32_e32 v5, v2
	v_lshlrev_b32_e32 v6, 24, v39
	v_lshrrev_b32_e32 v3, 6, v24
	v_xor_b32_e32 v1, s15, v1
	v_and_b32_e32 v0, v0, v4
	v_cmp_gt_i32_e64 s14, 0, v2
	v_ashrrev_i32_e32 v2, 31, v5
	v_not_b32_e32 v4, v6
	v_and_b32_e32 v3, 0x3fc, v3
	v_and_b32_e32 v0, v0, v1
	s_delay_alu instid0(VALU_DEP_4) | instskip(SKIP_3) | instid1(VALU_DEP_4)
	v_xor_b32_e32 v1, s14, v2
	v_cmp_gt_i32_e64 s14, 0, v6
	v_ashrrev_i32_e32 v2, 31, v4
	v_add_lshl_u32 v3, v22, v3, 2
	v_and_b32_e32 v0, v0, v1
	s_delay_alu instid0(VALU_DEP_3) | instskip(SKIP_3) | instid1(VALU_DEP_1)
	v_xor_b32_e32 v1, s14, v2
	ds_load_b32 v44, v3 offset:16
	v_add_nc_u32_e32 v46, 16, v3
	; wave barrier
	v_and_b32_e32 v0, v0, v1
	v_mbcnt_lo_u32_b32 v45, v0, 0
	v_cmp_ne_u32_e64 s15, 0, v0
	s_delay_alu instid0(VALU_DEP_2) | instskip(NEXT) | instid1(VALU_DEP_1)
	v_cmp_eq_u32_e64 s14, 0, v45
	s_and_b32 s15, s15, s14
	s_delay_alu instid0(SALU_CYCLE_1)
	s_and_saveexec_b32 s14, s15
	s_cbranch_execz .LBB61_6
; %bb.5:                                ;   in Loop: Header=BB61_2 Depth=1
	s_waitcnt lgkmcnt(0)
	v_bcnt_u32_b32 v0, v0, v44
	ds_store_b32 v46, v0
.LBB61_6:                               ;   in Loop: Header=BB61_2 Depth=1
	s_or_b32 exec_lo, exec_lo, s14
	v_bfe_u32 v0, v24, 16, 1
	v_lshrrev_b32_e32 v47, 16, v24
	; wave barrier
	s_delay_alu instid0(VALU_DEP_2) | instskip(NEXT) | instid1(VALU_DEP_1)
	v_add_co_u32 v0, s14, v0, -1
	v_cndmask_b32_e64 v1, 0, 1, s14
	s_delay_alu instid0(VALU_DEP_3)
	v_lshlrev_b32_e32 v2, 30, v47
	v_lshlrev_b32_e32 v3, 29, v47
	;; [unrolled: 1-line block ×4, first 2 shown]
	v_cmp_ne_u32_e64 s14, 0, v1
	v_not_b32_e32 v1, v2
	v_cmp_gt_i32_e64 s15, 0, v2
	v_not_b32_e32 v2, v3
	v_lshlrev_b32_e32 v6, 26, v47
	v_xor_b32_e32 v0, s14, v0
	v_ashrrev_i32_e32 v1, 31, v1
	v_cmp_gt_i32_e64 s14, 0, v3
	v_not_b32_e32 v3, v4
	v_ashrrev_i32_e32 v2, 31, v2
	v_and_b32_e32 v0, exec_lo, v0
	v_xor_b32_e32 v1, s15, v1
	v_cmp_gt_i32_e64 s15, 0, v4
	v_not_b32_e32 v4, v5
	v_ashrrev_i32_e32 v3, 31, v3
	v_xor_b32_e32 v2, s14, v2
	v_and_b32_e32 v0, v0, v1
	v_cmp_gt_i32_e64 s14, 0, v5
	v_not_b32_e32 v1, v6
	v_ashrrev_i32_e32 v4, 31, v4
	v_xor_b32_e32 v3, s15, v3
	v_and_b32_e32 v0, v0, v2
	v_lshlrev_b32_e32 v2, 25, v47
	v_cmp_gt_i32_e64 s15, 0, v6
	v_ashrrev_i32_e32 v1, 31, v1
	v_xor_b32_e32 v4, s14, v4
	v_and_b32_e32 v0, v0, v3
	v_not_b32_e32 v5, v2
	v_lshlrev_b32_e32 v6, 24, v47
	v_lshrrev_b32_e32 v3, 14, v24
	v_xor_b32_e32 v1, s15, v1
	v_and_b32_e32 v0, v0, v4
	v_cmp_gt_i32_e64 s14, 0, v2
	v_ashrrev_i32_e32 v2, 31, v5
	v_not_b32_e32 v4, v6
	v_and_b32_e32 v3, 0x3fc, v3
	v_and_b32_e32 v0, v0, v1
	s_delay_alu instid0(VALU_DEP_4) | instskip(SKIP_3) | instid1(VALU_DEP_4)
	v_xor_b32_e32 v1, s14, v2
	v_cmp_gt_i32_e64 s14, 0, v6
	v_ashrrev_i32_e32 v2, 31, v4
	v_add_lshl_u32 v3, v22, v3, 2
	v_and_b32_e32 v0, v0, v1
	s_delay_alu instid0(VALU_DEP_3) | instskip(SKIP_3) | instid1(VALU_DEP_1)
	v_xor_b32_e32 v1, s14, v2
	ds_load_b32 v48, v3 offset:16
	v_add_nc_u32_e32 v50, 16, v3
	; wave barrier
	v_and_b32_e32 v0, v0, v1
	v_mbcnt_lo_u32_b32 v49, v0, 0
	v_cmp_ne_u32_e64 s15, 0, v0
	s_delay_alu instid0(VALU_DEP_2) | instskip(NEXT) | instid1(VALU_DEP_1)
	v_cmp_eq_u32_e64 s14, 0, v49
	s_and_b32 s15, s15, s14
	s_delay_alu instid0(SALU_CYCLE_1)
	s_and_saveexec_b32 s14, s15
	s_cbranch_execz .LBB61_8
; %bb.7:                                ;   in Loop: Header=BB61_2 Depth=1
	s_waitcnt lgkmcnt(0)
	v_bcnt_u32_b32 v0, v0, v48
	ds_store_b32 v50, v0
.LBB61_8:                               ;   in Loop: Header=BB61_2 Depth=1
	s_or_b32 exec_lo, exec_lo, s14
	v_bfe_u32 v0, v24, 24, 1
	v_lshrrev_b32_e32 v51, 24, v24
	; wave barrier
	s_delay_alu instid0(VALU_DEP_2) | instskip(NEXT) | instid1(VALU_DEP_1)
	v_add_co_u32 v0, s14, v0, -1
	v_cndmask_b32_e64 v1, 0, 1, s14
	s_delay_alu instid0(VALU_DEP_3)
	v_lshlrev_b32_e32 v2, 30, v51
	v_lshlrev_b32_e32 v3, 29, v51
	;; [unrolled: 1-line block ×4, first 2 shown]
	v_cmp_ne_u32_e64 s14, 0, v1
	v_not_b32_e32 v1, v2
	v_cmp_gt_i32_e64 s15, 0, v2
	v_not_b32_e32 v2, v3
	v_lshlrev_b32_e32 v6, 26, v51
	v_xor_b32_e32 v0, s14, v0
	v_ashrrev_i32_e32 v1, 31, v1
	v_cmp_gt_i32_e64 s14, 0, v3
	v_not_b32_e32 v3, v4
	v_ashrrev_i32_e32 v2, 31, v2
	v_and_b32_e32 v0, exec_lo, v0
	v_xor_b32_e32 v1, s15, v1
	v_cmp_gt_i32_e64 s15, 0, v4
	v_not_b32_e32 v4, v5
	v_ashrrev_i32_e32 v3, 31, v3
	v_xor_b32_e32 v2, s14, v2
	v_and_b32_e32 v0, v0, v1
	v_lshlrev_b32_e32 v1, 25, v51
	v_cmp_gt_i32_e64 s14, 0, v5
	v_ashrrev_i32_e32 v4, 31, v4
	v_xor_b32_e32 v3, s15, v3
	v_and_b32_e32 v0, v0, v2
	v_not_b32_e32 v5, v6
	v_not_b32_e32 v7, v1
	v_xor_b32_e32 v4, s14, v4
	v_cmp_gt_i32_e64 s14, 0, v6
	v_and_b32_e32 v0, v0, v3
	v_ashrrev_i32_e32 v3, 31, v5
	v_and_b32_e32 v2, 0xff000000, v24
	v_cmp_gt_i32_e64 s15, 0, v1
	v_ashrrev_i32_e32 v1, 31, v7
	v_and_b32_e32 v0, v0, v4
	v_not_b32_e32 v4, v24
	v_xor_b32_e32 v3, s14, v3
	v_lshlrev_b32_e32 v5, 2, v51
	v_xor_b32_e32 v1, s15, v1
	v_cmp_gt_i32_e64 s14, 0, v2
	v_ashrrev_i32_e32 v2, 31, v4
	v_and_b32_e32 v0, v0, v3
	v_add_lshl_u32 v3, v22, v5, 2
	s_delay_alu instid0(VALU_DEP_3) | instskip(NEXT) | instid1(VALU_DEP_3)
	v_xor_b32_e32 v2, s14, v2
	v_and_b32_e32 v0, v0, v1
	ds_load_b32 v52, v3 offset:16
	v_add_nc_u32_e32 v54, 16, v3
	; wave barrier
	v_and_b32_e32 v0, v0, v2
	s_delay_alu instid0(VALU_DEP_1) | instskip(SKIP_1) | instid1(VALU_DEP_2)
	v_mbcnt_lo_u32_b32 v53, v0, 0
	v_cmp_ne_u32_e64 s15, 0, v0
	v_cmp_eq_u32_e64 s14, 0, v53
	s_delay_alu instid0(VALU_DEP_1) | instskip(NEXT) | instid1(SALU_CYCLE_1)
	s_and_b32 s15, s15, s14
	s_and_saveexec_b32 s14, s15
	s_cbranch_execz .LBB61_10
; %bb.9:                                ;   in Loop: Header=BB61_2 Depth=1
	s_waitcnt lgkmcnt(0)
	v_bcnt_u32_b32 v0, v0, v52
	ds_store_b32 v54, v0
.LBB61_10:                              ;   in Loop: Header=BB61_2 Depth=1
	s_or_b32 exec_lo, exec_lo, s14
	; wave barrier
	s_waitcnt lgkmcnt(0)
	s_barrier
	buffer_gl0_inv
	ds_load_2addr_b64 v[4:7], v17 offset0:2 offset1:3
	ds_load_2addr_b64 v[0:3], v18 offset0:2 offset1:3
	s_waitcnt lgkmcnt(1)
	v_add_nc_u32_e32 v55, v5, v4
	s_delay_alu instid0(VALU_DEP_1) | instskip(SKIP_1) | instid1(VALU_DEP_1)
	v_add3_u32 v55, v55, v6, v7
	s_waitcnt lgkmcnt(0)
	v_add3_u32 v55, v55, v0, v1
	s_delay_alu instid0(VALU_DEP_1) | instskip(NEXT) | instid1(VALU_DEP_1)
	v_add3_u32 v3, v55, v2, v3
	v_mov_b32_dpp v55, v3 row_shr:1 row_mask:0xf bank_mask:0xf
	s_delay_alu instid0(VALU_DEP_1) | instskip(NEXT) | instid1(VALU_DEP_1)
	v_cndmask_b32_e64 v55, v55, 0, s4
	v_add_nc_u32_e32 v3, v55, v3
	s_delay_alu instid0(VALU_DEP_1) | instskip(NEXT) | instid1(VALU_DEP_1)
	v_mov_b32_dpp v55, v3 row_shr:2 row_mask:0xf bank_mask:0xf
	v_cndmask_b32_e64 v55, 0, v55, s5
	s_delay_alu instid0(VALU_DEP_1) | instskip(NEXT) | instid1(VALU_DEP_1)
	v_add_nc_u32_e32 v3, v3, v55
	v_mov_b32_dpp v55, v3 row_shr:4 row_mask:0xf bank_mask:0xf
	s_delay_alu instid0(VALU_DEP_1) | instskip(NEXT) | instid1(VALU_DEP_1)
	v_cndmask_b32_e64 v55, 0, v55, s6
	v_add_nc_u32_e32 v3, v3, v55
	s_delay_alu instid0(VALU_DEP_1) | instskip(NEXT) | instid1(VALU_DEP_1)
	v_mov_b32_dpp v55, v3 row_shr:8 row_mask:0xf bank_mask:0xf
	v_cndmask_b32_e64 v55, 0, v55, s7
	s_delay_alu instid0(VALU_DEP_1) | instskip(SKIP_3) | instid1(VALU_DEP_1)
	v_add_nc_u32_e32 v3, v3, v55
	ds_swizzle_b32 v55, v3 offset:swizzle(BROADCAST,32,15)
	s_waitcnt lgkmcnt(0)
	v_cndmask_b32_e64 v55, v55, 0, s8
	v_add_nc_u32_e32 v3, v3, v55
	s_and_saveexec_b32 s14, s13
	s_cbranch_execz .LBB61_12
; %bb.11:                               ;   in Loop: Header=BB61_2 Depth=1
	ds_store_b32 v19, v3
.LBB61_12:                              ;   in Loop: Header=BB61_2 Depth=1
	s_or_b32 exec_lo, exec_lo, s14
	s_waitcnt lgkmcnt(0)
	s_barrier
	buffer_gl0_inv
	s_and_saveexec_b32 s14, s9
	s_cbranch_execz .LBB61_14
; %bb.13:                               ;   in Loop: Header=BB61_2 Depth=1
	ds_load_b32 v55, v23
	s_waitcnt lgkmcnt(0)
	v_mov_b32_dpp v56, v55 row_shr:1 row_mask:0xf bank_mask:0xf
	s_delay_alu instid0(VALU_DEP_1) | instskip(NEXT) | instid1(VALU_DEP_1)
	v_cndmask_b32_e64 v56, v56, 0, s3
	v_add_nc_u32_e32 v55, v56, v55
	s_delay_alu instid0(VALU_DEP_1) | instskip(NEXT) | instid1(VALU_DEP_1)
	v_mov_b32_dpp v56, v55 row_shr:2 row_mask:0xf bank_mask:0xf
	v_cndmask_b32_e64 v56, 0, v56, s12
	s_delay_alu instid0(VALU_DEP_1)
	v_add_nc_u32_e32 v55, v55, v56
	ds_store_b32 v23, v55
.LBB61_14:                              ;   in Loop: Header=BB61_2 Depth=1
	s_or_b32 exec_lo, exec_lo, s14
	v_mov_b32_e32 v55, 0
	s_waitcnt lgkmcnt(0)
	s_barrier
	buffer_gl0_inv
	s_and_saveexec_b32 s14, s10
	s_cbranch_execz .LBB61_1
; %bb.15:                               ;   in Loop: Header=BB61_2 Depth=1
	ds_load_b32 v55, v21
	s_branch .LBB61_1
.LBB61_16:
	s_waitcnt lgkmcnt(0)
	v_lshrrev_b32_e32 v7, 8, v0
	s_add_u32 s0, s18, s20
	v_lshrrev_b32_e32 v6, 16, v0
	v_lshrrev_b32_e32 v9, 24, v0
	s_addc_u32 s1, s19, 0
	v_add_co_u32 v4, s0, s0, v8
	v_add_nc_u16 v0, v5, v0
	v_add_co_ci_u32_e64 v5, null, s1, 0, s0
	v_add_nc_u16 v1, v1, v7
	v_add_nc_u16 v3, v3, v6
	;; [unrolled: 1-line block ×3, first 2 shown]
	s_clause 0x3
	global_store_b8 v[4:5], v0, off
	global_store_b8 v[4:5], v1, off offset:128
	global_store_b8 v[4:5], v3, off offset:256
	;; [unrolled: 1-line block ×3, first 2 shown]
	s_nop 0
	s_sendmsg sendmsg(MSG_DEALLOC_VGPRS)
	s_endpgm
	.section	.rodata,"a",@progbits
	.p2align	6, 0x0
	.amdhsa_kernel _Z17sort_pairs_kernelI22helper_blocked_blockedaLj128ELj4ELj10EEvPKT0_PS1_
		.amdhsa_group_segment_fixed_size 4112
		.amdhsa_private_segment_fixed_size 0
		.amdhsa_kernarg_size 272
		.amdhsa_user_sgpr_count 15
		.amdhsa_user_sgpr_dispatch_ptr 0
		.amdhsa_user_sgpr_queue_ptr 0
		.amdhsa_user_sgpr_kernarg_segment_ptr 1
		.amdhsa_user_sgpr_dispatch_id 0
		.amdhsa_user_sgpr_private_segment_size 0
		.amdhsa_wavefront_size32 1
		.amdhsa_uses_dynamic_stack 0
		.amdhsa_enable_private_segment 0
		.amdhsa_system_sgpr_workgroup_id_x 1
		.amdhsa_system_sgpr_workgroup_id_y 0
		.amdhsa_system_sgpr_workgroup_id_z 0
		.amdhsa_system_sgpr_workgroup_info 0
		.amdhsa_system_vgpr_workitem_id 2
		.amdhsa_next_free_vgpr 57
		.amdhsa_next_free_sgpr 21
		.amdhsa_reserve_vcc 1
		.amdhsa_float_round_mode_32 0
		.amdhsa_float_round_mode_16_64 0
		.amdhsa_float_denorm_mode_32 3
		.amdhsa_float_denorm_mode_16_64 3
		.amdhsa_dx10_clamp 1
		.amdhsa_ieee_mode 1
		.amdhsa_fp16_overflow 0
		.amdhsa_workgroup_processor_mode 1
		.amdhsa_memory_ordered 1
		.amdhsa_forward_progress 0
		.amdhsa_shared_vgpr_count 0
		.amdhsa_exception_fp_ieee_invalid_op 0
		.amdhsa_exception_fp_denorm_src 0
		.amdhsa_exception_fp_ieee_div_zero 0
		.amdhsa_exception_fp_ieee_overflow 0
		.amdhsa_exception_fp_ieee_underflow 0
		.amdhsa_exception_fp_ieee_inexact 0
		.amdhsa_exception_int_div_zero 0
	.end_amdhsa_kernel
	.section	.text._Z17sort_pairs_kernelI22helper_blocked_blockedaLj128ELj4ELj10EEvPKT0_PS1_,"axG",@progbits,_Z17sort_pairs_kernelI22helper_blocked_blockedaLj128ELj4ELj10EEvPKT0_PS1_,comdat
.Lfunc_end61:
	.size	_Z17sort_pairs_kernelI22helper_blocked_blockedaLj128ELj4ELj10EEvPKT0_PS1_, .Lfunc_end61-_Z17sort_pairs_kernelI22helper_blocked_blockedaLj128ELj4ELj10EEvPKT0_PS1_
                                        ; -- End function
	.section	.AMDGPU.csdata,"",@progbits
; Kernel info:
; codeLenInByte = 4716
; NumSgprs: 23
; NumVgprs: 57
; ScratchSize: 0
; MemoryBound: 0
; FloatMode: 240
; IeeeMode: 1
; LDSByteSize: 4112 bytes/workgroup (compile time only)
; SGPRBlocks: 2
; VGPRBlocks: 7
; NumSGPRsForWavesPerEU: 23
; NumVGPRsForWavesPerEU: 57
; Occupancy: 16
; WaveLimiterHint : 1
; COMPUTE_PGM_RSRC2:SCRATCH_EN: 0
; COMPUTE_PGM_RSRC2:USER_SGPR: 15
; COMPUTE_PGM_RSRC2:TRAP_HANDLER: 0
; COMPUTE_PGM_RSRC2:TGID_X_EN: 1
; COMPUTE_PGM_RSRC2:TGID_Y_EN: 0
; COMPUTE_PGM_RSRC2:TGID_Z_EN: 0
; COMPUTE_PGM_RSRC2:TIDIG_COMP_CNT: 2
	.section	.text._Z16sort_keys_kernelI22helper_blocked_blockedaLj128ELj8ELj10EEvPKT0_PS1_,"axG",@progbits,_Z16sort_keys_kernelI22helper_blocked_blockedaLj128ELj8ELj10EEvPKT0_PS1_,comdat
	.protected	_Z16sort_keys_kernelI22helper_blocked_blockedaLj128ELj8ELj10EEvPKT0_PS1_ ; -- Begin function _Z16sort_keys_kernelI22helper_blocked_blockedaLj128ELj8ELj10EEvPKT0_PS1_
	.globl	_Z16sort_keys_kernelI22helper_blocked_blockedaLj128ELj8ELj10EEvPKT0_PS1_
	.p2align	8
	.type	_Z16sort_keys_kernelI22helper_blocked_blockedaLj128ELj8ELj10EEvPKT0_PS1_,@function
_Z16sort_keys_kernelI22helper_blocked_blockedaLj128ELj8ELj10EEvPKT0_PS1_: ; @_Z16sort_keys_kernelI22helper_blocked_blockedaLj128ELj8ELj10EEvPKT0_PS1_
; %bb.0:
	s_clause 0x1
	s_load_b128 s[16:19], s[0:1], 0x0
	s_load_b32 s10, s[0:1], 0x1c
	s_lshl_b32 s13, s15, 10
	v_and_b32_e32 v8, 0x3ff, v0
	v_mbcnt_lo_u32_b32 v14, -1, 0
	v_bfe_u32 v20, v0, 10, 10
	v_bfe_u32 v0, v0, 20, 10
	s_mov_b32 s14, 10
	s_delay_alu instid0(VALU_DEP_3)
	v_and_b32_e32 v18, 3, v14
	v_add_nc_u32_e32 v17, -1, v14
	v_and_b32_e32 v16, 16, v14
	v_cmp_eq_u32_e32 vcc_lo, 0, v14
	v_and_b32_e32 v15, 15, v14
	v_cmp_eq_u32_e64 s8, 0, v18
	v_cmp_lt_u32_e64 s9, 1, v18
	v_cmp_gt_i32_e64 s7, 0, v17
	v_cmp_eq_u32_e64 s4, 0, v16
	s_waitcnt lgkmcnt(0)
	s_add_u32 s0, s16, s13
	s_addc_u32 s1, s17, 0
	s_clause 0x7
	global_load_u8 v1, v8, s[0:1] offset:128
	global_load_u8 v2, v8, s[0:1] offset:384
	;; [unrolled: 1-line block ×4, first 2 shown]
	global_load_u8 v5, v8, s[0:1]
	global_load_u8 v6, v8, s[0:1] offset:256
	global_load_u8 v7, v8, s[0:1] offset:512
	;; [unrolled: 1-line block ×3, first 2 shown]
	s_mov_b32 s0, 0
	s_lshr_b32 s11, s10, 16
	s_mov_b32 s1, s0
	s_mov_b32 s2, s0
	;; [unrolled: 1-line block ×3, first 2 shown]
	v_dual_mov_b32 v10, s1 :: v_dual_mov_b32 v9, s0
	v_lshrrev_b32_e32 v23, 3, v8
	v_mad_u32_u24 v20, v0, s11, v20
	s_and_b32 s10, s10, 0xffff
	v_lshlrev_b32_e32 v21, 3, v8
	v_and_b32_e32 v22, 0x60, v8
	v_and_b32_e32 v18, 12, v23
	v_lshlrev_b32_e32 v13, 5, v8
	v_lshlrev_b32_e32 v24, 2, v8
	v_mov_b32_e32 v12, s3
	v_cndmask_b32_e64 v16, v17, v14, s7
	v_or_b32_e32 v25, v14, v22
	v_and_or_b32 v14, 0x300, v21, v14
	v_or_b32_e32 v21, 31, v22
	v_mad_i32_i24 v17, 0xffffffe8, v8, v13
	v_sub_nc_u32_e32 v22, 0, v24
	v_mov_b32_e32 v11, s2
	v_cmp_eq_u32_e64 s0, 0, v15
	v_cmp_lt_u32_e64 s1, 1, v15
	v_cmp_lt_u32_e64 s2, 3, v15
	v_cmp_lt_u32_e64 s3, 7, v15
	v_cmp_gt_u32_e64 s5, 4, v8
	v_cmp_lt_u32_e64 s6, 31, v8
	v_cmp_eq_u32_e64 s7, 0, v8
	v_or_b32_e32 v15, 16, v13
	v_lshlrev_b32_e32 v16, 2, v16
	v_add_nc_u32_e32 v22, v17, v22
	s_waitcnt vmcnt(7)
	v_lshlrev_b16 v23, 8, v1
	s_waitcnt vmcnt(6)
	v_lshlrev_b16 v2, 8, v2
	;; [unrolled: 2-line block ×4, first 2 shown]
	v_mad_u64_u32 v[0:1], null, v20, s10, v[8:9]
	s_waitcnt vmcnt(3)
	v_or_b32_e32 v1, v5, v23
	s_waitcnt vmcnt(2)
	v_or_b32_e32 v2, v6, v2
	;; [unrolled: 2-line block ×4, first 2 shown]
	v_lshlrev_b32_e32 v19, 3, v25
	v_and_b32_e32 v1, 0xffff, v1
	v_lshlrev_b32_e32 v2, 16, v2
	v_and_b32_e32 v3, 0xffff, v3
	v_lshlrev_b32_e32 v4, 16, v4
	v_cmp_eq_u32_e64 s10, v21, v8
	v_add_nc_u32_e32 v20, -4, v18
	v_lshrrev_b32_e32 v21, 5, v0
	v_or_b32_e32 v23, v1, v2
	v_or_b32_e32 v24, v3, v4
	s_branch .LBB62_2
.LBB62_1:                               ;   in Loop: Header=BB62_2 Depth=1
	s_or_b32 exec_lo, exec_lo, s11
	s_waitcnt lgkmcnt(0)
	v_add_nc_u32_e32 v3, v54, v3
	s_add_i32 s14, s14, -1
	s_delay_alu instid0(SALU_CYCLE_1) | instskip(SKIP_3) | instid1(VALU_DEP_1)
	s_cmp_eq_u32 s14, 0
	ds_bpermute_b32 v3, v16, v3
	s_waitcnt lgkmcnt(0)
	v_cndmask_b32_e32 v3, v3, v54, vcc_lo
	v_cndmask_b32_e64 v3, v3, 0, s7
	s_delay_alu instid0(VALU_DEP_1) | instskip(NEXT) | instid1(VALU_DEP_1)
	v_add_nc_u32_e32 v4, v3, v4
	v_add_nc_u32_e32 v5, v4, v5
	s_delay_alu instid0(VALU_DEP_1) | instskip(NEXT) | instid1(VALU_DEP_1)
	v_add_nc_u32_e32 v6, v5, v6
	v_add_nc_u32_e32 v54, v6, v7
	;; [unrolled: 3-line block ×3, first 2 shown]
	s_delay_alu instid0(VALU_DEP_1)
	v_add_nc_u32_e32 v1, v0, v2
	ds_store_2addr_b64 v13, v[3:4], v[5:6] offset0:2 offset1:3
	ds_store_2addr_b64 v15, v[54:55], v[0:1] offset0:2 offset1:3
	s_waitcnt lgkmcnt(0)
	s_barrier
	buffer_gl0_inv
	ds_load_b32 v0, v32
	ds_load_b32 v1, v35
	;; [unrolled: 1-line block ×8, first 2 shown]
	s_waitcnt lgkmcnt(0)
	s_barrier
	buffer_gl0_inv
	v_add_nc_u32_e32 v0, v0, v31
	v_add3_u32 v1, v34, v33, v1
	v_add3_u32 v2, v37, v36, v2
	;; [unrolled: 1-line block ×7, first 2 shown]
	ds_store_b8 v0, v23
	ds_store_b8 v1, v24
	;; [unrolled: 1-line block ×8, first 2 shown]
	s_waitcnt lgkmcnt(0)
	s_barrier
	buffer_gl0_inv
	ds_load_b64 v[0:1], v17
	s_waitcnt lgkmcnt(0)
	v_lshrrev_b32_e32 v2, 8, v0
	v_lshrrev_b32_e32 v3, 16, v0
	;; [unrolled: 1-line block ×6, first 2 shown]
	v_xor_b32_e32 v0, 0xffffff80, v0
	v_xor_b32_e32 v1, 0xffffff80, v1
	;; [unrolled: 1-line block ×8, first 2 shown]
	v_and_b32_e32 v23, 0xff, v0
	v_and_b32_e32 v24, 0xff, v1
	v_lshlrev_b16 v25, 8, v5
	v_lshlrev_b16 v26, 8, v7
	v_and_b32_e32 v27, 0xff, v6
	v_lshlrev_b16 v28, 8, v2
	v_lshlrev_b16 v29, 8, v4
	v_and_b32_e32 v30, 0xff, v3
	v_or_b32_e32 v23, v23, v25
	v_or_b32_e32 v25, v27, v26
	;; [unrolled: 1-line block ×3, first 2 shown]
	s_delay_alu instid0(VALU_DEP_4) | instskip(NEXT) | instid1(VALU_DEP_4)
	v_or_b32_e32 v26, v30, v29
	v_and_b32_e32 v23, 0xffff, v23
	s_delay_alu instid0(VALU_DEP_4) | instskip(NEXT) | instid1(VALU_DEP_4)
	v_lshlrev_b32_e32 v25, 16, v25
	v_and_b32_e32 v24, 0xffff, v24
	s_delay_alu instid0(VALU_DEP_4) | instskip(NEXT) | instid1(VALU_DEP_3)
	v_lshlrev_b32_e32 v26, 16, v26
	v_or_b32_e32 v23, v23, v25
	s_delay_alu instid0(VALU_DEP_2)
	v_or_b32_e32 v24, v24, v26
	s_cbranch_scc1 .LBB62_24
.LBB62_2:                               ; =>This Inner Loop Header: Depth=1
	s_delay_alu instid0(VALU_DEP_1) | instskip(NEXT) | instid1(VALU_DEP_3)
	v_lshrrev_b32_e32 v0, 16, v24
	v_lshrrev_b32_e32 v1, 16, v23
	v_xor_b32_e32 v2, 0x80, v24
	v_xor_b32_e32 v6, 0x80, v23
	v_and_b32_e32 v3, 0xffffff00, v24
	v_xor_b32_e32 v5, 0x80, v0
	v_xor_b32_e32 v7, 0x80, v1
	v_and_b32_e32 v4, 0xffffff00, v23
	v_and_b32_e32 v2, 0xff, v2
	;; [unrolled: 1-line block ×7, first 2 shown]
	v_or_b32_e32 v2, v2, v3
	v_or_b32_e32 v0, v5, v0
	;; [unrolled: 1-line block ×3, first 2 shown]
	s_delay_alu instid0(VALU_DEP_4) | instskip(NEXT) | instid1(VALU_DEP_4)
	v_or_b32_e32 v1, v7, v1
	v_add_nc_u16 v2, v2, 0x8000
	s_delay_alu instid0(VALU_DEP_4) | instskip(NEXT) | instid1(VALU_DEP_4)
	v_add_nc_u16 v0, v0, 0x8000
	v_add_nc_u16 v3, v3, 0x8000
	s_delay_alu instid0(VALU_DEP_4) | instskip(NEXT) | instid1(VALU_DEP_4)
	v_add_nc_u16 v1, v1, 0x8000
	v_and_b32_e32 v2, 0xffff, v2
	s_delay_alu instid0(VALU_DEP_4) | instskip(NEXT) | instid1(VALU_DEP_4)
	v_lshlrev_b32_e32 v0, 16, v0
	v_and_b32_e32 v3, 0xffff, v3
	s_delay_alu instid0(VALU_DEP_4) | instskip(NEXT) | instid1(VALU_DEP_3)
	v_lshlrev_b32_e32 v4, 16, v1
	v_or_b32_e32 v1, v2, v0
	s_delay_alu instid0(VALU_DEP_2)
	v_or_b32_e32 v0, v3, v4
	ds_store_b64 v19, v[0:1]
	; wave barrier
	ds_load_u8 v23, v14
	ds_load_u8 v24, v14 offset:32
	ds_load_u8 v25, v14 offset:64
	;; [unrolled: 1-line block ×7, first 2 shown]
	; wave barrier
	; wave barrier
	s_waitcnt lgkmcnt(0)
	s_barrier
	buffer_gl0_inv
	ds_store_2addr_b64 v13, v[9:10], v[11:12] offset0:2 offset1:3
	ds_store_2addr_b64 v15, v[9:10], v[11:12] offset0:2 offset1:3
	s_waitcnt lgkmcnt(0)
	s_barrier
	buffer_gl0_inv
	v_and_b32_e32 v0, 1, v23
	v_lshlrev_b32_e32 v1, 30, v23
	v_lshlrev_b32_e32 v2, 29, v23
	;; [unrolled: 1-line block ×4, first 2 shown]
	v_add_co_u32 v0, s11, v0, -1
	s_delay_alu instid0(VALU_DEP_1)
	v_cndmask_b32_e64 v4, 0, 1, s11
	v_not_b32_e32 v31, v1
	v_cmp_gt_i32_e64 s12, 0, v1
	v_not_b32_e32 v1, v2
	v_lshlrev_b32_e32 v6, 26, v23
	v_cmp_ne_u32_e64 s11, 0, v4
	v_ashrrev_i32_e32 v31, 31, v31
	v_lshlrev_b32_e32 v7, 25, v23
	v_ashrrev_i32_e32 v1, 31, v1
	v_lshlrev_b32_e32 v4, 24, v23
	v_xor_b32_e32 v0, s11, v0
	v_cmp_gt_i32_e64 s11, 0, v2
	v_not_b32_e32 v2, v3
	v_xor_b32_e32 v31, s12, v31
	v_cmp_gt_i32_e64 s12, 0, v3
	v_and_b32_e32 v0, exec_lo, v0
	v_not_b32_e32 v3, v5
	v_ashrrev_i32_e32 v2, 31, v2
	v_xor_b32_e32 v1, s11, v1
	v_cmp_gt_i32_e64 s11, 0, v5
	v_and_b32_e32 v0, v0, v31
	v_not_b32_e32 v5, v6
	v_ashrrev_i32_e32 v3, 31, v3
	v_xor_b32_e32 v2, s12, v2
	v_cmp_gt_i32_e64 s12, 0, v6
	v_and_b32_e32 v0, v0, v1
	;; [unrolled: 5-line block ×4, first 2 shown]
	v_ashrrev_i32_e32 v2, 31, v2
	v_xor_b32_e32 v1, s11, v1
	; wave barrier
	s_delay_alu instid0(VALU_DEP_3) | instskip(NEXT) | instid1(VALU_DEP_3)
	v_and_b32_e32 v0, v0, v5
	v_xor_b32_e32 v2, s12, v2
	s_delay_alu instid0(VALU_DEP_2) | instskip(SKIP_1) | instid1(VALU_DEP_2)
	v_and_b32_e32 v0, v0, v1
	v_and_b32_e32 v1, 0xff, v23
	;; [unrolled: 1-line block ×3, first 2 shown]
	s_delay_alu instid0(VALU_DEP_2) | instskip(NEXT) | instid1(VALU_DEP_2)
	v_lshl_add_u32 v1, v1, 2, v21
	v_mbcnt_lo_u32_b32 v31, v0, 0
	v_cmp_ne_u32_e64 s12, 0, v0
	s_delay_alu instid0(VALU_DEP_3) | instskip(NEXT) | instid1(VALU_DEP_3)
	v_lshl_add_u32 v32, v1, 2, 16
	v_cmp_eq_u32_e64 s11, 0, v31
	s_delay_alu instid0(VALU_DEP_1) | instskip(NEXT) | instid1(SALU_CYCLE_1)
	s_and_b32 s12, s12, s11
	s_and_saveexec_b32 s11, s12
	s_cbranch_execz .LBB62_4
; %bb.3:                                ;   in Loop: Header=BB62_2 Depth=1
	v_bcnt_u32_b32 v0, v0, 0
	ds_store_b32 v32, v0
.LBB62_4:                               ;   in Loop: Header=BB62_2 Depth=1
	s_or_b32 exec_lo, exec_lo, s11
	v_and_b32_e32 v0, 1, v24
	v_lshlrev_b32_e32 v2, 30, v24
	v_lshlrev_b32_e32 v4, 29, v24
	;; [unrolled: 1-line block ×4, first 2 shown]
	v_add_co_u32 v0, s11, v0, -1
	s_delay_alu instid0(VALU_DEP_1)
	v_cndmask_b32_e64 v3, 0, 1, s11
	v_not_b32_e32 v7, v2
	v_cmp_gt_i32_e64 s12, 0, v2
	v_not_b32_e32 v2, v4
	v_and_b32_e32 v1, 0xff, v24
	v_cmp_ne_u32_e64 s11, 0, v3
	v_ashrrev_i32_e32 v7, 31, v7
	v_lshlrev_b32_e32 v3, 26, v24
	v_ashrrev_i32_e32 v2, 31, v2
	v_lshlrev_b32_e32 v1, 2, v1
	v_xor_b32_e32 v0, s11, v0
	v_cmp_gt_i32_e64 s11, 0, v4
	v_not_b32_e32 v4, v5
	v_xor_b32_e32 v7, s12, v7
	v_cmp_gt_i32_e64 s12, 0, v5
	v_and_b32_e32 v0, exec_lo, v0
	v_not_b32_e32 v5, v6
	v_ashrrev_i32_e32 v4, 31, v4
	v_xor_b32_e32 v2, s11, v2
	v_cmp_gt_i32_e64 s11, 0, v6
	v_and_b32_e32 v0, v0, v7
	v_lshlrev_b32_e32 v7, 25, v24
	v_ashrrev_i32_e32 v5, 31, v5
	v_xor_b32_e32 v4, s12, v4
	v_not_b32_e32 v6, v3
	v_and_b32_e32 v0, v0, v2
	v_lshlrev_b32_e32 v2, 24, v24
	v_not_b32_e32 v33, v7
	v_xor_b32_e32 v5, s11, v5
	v_cmp_gt_i32_e64 s11, 0, v3
	v_and_b32_e32 v0, v0, v4
	v_ashrrev_i32_e32 v3, 31, v6
	v_cmp_gt_i32_e64 s12, 0, v7
	v_ashrrev_i32_e32 v4, 31, v33
	v_add_lshl_u32 v1, v21, v1, 2
	v_and_b32_e32 v0, v0, v5
	v_not_b32_e32 v5, v2
	v_xor_b32_e32 v3, s11, v3
	v_xor_b32_e32 v4, s12, v4
	v_cmp_gt_i32_e64 s11, 0, v2
	s_delay_alu instid0(VALU_DEP_4) | instskip(NEXT) | instid1(VALU_DEP_4)
	v_ashrrev_i32_e32 v2, 31, v5
	v_and_b32_e32 v0, v0, v3
	; wave barrier
	ds_load_b32 v33, v1 offset:16
	v_add_nc_u32_e32 v35, 16, v1
	v_xor_b32_e32 v2, s11, v2
	v_and_b32_e32 v0, v0, v4
	; wave barrier
	s_delay_alu instid0(VALU_DEP_1) | instskip(NEXT) | instid1(VALU_DEP_1)
	v_and_b32_e32 v0, v0, v2
	v_mbcnt_lo_u32_b32 v34, v0, 0
	v_cmp_ne_u32_e64 s12, 0, v0
	s_delay_alu instid0(VALU_DEP_2) | instskip(NEXT) | instid1(VALU_DEP_1)
	v_cmp_eq_u32_e64 s11, 0, v34
	s_and_b32 s12, s12, s11
	s_delay_alu instid0(SALU_CYCLE_1)
	s_and_saveexec_b32 s11, s12
	s_cbranch_execz .LBB62_6
; %bb.5:                                ;   in Loop: Header=BB62_2 Depth=1
	s_waitcnt lgkmcnt(0)
	v_bcnt_u32_b32 v0, v0, v33
	ds_store_b32 v35, v0
.LBB62_6:                               ;   in Loop: Header=BB62_2 Depth=1
	s_or_b32 exec_lo, exec_lo, s11
	v_and_b32_e32 v0, 1, v25
	v_lshlrev_b32_e32 v2, 30, v25
	v_lshlrev_b32_e32 v4, 29, v25
	v_lshlrev_b32_e32 v5, 28, v25
	v_lshlrev_b32_e32 v6, 27, v25
	v_add_co_u32 v0, s11, v0, -1
	s_delay_alu instid0(VALU_DEP_1)
	v_cndmask_b32_e64 v3, 0, 1, s11
	v_not_b32_e32 v7, v2
	v_cmp_gt_i32_e64 s12, 0, v2
	v_not_b32_e32 v2, v4
	v_and_b32_e32 v1, 0xff, v25
	v_cmp_ne_u32_e64 s11, 0, v3
	v_ashrrev_i32_e32 v7, 31, v7
	v_lshlrev_b32_e32 v3, 26, v25
	v_ashrrev_i32_e32 v2, 31, v2
	v_lshlrev_b32_e32 v1, 2, v1
	v_xor_b32_e32 v0, s11, v0
	v_cmp_gt_i32_e64 s11, 0, v4
	v_not_b32_e32 v4, v5
	v_xor_b32_e32 v7, s12, v7
	v_cmp_gt_i32_e64 s12, 0, v5
	v_and_b32_e32 v0, exec_lo, v0
	v_not_b32_e32 v5, v6
	v_ashrrev_i32_e32 v4, 31, v4
	v_xor_b32_e32 v2, s11, v2
	v_cmp_gt_i32_e64 s11, 0, v6
	v_and_b32_e32 v0, v0, v7
	v_lshlrev_b32_e32 v7, 25, v25
	v_ashrrev_i32_e32 v5, 31, v5
	v_xor_b32_e32 v4, s12, v4
	v_not_b32_e32 v6, v3
	v_and_b32_e32 v0, v0, v2
	v_lshlrev_b32_e32 v2, 24, v25
	v_not_b32_e32 v36, v7
	v_xor_b32_e32 v5, s11, v5
	v_cmp_gt_i32_e64 s11, 0, v3
	v_and_b32_e32 v0, v0, v4
	v_ashrrev_i32_e32 v3, 31, v6
	v_cmp_gt_i32_e64 s12, 0, v7
	v_ashrrev_i32_e32 v4, 31, v36
	v_add_lshl_u32 v1, v21, v1, 2
	v_and_b32_e32 v0, v0, v5
	v_not_b32_e32 v5, v2
	v_xor_b32_e32 v3, s11, v3
	v_xor_b32_e32 v4, s12, v4
	v_cmp_gt_i32_e64 s11, 0, v2
	s_delay_alu instid0(VALU_DEP_4) | instskip(NEXT) | instid1(VALU_DEP_4)
	v_ashrrev_i32_e32 v2, 31, v5
	v_and_b32_e32 v0, v0, v3
	; wave barrier
	ds_load_b32 v36, v1 offset:16
	v_add_nc_u32_e32 v38, 16, v1
	v_xor_b32_e32 v2, s11, v2
	v_and_b32_e32 v0, v0, v4
	; wave barrier
	s_delay_alu instid0(VALU_DEP_1) | instskip(NEXT) | instid1(VALU_DEP_1)
	v_and_b32_e32 v0, v0, v2
	v_mbcnt_lo_u32_b32 v37, v0, 0
	v_cmp_ne_u32_e64 s12, 0, v0
	s_delay_alu instid0(VALU_DEP_2) | instskip(NEXT) | instid1(VALU_DEP_1)
	v_cmp_eq_u32_e64 s11, 0, v37
	s_and_b32 s12, s12, s11
	s_delay_alu instid0(SALU_CYCLE_1)
	s_and_saveexec_b32 s11, s12
	s_cbranch_execz .LBB62_8
; %bb.7:                                ;   in Loop: Header=BB62_2 Depth=1
	s_waitcnt lgkmcnt(0)
	v_bcnt_u32_b32 v0, v0, v36
	ds_store_b32 v38, v0
.LBB62_8:                               ;   in Loop: Header=BB62_2 Depth=1
	s_or_b32 exec_lo, exec_lo, s11
	v_and_b32_e32 v0, 1, v26
	v_lshlrev_b32_e32 v2, 30, v26
	v_lshlrev_b32_e32 v4, 29, v26
	v_lshlrev_b32_e32 v5, 28, v26
	v_lshlrev_b32_e32 v6, 27, v26
	v_add_co_u32 v0, s11, v0, -1
	s_delay_alu instid0(VALU_DEP_1)
	v_cndmask_b32_e64 v3, 0, 1, s11
	v_not_b32_e32 v7, v2
	v_cmp_gt_i32_e64 s12, 0, v2
	v_not_b32_e32 v2, v4
	v_and_b32_e32 v1, 0xff, v26
	v_cmp_ne_u32_e64 s11, 0, v3
	v_ashrrev_i32_e32 v7, 31, v7
	v_lshlrev_b32_e32 v3, 26, v26
	v_ashrrev_i32_e32 v2, 31, v2
	v_lshlrev_b32_e32 v1, 2, v1
	v_xor_b32_e32 v0, s11, v0
	v_cmp_gt_i32_e64 s11, 0, v4
	v_not_b32_e32 v4, v5
	v_xor_b32_e32 v7, s12, v7
	v_cmp_gt_i32_e64 s12, 0, v5
	v_and_b32_e32 v0, exec_lo, v0
	v_not_b32_e32 v5, v6
	v_ashrrev_i32_e32 v4, 31, v4
	v_xor_b32_e32 v2, s11, v2
	v_cmp_gt_i32_e64 s11, 0, v6
	v_and_b32_e32 v0, v0, v7
	v_lshlrev_b32_e32 v7, 25, v26
	v_ashrrev_i32_e32 v5, 31, v5
	v_xor_b32_e32 v4, s12, v4
	v_not_b32_e32 v6, v3
	v_and_b32_e32 v0, v0, v2
	v_lshlrev_b32_e32 v2, 24, v26
	v_not_b32_e32 v39, v7
	v_xor_b32_e32 v5, s11, v5
	v_cmp_gt_i32_e64 s11, 0, v3
	v_and_b32_e32 v0, v0, v4
	v_ashrrev_i32_e32 v3, 31, v6
	v_cmp_gt_i32_e64 s12, 0, v7
	v_ashrrev_i32_e32 v4, 31, v39
	v_add_lshl_u32 v1, v21, v1, 2
	v_and_b32_e32 v0, v0, v5
	v_not_b32_e32 v5, v2
	v_xor_b32_e32 v3, s11, v3
	v_xor_b32_e32 v4, s12, v4
	v_cmp_gt_i32_e64 s11, 0, v2
	s_delay_alu instid0(VALU_DEP_4) | instskip(NEXT) | instid1(VALU_DEP_4)
	v_ashrrev_i32_e32 v2, 31, v5
	v_and_b32_e32 v0, v0, v3
	; wave barrier
	ds_load_b32 v39, v1 offset:16
	v_add_nc_u32_e32 v41, 16, v1
	v_xor_b32_e32 v2, s11, v2
	v_and_b32_e32 v0, v0, v4
	; wave barrier
	s_delay_alu instid0(VALU_DEP_1) | instskip(NEXT) | instid1(VALU_DEP_1)
	v_and_b32_e32 v0, v0, v2
	v_mbcnt_lo_u32_b32 v40, v0, 0
	v_cmp_ne_u32_e64 s12, 0, v0
	s_delay_alu instid0(VALU_DEP_2) | instskip(NEXT) | instid1(VALU_DEP_1)
	v_cmp_eq_u32_e64 s11, 0, v40
	s_and_b32 s12, s12, s11
	s_delay_alu instid0(SALU_CYCLE_1)
	s_and_saveexec_b32 s11, s12
	s_cbranch_execz .LBB62_10
; %bb.9:                                ;   in Loop: Header=BB62_2 Depth=1
	s_waitcnt lgkmcnt(0)
	v_bcnt_u32_b32 v0, v0, v39
	ds_store_b32 v41, v0
.LBB62_10:                              ;   in Loop: Header=BB62_2 Depth=1
	s_or_b32 exec_lo, exec_lo, s11
	v_and_b32_e32 v0, 1, v27
	v_lshlrev_b32_e32 v2, 30, v27
	v_lshlrev_b32_e32 v4, 29, v27
	v_lshlrev_b32_e32 v5, 28, v27
	v_lshlrev_b32_e32 v6, 27, v27
	v_add_co_u32 v0, s11, v0, -1
	s_delay_alu instid0(VALU_DEP_1)
	v_cndmask_b32_e64 v3, 0, 1, s11
	v_not_b32_e32 v7, v2
	v_cmp_gt_i32_e64 s12, 0, v2
	v_not_b32_e32 v2, v4
	v_and_b32_e32 v1, 0xff, v27
	v_cmp_ne_u32_e64 s11, 0, v3
	v_ashrrev_i32_e32 v7, 31, v7
	v_lshlrev_b32_e32 v3, 26, v27
	v_ashrrev_i32_e32 v2, 31, v2
	v_lshlrev_b32_e32 v1, 2, v1
	v_xor_b32_e32 v0, s11, v0
	v_cmp_gt_i32_e64 s11, 0, v4
	v_not_b32_e32 v4, v5
	v_xor_b32_e32 v7, s12, v7
	v_cmp_gt_i32_e64 s12, 0, v5
	v_and_b32_e32 v0, exec_lo, v0
	v_not_b32_e32 v5, v6
	v_ashrrev_i32_e32 v4, 31, v4
	v_xor_b32_e32 v2, s11, v2
	v_cmp_gt_i32_e64 s11, 0, v6
	v_and_b32_e32 v0, v0, v7
	v_lshlrev_b32_e32 v7, 25, v27
	v_ashrrev_i32_e32 v5, 31, v5
	v_xor_b32_e32 v4, s12, v4
	v_not_b32_e32 v6, v3
	v_and_b32_e32 v0, v0, v2
	v_lshlrev_b32_e32 v2, 24, v27
	v_not_b32_e32 v42, v7
	v_xor_b32_e32 v5, s11, v5
	v_cmp_gt_i32_e64 s11, 0, v3
	v_and_b32_e32 v0, v0, v4
	v_ashrrev_i32_e32 v3, 31, v6
	v_cmp_gt_i32_e64 s12, 0, v7
	v_ashrrev_i32_e32 v4, 31, v42
	v_add_lshl_u32 v1, v21, v1, 2
	v_and_b32_e32 v0, v0, v5
	v_not_b32_e32 v5, v2
	v_xor_b32_e32 v3, s11, v3
	v_xor_b32_e32 v4, s12, v4
	v_cmp_gt_i32_e64 s11, 0, v2
	s_delay_alu instid0(VALU_DEP_4) | instskip(NEXT) | instid1(VALU_DEP_4)
	v_ashrrev_i32_e32 v2, 31, v5
	v_and_b32_e32 v0, v0, v3
	; wave barrier
	ds_load_b32 v42, v1 offset:16
	v_add_nc_u32_e32 v44, 16, v1
	v_xor_b32_e32 v2, s11, v2
	v_and_b32_e32 v0, v0, v4
	; wave barrier
	s_delay_alu instid0(VALU_DEP_1) | instskip(NEXT) | instid1(VALU_DEP_1)
	v_and_b32_e32 v0, v0, v2
	v_mbcnt_lo_u32_b32 v43, v0, 0
	v_cmp_ne_u32_e64 s12, 0, v0
	s_delay_alu instid0(VALU_DEP_2) | instskip(NEXT) | instid1(VALU_DEP_1)
	v_cmp_eq_u32_e64 s11, 0, v43
	s_and_b32 s12, s12, s11
	s_delay_alu instid0(SALU_CYCLE_1)
	s_and_saveexec_b32 s11, s12
	s_cbranch_execz .LBB62_12
; %bb.11:                               ;   in Loop: Header=BB62_2 Depth=1
	s_waitcnt lgkmcnt(0)
	v_bcnt_u32_b32 v0, v0, v42
	ds_store_b32 v44, v0
.LBB62_12:                              ;   in Loop: Header=BB62_2 Depth=1
	s_or_b32 exec_lo, exec_lo, s11
	v_and_b32_e32 v0, 1, v28
	v_lshlrev_b32_e32 v2, 30, v28
	v_lshlrev_b32_e32 v4, 29, v28
	;; [unrolled: 1-line block ×4, first 2 shown]
	v_add_co_u32 v0, s11, v0, -1
	s_delay_alu instid0(VALU_DEP_1)
	v_cndmask_b32_e64 v3, 0, 1, s11
	v_not_b32_e32 v7, v2
	v_cmp_gt_i32_e64 s12, 0, v2
	v_not_b32_e32 v2, v4
	v_and_b32_e32 v1, 0xff, v28
	v_cmp_ne_u32_e64 s11, 0, v3
	v_ashrrev_i32_e32 v7, 31, v7
	v_lshlrev_b32_e32 v3, 26, v28
	v_ashrrev_i32_e32 v2, 31, v2
	v_lshlrev_b32_e32 v1, 2, v1
	v_xor_b32_e32 v0, s11, v0
	v_cmp_gt_i32_e64 s11, 0, v4
	v_not_b32_e32 v4, v5
	v_xor_b32_e32 v7, s12, v7
	v_cmp_gt_i32_e64 s12, 0, v5
	v_and_b32_e32 v0, exec_lo, v0
	v_not_b32_e32 v5, v6
	v_ashrrev_i32_e32 v4, 31, v4
	v_xor_b32_e32 v2, s11, v2
	v_cmp_gt_i32_e64 s11, 0, v6
	v_and_b32_e32 v0, v0, v7
	v_lshlrev_b32_e32 v7, 25, v28
	v_ashrrev_i32_e32 v5, 31, v5
	v_xor_b32_e32 v4, s12, v4
	v_not_b32_e32 v6, v3
	v_and_b32_e32 v0, v0, v2
	v_lshlrev_b32_e32 v2, 24, v28
	v_not_b32_e32 v45, v7
	v_xor_b32_e32 v5, s11, v5
	v_cmp_gt_i32_e64 s11, 0, v3
	v_and_b32_e32 v0, v0, v4
	v_ashrrev_i32_e32 v3, 31, v6
	v_cmp_gt_i32_e64 s12, 0, v7
	v_ashrrev_i32_e32 v4, 31, v45
	v_add_lshl_u32 v1, v21, v1, 2
	v_and_b32_e32 v0, v0, v5
	v_not_b32_e32 v5, v2
	v_xor_b32_e32 v3, s11, v3
	v_xor_b32_e32 v4, s12, v4
	v_cmp_gt_i32_e64 s11, 0, v2
	s_delay_alu instid0(VALU_DEP_4) | instskip(NEXT) | instid1(VALU_DEP_4)
	v_ashrrev_i32_e32 v2, 31, v5
	v_and_b32_e32 v0, v0, v3
	; wave barrier
	ds_load_b32 v45, v1 offset:16
	v_add_nc_u32_e32 v47, 16, v1
	v_xor_b32_e32 v2, s11, v2
	v_and_b32_e32 v0, v0, v4
	; wave barrier
	s_delay_alu instid0(VALU_DEP_1) | instskip(NEXT) | instid1(VALU_DEP_1)
	v_and_b32_e32 v0, v0, v2
	v_mbcnt_lo_u32_b32 v46, v0, 0
	v_cmp_ne_u32_e64 s12, 0, v0
	s_delay_alu instid0(VALU_DEP_2) | instskip(NEXT) | instid1(VALU_DEP_1)
	v_cmp_eq_u32_e64 s11, 0, v46
	s_and_b32 s12, s12, s11
	s_delay_alu instid0(SALU_CYCLE_1)
	s_and_saveexec_b32 s11, s12
	s_cbranch_execz .LBB62_14
; %bb.13:                               ;   in Loop: Header=BB62_2 Depth=1
	s_waitcnt lgkmcnt(0)
	v_bcnt_u32_b32 v0, v0, v45
	ds_store_b32 v47, v0
.LBB62_14:                              ;   in Loop: Header=BB62_2 Depth=1
	s_or_b32 exec_lo, exec_lo, s11
	v_and_b32_e32 v0, 1, v29
	v_lshlrev_b32_e32 v2, 30, v29
	v_lshlrev_b32_e32 v4, 29, v29
	;; [unrolled: 1-line block ×4, first 2 shown]
	v_add_co_u32 v0, s11, v0, -1
	s_delay_alu instid0(VALU_DEP_1)
	v_cndmask_b32_e64 v3, 0, 1, s11
	v_not_b32_e32 v7, v2
	v_cmp_gt_i32_e64 s12, 0, v2
	v_not_b32_e32 v2, v4
	v_and_b32_e32 v1, 0xff, v29
	v_cmp_ne_u32_e64 s11, 0, v3
	v_ashrrev_i32_e32 v7, 31, v7
	v_lshlrev_b32_e32 v3, 26, v29
	v_ashrrev_i32_e32 v2, 31, v2
	v_lshlrev_b32_e32 v1, 2, v1
	v_xor_b32_e32 v0, s11, v0
	v_cmp_gt_i32_e64 s11, 0, v4
	v_not_b32_e32 v4, v5
	v_xor_b32_e32 v7, s12, v7
	v_cmp_gt_i32_e64 s12, 0, v5
	v_and_b32_e32 v0, exec_lo, v0
	v_not_b32_e32 v5, v6
	v_ashrrev_i32_e32 v4, 31, v4
	v_xor_b32_e32 v2, s11, v2
	v_cmp_gt_i32_e64 s11, 0, v6
	v_and_b32_e32 v0, v0, v7
	v_lshlrev_b32_e32 v7, 25, v29
	v_ashrrev_i32_e32 v5, 31, v5
	v_xor_b32_e32 v4, s12, v4
	v_not_b32_e32 v6, v3
	v_and_b32_e32 v0, v0, v2
	v_lshlrev_b32_e32 v2, 24, v29
	v_not_b32_e32 v48, v7
	v_xor_b32_e32 v5, s11, v5
	v_cmp_gt_i32_e64 s11, 0, v3
	v_and_b32_e32 v0, v0, v4
	v_ashrrev_i32_e32 v3, 31, v6
	v_cmp_gt_i32_e64 s12, 0, v7
	v_ashrrev_i32_e32 v4, 31, v48
	v_add_lshl_u32 v1, v21, v1, 2
	v_and_b32_e32 v0, v0, v5
	v_not_b32_e32 v5, v2
	v_xor_b32_e32 v3, s11, v3
	v_xor_b32_e32 v4, s12, v4
	v_cmp_gt_i32_e64 s11, 0, v2
	s_delay_alu instid0(VALU_DEP_4) | instskip(NEXT) | instid1(VALU_DEP_4)
	v_ashrrev_i32_e32 v2, 31, v5
	v_and_b32_e32 v0, v0, v3
	; wave barrier
	ds_load_b32 v48, v1 offset:16
	v_add_nc_u32_e32 v50, 16, v1
	v_xor_b32_e32 v2, s11, v2
	v_and_b32_e32 v0, v0, v4
	; wave barrier
	s_delay_alu instid0(VALU_DEP_1) | instskip(NEXT) | instid1(VALU_DEP_1)
	v_and_b32_e32 v0, v0, v2
	v_mbcnt_lo_u32_b32 v49, v0, 0
	v_cmp_ne_u32_e64 s12, 0, v0
	s_delay_alu instid0(VALU_DEP_2) | instskip(NEXT) | instid1(VALU_DEP_1)
	v_cmp_eq_u32_e64 s11, 0, v49
	s_and_b32 s12, s12, s11
	s_delay_alu instid0(SALU_CYCLE_1)
	s_and_saveexec_b32 s11, s12
	s_cbranch_execz .LBB62_16
; %bb.15:                               ;   in Loop: Header=BB62_2 Depth=1
	s_waitcnt lgkmcnt(0)
	v_bcnt_u32_b32 v0, v0, v48
	ds_store_b32 v50, v0
.LBB62_16:                              ;   in Loop: Header=BB62_2 Depth=1
	s_or_b32 exec_lo, exec_lo, s11
	v_and_b32_e32 v0, 1, v30
	v_lshlrev_b32_e32 v2, 30, v30
	v_lshlrev_b32_e32 v4, 29, v30
	;; [unrolled: 1-line block ×4, first 2 shown]
	v_add_co_u32 v0, s11, v0, -1
	s_delay_alu instid0(VALU_DEP_1)
	v_cndmask_b32_e64 v3, 0, 1, s11
	v_not_b32_e32 v7, v2
	v_cmp_gt_i32_e64 s12, 0, v2
	v_not_b32_e32 v2, v4
	v_and_b32_e32 v1, 0xff, v30
	v_cmp_ne_u32_e64 s11, 0, v3
	v_ashrrev_i32_e32 v7, 31, v7
	v_lshlrev_b32_e32 v3, 26, v30
	v_ashrrev_i32_e32 v2, 31, v2
	v_lshlrev_b32_e32 v1, 2, v1
	v_xor_b32_e32 v0, s11, v0
	v_cmp_gt_i32_e64 s11, 0, v4
	v_not_b32_e32 v4, v5
	v_xor_b32_e32 v7, s12, v7
	v_cmp_gt_i32_e64 s12, 0, v5
	v_and_b32_e32 v0, exec_lo, v0
	v_not_b32_e32 v5, v6
	v_ashrrev_i32_e32 v4, 31, v4
	v_xor_b32_e32 v2, s11, v2
	v_cmp_gt_i32_e64 s11, 0, v6
	v_and_b32_e32 v0, v0, v7
	v_lshlrev_b32_e32 v7, 25, v30
	v_ashrrev_i32_e32 v5, 31, v5
	v_xor_b32_e32 v4, s12, v4
	v_not_b32_e32 v6, v3
	v_and_b32_e32 v0, v0, v2
	v_lshlrev_b32_e32 v2, 24, v30
	v_not_b32_e32 v51, v7
	v_xor_b32_e32 v5, s11, v5
	v_cmp_gt_i32_e64 s11, 0, v3
	v_and_b32_e32 v0, v0, v4
	v_ashrrev_i32_e32 v3, 31, v6
	v_cmp_gt_i32_e64 s12, 0, v7
	v_ashrrev_i32_e32 v4, 31, v51
	v_add_lshl_u32 v1, v21, v1, 2
	v_and_b32_e32 v0, v0, v5
	v_not_b32_e32 v5, v2
	v_xor_b32_e32 v3, s11, v3
	v_xor_b32_e32 v4, s12, v4
	v_cmp_gt_i32_e64 s11, 0, v2
	s_delay_alu instid0(VALU_DEP_4) | instskip(NEXT) | instid1(VALU_DEP_4)
	v_ashrrev_i32_e32 v2, 31, v5
	v_and_b32_e32 v0, v0, v3
	; wave barrier
	ds_load_b32 v51, v1 offset:16
	v_add_nc_u32_e32 v53, 16, v1
	v_xor_b32_e32 v2, s11, v2
	v_and_b32_e32 v0, v0, v4
	; wave barrier
	s_delay_alu instid0(VALU_DEP_1) | instskip(NEXT) | instid1(VALU_DEP_1)
	v_and_b32_e32 v0, v0, v2
	v_mbcnt_lo_u32_b32 v52, v0, 0
	v_cmp_ne_u32_e64 s12, 0, v0
	s_delay_alu instid0(VALU_DEP_2) | instskip(NEXT) | instid1(VALU_DEP_1)
	v_cmp_eq_u32_e64 s11, 0, v52
	s_and_b32 s12, s12, s11
	s_delay_alu instid0(SALU_CYCLE_1)
	s_and_saveexec_b32 s11, s12
	s_cbranch_execz .LBB62_18
; %bb.17:                               ;   in Loop: Header=BB62_2 Depth=1
	s_waitcnt lgkmcnt(0)
	v_bcnt_u32_b32 v0, v0, v51
	ds_store_b32 v53, v0
.LBB62_18:                              ;   in Loop: Header=BB62_2 Depth=1
	s_or_b32 exec_lo, exec_lo, s11
	; wave barrier
	s_waitcnt lgkmcnt(0)
	s_barrier
	buffer_gl0_inv
	ds_load_2addr_b64 v[4:7], v13 offset0:2 offset1:3
	ds_load_2addr_b64 v[0:3], v15 offset0:2 offset1:3
	s_waitcnt lgkmcnt(1)
	v_add_nc_u32_e32 v54, v5, v4
	s_delay_alu instid0(VALU_DEP_1) | instskip(SKIP_1) | instid1(VALU_DEP_1)
	v_add3_u32 v54, v54, v6, v7
	s_waitcnt lgkmcnt(0)
	v_add3_u32 v54, v54, v0, v1
	s_delay_alu instid0(VALU_DEP_1) | instskip(NEXT) | instid1(VALU_DEP_1)
	v_add3_u32 v3, v54, v2, v3
	v_mov_b32_dpp v54, v3 row_shr:1 row_mask:0xf bank_mask:0xf
	s_delay_alu instid0(VALU_DEP_1) | instskip(NEXT) | instid1(VALU_DEP_1)
	v_cndmask_b32_e64 v54, v54, 0, s0
	v_add_nc_u32_e32 v3, v54, v3
	s_delay_alu instid0(VALU_DEP_1) | instskip(NEXT) | instid1(VALU_DEP_1)
	v_mov_b32_dpp v54, v3 row_shr:2 row_mask:0xf bank_mask:0xf
	v_cndmask_b32_e64 v54, 0, v54, s1
	s_delay_alu instid0(VALU_DEP_1) | instskip(NEXT) | instid1(VALU_DEP_1)
	v_add_nc_u32_e32 v3, v3, v54
	v_mov_b32_dpp v54, v3 row_shr:4 row_mask:0xf bank_mask:0xf
	s_delay_alu instid0(VALU_DEP_1) | instskip(NEXT) | instid1(VALU_DEP_1)
	v_cndmask_b32_e64 v54, 0, v54, s2
	v_add_nc_u32_e32 v3, v3, v54
	s_delay_alu instid0(VALU_DEP_1) | instskip(NEXT) | instid1(VALU_DEP_1)
	v_mov_b32_dpp v54, v3 row_shr:8 row_mask:0xf bank_mask:0xf
	v_cndmask_b32_e64 v54, 0, v54, s3
	s_delay_alu instid0(VALU_DEP_1) | instskip(SKIP_3) | instid1(VALU_DEP_1)
	v_add_nc_u32_e32 v3, v3, v54
	ds_swizzle_b32 v54, v3 offset:swizzle(BROADCAST,32,15)
	s_waitcnt lgkmcnt(0)
	v_cndmask_b32_e64 v54, v54, 0, s4
	v_add_nc_u32_e32 v3, v3, v54
	s_and_saveexec_b32 s11, s10
	s_cbranch_execz .LBB62_20
; %bb.19:                               ;   in Loop: Header=BB62_2 Depth=1
	ds_store_b32 v18, v3
.LBB62_20:                              ;   in Loop: Header=BB62_2 Depth=1
	s_or_b32 exec_lo, exec_lo, s11
	s_waitcnt lgkmcnt(0)
	s_barrier
	buffer_gl0_inv
	s_and_saveexec_b32 s11, s5
	s_cbranch_execz .LBB62_22
; %bb.21:                               ;   in Loop: Header=BB62_2 Depth=1
	ds_load_b32 v54, v22
	s_waitcnt lgkmcnt(0)
	v_mov_b32_dpp v55, v54 row_shr:1 row_mask:0xf bank_mask:0xf
	s_delay_alu instid0(VALU_DEP_1) | instskip(NEXT) | instid1(VALU_DEP_1)
	v_cndmask_b32_e64 v55, v55, 0, s8
	v_add_nc_u32_e32 v54, v55, v54
	s_delay_alu instid0(VALU_DEP_1) | instskip(NEXT) | instid1(VALU_DEP_1)
	v_mov_b32_dpp v55, v54 row_shr:2 row_mask:0xf bank_mask:0xf
	v_cndmask_b32_e64 v55, 0, v55, s9
	s_delay_alu instid0(VALU_DEP_1)
	v_add_nc_u32_e32 v54, v54, v55
	ds_store_b32 v22, v54
.LBB62_22:                              ;   in Loop: Header=BB62_2 Depth=1
	s_or_b32 exec_lo, exec_lo, s11
	v_mov_b32_e32 v54, 0
	s_waitcnt lgkmcnt(0)
	s_barrier
	buffer_gl0_inv
	s_and_saveexec_b32 s11, s6
	s_cbranch_execz .LBB62_1
; %bb.23:                               ;   in Loop: Header=BB62_2 Depth=1
	ds_load_b32 v54, v20
	s_branch .LBB62_1
.LBB62_24:
	s_add_u32 s0, s18, s13
	s_addc_u32 s1, s19, 0
	v_add_co_u32 v8, s0, s0, v8
	s_delay_alu instid0(VALU_DEP_1)
	v_add_co_ci_u32_e64 v9, null, s1, 0, s0
	s_clause 0x7
	global_store_b8 v[8:9], v0, off
	global_store_b8 v[8:9], v5, off offset:128
	global_store_b8 v[8:9], v6, off offset:256
	;; [unrolled: 1-line block ×7, first 2 shown]
	s_nop 0
	s_sendmsg sendmsg(MSG_DEALLOC_VGPRS)
	s_endpgm
	.section	.rodata,"a",@progbits
	.p2align	6, 0x0
	.amdhsa_kernel _Z16sort_keys_kernelI22helper_blocked_blockedaLj128ELj8ELj10EEvPKT0_PS1_
		.amdhsa_group_segment_fixed_size 4112
		.amdhsa_private_segment_fixed_size 0
		.amdhsa_kernarg_size 272
		.amdhsa_user_sgpr_count 15
		.amdhsa_user_sgpr_dispatch_ptr 0
		.amdhsa_user_sgpr_queue_ptr 0
		.amdhsa_user_sgpr_kernarg_segment_ptr 1
		.amdhsa_user_sgpr_dispatch_id 0
		.amdhsa_user_sgpr_private_segment_size 0
		.amdhsa_wavefront_size32 1
		.amdhsa_uses_dynamic_stack 0
		.amdhsa_enable_private_segment 0
		.amdhsa_system_sgpr_workgroup_id_x 1
		.amdhsa_system_sgpr_workgroup_id_y 0
		.amdhsa_system_sgpr_workgroup_id_z 0
		.amdhsa_system_sgpr_workgroup_info 0
		.amdhsa_system_vgpr_workitem_id 2
		.amdhsa_next_free_vgpr 56
		.amdhsa_next_free_sgpr 20
		.amdhsa_reserve_vcc 1
		.amdhsa_float_round_mode_32 0
		.amdhsa_float_round_mode_16_64 0
		.amdhsa_float_denorm_mode_32 3
		.amdhsa_float_denorm_mode_16_64 3
		.amdhsa_dx10_clamp 1
		.amdhsa_ieee_mode 1
		.amdhsa_fp16_overflow 0
		.amdhsa_workgroup_processor_mode 1
		.amdhsa_memory_ordered 1
		.amdhsa_forward_progress 0
		.amdhsa_shared_vgpr_count 0
		.amdhsa_exception_fp_ieee_invalid_op 0
		.amdhsa_exception_fp_denorm_src 0
		.amdhsa_exception_fp_ieee_div_zero 0
		.amdhsa_exception_fp_ieee_overflow 0
		.amdhsa_exception_fp_ieee_underflow 0
		.amdhsa_exception_fp_ieee_inexact 0
		.amdhsa_exception_int_div_zero 0
	.end_amdhsa_kernel
	.section	.text._Z16sort_keys_kernelI22helper_blocked_blockedaLj128ELj8ELj10EEvPKT0_PS1_,"axG",@progbits,_Z16sort_keys_kernelI22helper_blocked_blockedaLj128ELj8ELj10EEvPKT0_PS1_,comdat
.Lfunc_end62:
	.size	_Z16sort_keys_kernelI22helper_blocked_blockedaLj128ELj8ELj10EEvPKT0_PS1_, .Lfunc_end62-_Z16sort_keys_kernelI22helper_blocked_blockedaLj128ELj8ELj10EEvPKT0_PS1_
                                        ; -- End function
	.section	.AMDGPU.csdata,"",@progbits
; Kernel info:
; codeLenInByte = 4672
; NumSgprs: 22
; NumVgprs: 56
; ScratchSize: 0
; MemoryBound: 0
; FloatMode: 240
; IeeeMode: 1
; LDSByteSize: 4112 bytes/workgroup (compile time only)
; SGPRBlocks: 2
; VGPRBlocks: 6
; NumSGPRsForWavesPerEU: 22
; NumVGPRsForWavesPerEU: 56
; Occupancy: 16
; WaveLimiterHint : 1
; COMPUTE_PGM_RSRC2:SCRATCH_EN: 0
; COMPUTE_PGM_RSRC2:USER_SGPR: 15
; COMPUTE_PGM_RSRC2:TRAP_HANDLER: 0
; COMPUTE_PGM_RSRC2:TGID_X_EN: 1
; COMPUTE_PGM_RSRC2:TGID_Y_EN: 0
; COMPUTE_PGM_RSRC2:TGID_Z_EN: 0
; COMPUTE_PGM_RSRC2:TIDIG_COMP_CNT: 2
	.section	.text._Z17sort_pairs_kernelI22helper_blocked_blockedaLj128ELj8ELj10EEvPKT0_PS1_,"axG",@progbits,_Z17sort_pairs_kernelI22helper_blocked_blockedaLj128ELj8ELj10EEvPKT0_PS1_,comdat
	.protected	_Z17sort_pairs_kernelI22helper_blocked_blockedaLj128ELj8ELj10EEvPKT0_PS1_ ; -- Begin function _Z17sort_pairs_kernelI22helper_blocked_blockedaLj128ELj8ELj10EEvPKT0_PS1_
	.globl	_Z17sort_pairs_kernelI22helper_blocked_blockedaLj128ELj8ELj10EEvPKT0_PS1_
	.p2align	8
	.type	_Z17sort_pairs_kernelI22helper_blocked_blockedaLj128ELj8ELj10EEvPKT0_PS1_,@function
_Z17sort_pairs_kernelI22helper_blocked_blockedaLj128ELj8ELj10EEvPKT0_PS1_: ; @_Z17sort_pairs_kernelI22helper_blocked_blockedaLj128ELj8ELj10EEvPKT0_PS1_
; %bb.0:
	s_clause 0x1
	s_load_b128 s[16:19], s[0:1], 0x0
	s_load_b32 s11, s[0:1], 0x1c
	s_lshl_b32 s13, s15, 10
	v_and_b32_e32 v8, 0x3ff, v0
	v_mbcnt_lo_u32_b32 v1, -1, 0
	v_bfe_u32 v20, v0, 10, 10
	v_bfe_u32 v0, v0, 20, 10
	s_mov_b32 s14, 10
	s_delay_alu instid0(VALU_DEP_3)
	v_add_nc_u32_e32 v16, -1, v1
	v_and_b32_e32 v14, 15, v1
	v_cmp_eq_u32_e32 vcc_lo, 0, v1
	v_and_b32_e32 v17, 3, v1
	v_and_b32_e32 v15, 16, v1
	v_cmp_gt_i32_e64 s7, 0, v16
	s_delay_alu instid0(VALU_DEP_3) | instskip(SKIP_1) | instid1(VALU_DEP_3)
	v_cmp_eq_u32_e64 s8, 0, v17
	v_cmp_lt_u32_e64 s9, 1, v17
	v_cndmask_b32_e64 v16, v16, v1, s7
	s_waitcnt lgkmcnt(0)
	s_add_u32 s0, s16, s13
	s_addc_u32 s1, s17, 0
	s_clause 0x7
	global_load_u8 v2, v8, s[0:1]
	global_load_u8 v3, v8, s[0:1] offset:256
	global_load_u8 v4, v8, s[0:1] offset:512
	;; [unrolled: 1-line block ×7, first 2 shown]
	s_mov_b32 s0, 0
	s_lshr_b32 s10, s11, 16
	s_mov_b32 s1, s0
	s_mov_b32 s2, s0
	;; [unrolled: 1-line block ×3, first 2 shown]
	v_dual_mov_b32 v10, s1 :: v_dual_mov_b32 v9, s0
	v_lshlrev_b32_e32 v18, 3, v8
	v_and_b32_e32 v19, 0x60, v8
	v_lshrrev_b32_e32 v23, 3, v8
	v_lshlrev_b32_e32 v24, 2, v8
	v_dual_mov_b32 v12, s3 :: v_dual_mov_b32 v11, s2
	v_cmp_eq_u32_e64 s0, 0, v14
	v_cmp_lt_u32_e64 s1, 1, v14
	v_cmp_lt_u32_e64 s2, 3, v14
	v_cmp_lt_u32_e64 s3, 7, v14
	v_or_b32_e32 v25, v1, v19
	v_and_or_b32 v14, 0x300, v18, v1
	v_or_b32_e32 v1, 31, v19
	v_and_b32_e32 v18, 12, v23
	v_sub_nc_u32_e32 v23, 0, v24
	v_mad_u32_u24 v24, v0, s10, v20
	s_and_b32 s11, s11, 0xffff
	v_cmp_eq_u32_e64 s10, v1, v8
	v_lshlrev_b32_e32 v19, 3, v25
	v_lshlrev_b32_e32 v13, 5, v8
	v_mad_u64_u32 v[0:1], null, v24, s11, v[8:9]
	v_cmp_eq_u32_e64 s4, 0, v15
	v_cmp_gt_u32_e64 s5, 4, v8
	s_delay_alu instid0(VALU_DEP_4)
	v_mad_i32_i24 v17, 0xffffffe8, v8, v13
	v_cmp_lt_u32_e64 s6, 31, v8
	v_cmp_eq_u32_e64 s7, 0, v8
	v_or_b32_e32 v15, 16, v13
	v_lshlrev_b32_e32 v16, 2, v16
	v_add_nc_u32_e32 v20, -4, v18
	s_waitcnt vmcnt(7)
	v_add_nc_u16 v1, v2, 1
	s_waitcnt vmcnt(6)
	v_add_nc_u16 v24, v3, 1
	;; [unrolled: 2-line block ×3, first 2 shown]
	s_waitcnt vmcnt(4)
	v_lshlrev_b16 v5, 8, v5
	s_waitcnt vmcnt(3)
	v_lshlrev_b16 v6, 8, v6
	;; [unrolled: 2-line block ×4, first 2 shown]
	s_waitcnt vmcnt(0)
	v_add_nc_u16 v26, v22, 1
	v_and_b32_e32 v1, 0xff, v1
	v_and_b32_e32 v24, 0xff, v24
	;; [unrolled: 1-line block ×3, first 2 shown]
	v_or_b32_e32 v2, v2, v5
	v_and_b32_e32 v26, 0xff, v26
	v_or_b32_e32 v3, v3, v6
	v_or_b32_e32 v4, v4, v7
	;; [unrolled: 1-line block ×7, first 2 shown]
	v_add_nc_u16 v1, v1, 0x100
	v_add_nc_u16 v5, v5, 0x100
	;; [unrolled: 1-line block ×4, first 2 shown]
	v_and_b32_e32 v2, 0xffff, v2
	v_lshlrev_b32_e32 v3, 16, v3
	v_and_b32_e32 v4, 0xffff, v4
	v_lshlrev_b32_e32 v22, 16, v22
	;; [unrolled: 2-line block ×4, first 2 shown]
	v_lshrrev_b32_e32 v21, 5, v0
	v_or_b32_e32 v25, v2, v3
	v_or_b32_e32 v26, v4, v22
	v_or_b32_e32 v0, v1, v5
	v_or_b32_e32 v1, v6, v7
	v_add_nc_u32_e32 v22, v17, v23
	s_branch .LBB63_2
.LBB63_1:                               ;   in Loop: Header=BB63_2 Depth=1
	s_or_b32 exec_lo, exec_lo, s11
	s_waitcnt lgkmcnt(0)
	v_add_nc_u32_e32 v3, v62, v3
	s_add_i32 s14, s14, -1
	s_delay_alu instid0(SALU_CYCLE_1) | instskip(SKIP_3) | instid1(VALU_DEP_1)
	s_cmp_eq_u32 s14, 0
	ds_bpermute_b32 v3, v16, v3
	s_waitcnt lgkmcnt(0)
	v_cndmask_b32_e32 v3, v3, v62, vcc_lo
	v_cndmask_b32_e64 v3, v3, 0, s7
	s_delay_alu instid0(VALU_DEP_1) | instskip(NEXT) | instid1(VALU_DEP_1)
	v_add_nc_u32_e32 v4, v3, v4
	v_add_nc_u32_e32 v5, v4, v5
	s_delay_alu instid0(VALU_DEP_1) | instskip(NEXT) | instid1(VALU_DEP_1)
	v_add_nc_u32_e32 v6, v5, v6
	v_add_nc_u32_e32 v62, v6, v7
	;; [unrolled: 3-line block ×3, first 2 shown]
	s_delay_alu instid0(VALU_DEP_1)
	v_add_nc_u32_e32 v1, v0, v2
	ds_store_2addr_b64 v13, v[3:4], v[5:6] offset0:2 offset1:3
	ds_store_2addr_b64 v15, v[62:63], v[0:1] offset0:2 offset1:3
	s_waitcnt lgkmcnt(0)
	s_barrier
	buffer_gl0_inv
	ds_load_b32 v0, v40
	ds_load_b32 v1, v43
	;; [unrolled: 1-line block ×8, first 2 shown]
	s_waitcnt lgkmcnt(0)
	s_barrier
	buffer_gl0_inv
	v_add_nc_u32_e32 v39, v0, v39
	v_add3_u32 v40, v42, v41, v1
	v_add3_u32 v2, v45, v44, v2
	v_add3_u32 v3, v48, v47, v3
	v_add3_u32 v4, v51, v50, v4
	v_add3_u32 v5, v54, v53, v5
	v_add3_u32 v6, v57, v56, v6
	v_add3_u32 v7, v60, v59, v7
	ds_store_b8 v39, v23
	ds_store_b8 v40, v24
	;; [unrolled: 1-line block ×8, first 2 shown]
	s_waitcnt lgkmcnt(0)
	s_barrier
	buffer_gl0_inv
	ds_load_b64 v[0:1], v17
	s_waitcnt lgkmcnt(0)
	s_barrier
	buffer_gl0_inv
	ds_store_b8 v39, v31
	ds_store_b8 v40, v32
	;; [unrolled: 1-line block ×8, first 2 shown]
	s_waitcnt lgkmcnt(0)
	s_barrier
	buffer_gl0_inv
	v_lshrrev_b32_e32 v3, 8, v0
	v_lshrrev_b32_e32 v4, 16, v0
	;; [unrolled: 1-line block ×6, first 2 shown]
	v_xor_b32_e32 v6, 0xffffff80, v0
	v_xor_b32_e32 v2, 0xffffff80, v1
	;; [unrolled: 1-line block ×8, first 2 shown]
	v_and_b32_e32 v25, 0xff, v6
	v_and_b32_e32 v26, 0xff, v2
	v_lshlrev_b16 v27, 8, v7
	v_lshlrev_b16 v28, 8, v24
	v_and_b32_e32 v29, 0xff, v23
	v_lshlrev_b16 v30, 8, v3
	v_lshlrev_b16 v31, 8, v5
	v_and_b32_e32 v32, 0xff, v4
	ds_load_b64 v[0:1], v17
	v_or_b32_e32 v25, v25, v27
	v_or_b32_e32 v27, v29, v28
	v_or_b32_e32 v26, v26, v30
	v_or_b32_e32 v28, v32, v31
	s_delay_alu instid0(VALU_DEP_4) | instskip(NEXT) | instid1(VALU_DEP_4)
	v_and_b32_e32 v25, 0xffff, v25
	v_lshlrev_b32_e32 v27, 16, v27
	s_delay_alu instid0(VALU_DEP_4) | instskip(NEXT) | instid1(VALU_DEP_4)
	v_and_b32_e32 v26, 0xffff, v26
	v_lshlrev_b32_e32 v28, 16, v28
	s_delay_alu instid0(VALU_DEP_3) | instskip(NEXT) | instid1(VALU_DEP_2)
	v_or_b32_e32 v25, v25, v27
	v_or_b32_e32 v26, v26, v28
	s_cbranch_scc1 .LBB63_24
.LBB63_2:                               ; =>This Inner Loop Header: Depth=1
	s_delay_alu instid0(VALU_DEP_1) | instskip(NEXT) | instid1(VALU_DEP_3)
	v_lshrrev_b32_e32 v2, 16, v26
	v_lshrrev_b32_e32 v3, 16, v25
	v_xor_b32_e32 v4, 0x80, v26
	v_xor_b32_e32 v23, 0x80, v25
	v_and_b32_e32 v5, 0xffffff00, v26
	v_xor_b32_e32 v7, 0x80, v2
	v_xor_b32_e32 v24, 0x80, v3
	v_and_b32_e32 v6, 0xffffff00, v25
	v_and_b32_e32 v4, 0xff, v4
	;; [unrolled: 1-line block ×7, first 2 shown]
	v_or_b32_e32 v4, v4, v5
	v_or_b32_e32 v2, v7, v2
	;; [unrolled: 1-line block ×3, first 2 shown]
	s_delay_alu instid0(VALU_DEP_4) | instskip(NEXT) | instid1(VALU_DEP_4)
	v_or_b32_e32 v3, v24, v3
	v_add_nc_u16 v4, v4, 0x8000
	s_delay_alu instid0(VALU_DEP_4) | instskip(NEXT) | instid1(VALU_DEP_4)
	v_add_nc_u16 v2, v2, 0x8000
	v_add_nc_u16 v5, v5, 0x8000
	s_delay_alu instid0(VALU_DEP_4) | instskip(NEXT) | instid1(VALU_DEP_4)
	v_add_nc_u16 v3, v3, 0x8000
	v_and_b32_e32 v4, 0xffff, v4
	s_delay_alu instid0(VALU_DEP_4) | instskip(NEXT) | instid1(VALU_DEP_4)
	v_lshlrev_b32_e32 v2, 16, v2
	v_and_b32_e32 v5, 0xffff, v5
	s_delay_alu instid0(VALU_DEP_4) | instskip(NEXT) | instid1(VALU_DEP_3)
	v_lshlrev_b32_e32 v6, 16, v3
	v_or_b32_e32 v3, v4, v2
	s_delay_alu instid0(VALU_DEP_2)
	v_or_b32_e32 v2, v5, v6
	ds_store_b64 v19, v[2:3]
	; wave barrier
	ds_load_u8 v23, v14
	ds_load_u8 v24, v14 offset:32
	ds_load_u8 v25, v14 offset:64
	;; [unrolled: 1-line block ×7, first 2 shown]
	; wave barrier
	s_waitcnt lgkmcnt(9)
	ds_store_b64 v19, v[0:1]
	; wave barrier
	s_waitcnt lgkmcnt(8)
	v_and_b32_e32 v2, 1, v23
	v_lshlrev_b32_e32 v3, 30, v23
	v_lshlrev_b32_e32 v4, 29, v23
	;; [unrolled: 1-line block ×4, first 2 shown]
	v_add_co_u32 v2, s11, v2, -1
	s_delay_alu instid0(VALU_DEP_1)
	v_cndmask_b32_e64 v6, 0, 1, s11
	v_not_b32_e32 v33, v3
	v_cmp_gt_i32_e64 s12, 0, v3
	v_not_b32_e32 v3, v4
	v_lshlrev_b32_e32 v31, 26, v23
	v_cmp_ne_u32_e64 s11, 0, v6
	v_ashrrev_i32_e32 v33, 31, v33
	v_lshlrev_b32_e32 v32, 25, v23
	v_ashrrev_i32_e32 v3, 31, v3
	v_lshlrev_b32_e32 v6, 24, v23
	v_xor_b32_e32 v2, s11, v2
	v_cmp_gt_i32_e64 s11, 0, v4
	v_not_b32_e32 v4, v5
	v_xor_b32_e32 v33, s12, v33
	v_cmp_gt_i32_e64 s12, 0, v5
	v_and_b32_e32 v2, exec_lo, v2
	v_not_b32_e32 v5, v7
	v_ashrrev_i32_e32 v4, 31, v4
	v_xor_b32_e32 v3, s11, v3
	v_cmp_gt_i32_e64 s11, 0, v7
	v_and_b32_e32 v2, v2, v33
	v_not_b32_e32 v7, v31
	v_ashrrev_i32_e32 v5, 31, v5
	v_xor_b32_e32 v4, s12, v4
	v_cmp_gt_i32_e64 s12, 0, v31
	v_and_b32_e32 v2, v2, v3
	;; [unrolled: 5-line block ×4, first 2 shown]
	v_ashrrev_i32_e32 v4, 31, v4
	v_xor_b32_e32 v3, s11, v3
	ds_load_u8 v31, v14
	ds_load_u8 v32, v14 offset:32
	ds_load_u8 v33, v14 offset:64
	;; [unrolled: 1-line block ×7, first 2 shown]
	s_waitcnt lgkmcnt(0)
	v_and_b32_e32 v2, v2, v7
	v_xor_b32_e32 v0, s12, v4
	s_barrier
	buffer_gl0_inv
	ds_store_2addr_b64 v13, v[9:10], v[11:12] offset0:2 offset1:3
	ds_store_2addr_b64 v15, v[9:10], v[11:12] offset0:2 offset1:3
	v_and_b32_e32 v1, v2, v3
	s_waitcnt lgkmcnt(0)
	s_barrier
	buffer_gl0_inv
	v_and_b32_e32 v0, v1, v0
	v_and_b32_e32 v1, 0xff, v23
	; wave barrier
	s_delay_alu instid0(VALU_DEP_2) | instskip(NEXT) | instid1(VALU_DEP_2)
	v_mbcnt_lo_u32_b32 v39, v0, 0
	v_lshl_add_u32 v1, v1, 2, v21
	v_cmp_ne_u32_e64 s12, 0, v0
	s_delay_alu instid0(VALU_DEP_3) | instskip(NEXT) | instid1(VALU_DEP_3)
	v_cmp_eq_u32_e64 s11, 0, v39
	v_lshl_add_u32 v40, v1, 2, 16
	s_delay_alu instid0(VALU_DEP_2) | instskip(NEXT) | instid1(SALU_CYCLE_1)
	s_and_b32 s12, s12, s11
	s_and_saveexec_b32 s11, s12
	s_cbranch_execz .LBB63_4
; %bb.3:                                ;   in Loop: Header=BB63_2 Depth=1
	v_bcnt_u32_b32 v0, v0, 0
	ds_store_b32 v40, v0
.LBB63_4:                               ;   in Loop: Header=BB63_2 Depth=1
	s_or_b32 exec_lo, exec_lo, s11
	v_and_b32_e32 v0, 1, v24
	v_lshlrev_b32_e32 v2, 30, v24
	v_lshlrev_b32_e32 v4, 29, v24
	;; [unrolled: 1-line block ×4, first 2 shown]
	v_add_co_u32 v0, s11, v0, -1
	s_delay_alu instid0(VALU_DEP_1)
	v_cndmask_b32_e64 v3, 0, 1, s11
	v_not_b32_e32 v7, v2
	v_cmp_gt_i32_e64 s12, 0, v2
	v_not_b32_e32 v2, v4
	v_and_b32_e32 v1, 0xff, v24
	v_cmp_ne_u32_e64 s11, 0, v3
	v_ashrrev_i32_e32 v7, 31, v7
	v_lshlrev_b32_e32 v3, 26, v24
	v_ashrrev_i32_e32 v2, 31, v2
	v_lshlrev_b32_e32 v1, 2, v1
	v_xor_b32_e32 v0, s11, v0
	v_cmp_gt_i32_e64 s11, 0, v4
	v_not_b32_e32 v4, v5
	v_xor_b32_e32 v7, s12, v7
	v_cmp_gt_i32_e64 s12, 0, v5
	v_and_b32_e32 v0, exec_lo, v0
	v_not_b32_e32 v5, v6
	v_ashrrev_i32_e32 v4, 31, v4
	v_xor_b32_e32 v2, s11, v2
	v_cmp_gt_i32_e64 s11, 0, v6
	v_and_b32_e32 v0, v0, v7
	v_lshlrev_b32_e32 v7, 25, v24
	v_ashrrev_i32_e32 v5, 31, v5
	v_xor_b32_e32 v4, s12, v4
	v_not_b32_e32 v6, v3
	v_and_b32_e32 v0, v0, v2
	v_lshlrev_b32_e32 v2, 24, v24
	v_not_b32_e32 v41, v7
	v_xor_b32_e32 v5, s11, v5
	v_cmp_gt_i32_e64 s11, 0, v3
	v_and_b32_e32 v0, v0, v4
	v_ashrrev_i32_e32 v3, 31, v6
	v_cmp_gt_i32_e64 s12, 0, v7
	v_ashrrev_i32_e32 v4, 31, v41
	v_add_lshl_u32 v1, v21, v1, 2
	v_and_b32_e32 v0, v0, v5
	v_not_b32_e32 v5, v2
	v_xor_b32_e32 v3, s11, v3
	v_xor_b32_e32 v4, s12, v4
	v_cmp_gt_i32_e64 s11, 0, v2
	s_delay_alu instid0(VALU_DEP_4) | instskip(NEXT) | instid1(VALU_DEP_4)
	v_ashrrev_i32_e32 v2, 31, v5
	v_and_b32_e32 v0, v0, v3
	; wave barrier
	ds_load_b32 v41, v1 offset:16
	v_add_nc_u32_e32 v43, 16, v1
	v_xor_b32_e32 v2, s11, v2
	v_and_b32_e32 v0, v0, v4
	; wave barrier
	s_delay_alu instid0(VALU_DEP_1) | instskip(NEXT) | instid1(VALU_DEP_1)
	v_and_b32_e32 v0, v0, v2
	v_mbcnt_lo_u32_b32 v42, v0, 0
	v_cmp_ne_u32_e64 s12, 0, v0
	s_delay_alu instid0(VALU_DEP_2) | instskip(NEXT) | instid1(VALU_DEP_1)
	v_cmp_eq_u32_e64 s11, 0, v42
	s_and_b32 s12, s12, s11
	s_delay_alu instid0(SALU_CYCLE_1)
	s_and_saveexec_b32 s11, s12
	s_cbranch_execz .LBB63_6
; %bb.5:                                ;   in Loop: Header=BB63_2 Depth=1
	s_waitcnt lgkmcnt(0)
	v_bcnt_u32_b32 v0, v0, v41
	ds_store_b32 v43, v0
.LBB63_6:                               ;   in Loop: Header=BB63_2 Depth=1
	s_or_b32 exec_lo, exec_lo, s11
	v_and_b32_e32 v0, 1, v25
	v_lshlrev_b32_e32 v2, 30, v25
	v_lshlrev_b32_e32 v4, 29, v25
	;; [unrolled: 1-line block ×4, first 2 shown]
	v_add_co_u32 v0, s11, v0, -1
	s_delay_alu instid0(VALU_DEP_1)
	v_cndmask_b32_e64 v3, 0, 1, s11
	v_not_b32_e32 v7, v2
	v_cmp_gt_i32_e64 s12, 0, v2
	v_not_b32_e32 v2, v4
	v_and_b32_e32 v1, 0xff, v25
	v_cmp_ne_u32_e64 s11, 0, v3
	v_ashrrev_i32_e32 v7, 31, v7
	v_lshlrev_b32_e32 v3, 26, v25
	v_ashrrev_i32_e32 v2, 31, v2
	v_lshlrev_b32_e32 v1, 2, v1
	v_xor_b32_e32 v0, s11, v0
	v_cmp_gt_i32_e64 s11, 0, v4
	v_not_b32_e32 v4, v5
	v_xor_b32_e32 v7, s12, v7
	v_cmp_gt_i32_e64 s12, 0, v5
	v_and_b32_e32 v0, exec_lo, v0
	v_not_b32_e32 v5, v6
	v_ashrrev_i32_e32 v4, 31, v4
	v_xor_b32_e32 v2, s11, v2
	v_cmp_gt_i32_e64 s11, 0, v6
	v_and_b32_e32 v0, v0, v7
	v_lshlrev_b32_e32 v7, 25, v25
	v_ashrrev_i32_e32 v5, 31, v5
	v_xor_b32_e32 v4, s12, v4
	v_not_b32_e32 v6, v3
	v_and_b32_e32 v0, v0, v2
	v_lshlrev_b32_e32 v2, 24, v25
	v_not_b32_e32 v44, v7
	v_xor_b32_e32 v5, s11, v5
	v_cmp_gt_i32_e64 s11, 0, v3
	v_and_b32_e32 v0, v0, v4
	v_ashrrev_i32_e32 v3, 31, v6
	v_cmp_gt_i32_e64 s12, 0, v7
	v_ashrrev_i32_e32 v4, 31, v44
	v_add_lshl_u32 v1, v21, v1, 2
	v_and_b32_e32 v0, v0, v5
	v_not_b32_e32 v5, v2
	v_xor_b32_e32 v3, s11, v3
	v_xor_b32_e32 v4, s12, v4
	v_cmp_gt_i32_e64 s11, 0, v2
	s_delay_alu instid0(VALU_DEP_4) | instskip(NEXT) | instid1(VALU_DEP_4)
	v_ashrrev_i32_e32 v2, 31, v5
	v_and_b32_e32 v0, v0, v3
	; wave barrier
	ds_load_b32 v44, v1 offset:16
	v_add_nc_u32_e32 v46, 16, v1
	v_xor_b32_e32 v2, s11, v2
	v_and_b32_e32 v0, v0, v4
	; wave barrier
	s_delay_alu instid0(VALU_DEP_1) | instskip(NEXT) | instid1(VALU_DEP_1)
	v_and_b32_e32 v0, v0, v2
	v_mbcnt_lo_u32_b32 v45, v0, 0
	v_cmp_ne_u32_e64 s12, 0, v0
	s_delay_alu instid0(VALU_DEP_2) | instskip(NEXT) | instid1(VALU_DEP_1)
	v_cmp_eq_u32_e64 s11, 0, v45
	s_and_b32 s12, s12, s11
	s_delay_alu instid0(SALU_CYCLE_1)
	s_and_saveexec_b32 s11, s12
	s_cbranch_execz .LBB63_8
; %bb.7:                                ;   in Loop: Header=BB63_2 Depth=1
	s_waitcnt lgkmcnt(0)
	v_bcnt_u32_b32 v0, v0, v44
	ds_store_b32 v46, v0
.LBB63_8:                               ;   in Loop: Header=BB63_2 Depth=1
	s_or_b32 exec_lo, exec_lo, s11
	v_and_b32_e32 v0, 1, v26
	v_lshlrev_b32_e32 v2, 30, v26
	v_lshlrev_b32_e32 v4, 29, v26
	;; [unrolled: 1-line block ×4, first 2 shown]
	v_add_co_u32 v0, s11, v0, -1
	s_delay_alu instid0(VALU_DEP_1)
	v_cndmask_b32_e64 v3, 0, 1, s11
	v_not_b32_e32 v7, v2
	v_cmp_gt_i32_e64 s12, 0, v2
	v_not_b32_e32 v2, v4
	v_and_b32_e32 v1, 0xff, v26
	v_cmp_ne_u32_e64 s11, 0, v3
	v_ashrrev_i32_e32 v7, 31, v7
	v_lshlrev_b32_e32 v3, 26, v26
	v_ashrrev_i32_e32 v2, 31, v2
	v_lshlrev_b32_e32 v1, 2, v1
	v_xor_b32_e32 v0, s11, v0
	v_cmp_gt_i32_e64 s11, 0, v4
	v_not_b32_e32 v4, v5
	v_xor_b32_e32 v7, s12, v7
	v_cmp_gt_i32_e64 s12, 0, v5
	v_and_b32_e32 v0, exec_lo, v0
	v_not_b32_e32 v5, v6
	v_ashrrev_i32_e32 v4, 31, v4
	v_xor_b32_e32 v2, s11, v2
	v_cmp_gt_i32_e64 s11, 0, v6
	v_and_b32_e32 v0, v0, v7
	v_lshlrev_b32_e32 v7, 25, v26
	v_ashrrev_i32_e32 v5, 31, v5
	v_xor_b32_e32 v4, s12, v4
	v_not_b32_e32 v6, v3
	v_and_b32_e32 v0, v0, v2
	v_lshlrev_b32_e32 v2, 24, v26
	v_not_b32_e32 v47, v7
	v_xor_b32_e32 v5, s11, v5
	v_cmp_gt_i32_e64 s11, 0, v3
	v_and_b32_e32 v0, v0, v4
	v_ashrrev_i32_e32 v3, 31, v6
	v_cmp_gt_i32_e64 s12, 0, v7
	v_ashrrev_i32_e32 v4, 31, v47
	v_add_lshl_u32 v1, v21, v1, 2
	v_and_b32_e32 v0, v0, v5
	v_not_b32_e32 v5, v2
	v_xor_b32_e32 v3, s11, v3
	v_xor_b32_e32 v4, s12, v4
	v_cmp_gt_i32_e64 s11, 0, v2
	s_delay_alu instid0(VALU_DEP_4) | instskip(NEXT) | instid1(VALU_DEP_4)
	v_ashrrev_i32_e32 v2, 31, v5
	v_and_b32_e32 v0, v0, v3
	; wave barrier
	ds_load_b32 v47, v1 offset:16
	v_add_nc_u32_e32 v49, 16, v1
	v_xor_b32_e32 v2, s11, v2
	v_and_b32_e32 v0, v0, v4
	; wave barrier
	s_delay_alu instid0(VALU_DEP_1) | instskip(NEXT) | instid1(VALU_DEP_1)
	v_and_b32_e32 v0, v0, v2
	v_mbcnt_lo_u32_b32 v48, v0, 0
	v_cmp_ne_u32_e64 s12, 0, v0
	s_delay_alu instid0(VALU_DEP_2) | instskip(NEXT) | instid1(VALU_DEP_1)
	v_cmp_eq_u32_e64 s11, 0, v48
	s_and_b32 s12, s12, s11
	s_delay_alu instid0(SALU_CYCLE_1)
	s_and_saveexec_b32 s11, s12
	s_cbranch_execz .LBB63_10
; %bb.9:                                ;   in Loop: Header=BB63_2 Depth=1
	s_waitcnt lgkmcnt(0)
	v_bcnt_u32_b32 v0, v0, v47
	ds_store_b32 v49, v0
.LBB63_10:                              ;   in Loop: Header=BB63_2 Depth=1
	s_or_b32 exec_lo, exec_lo, s11
	v_and_b32_e32 v0, 1, v27
	v_lshlrev_b32_e32 v2, 30, v27
	v_lshlrev_b32_e32 v4, 29, v27
	;; [unrolled: 1-line block ×4, first 2 shown]
	v_add_co_u32 v0, s11, v0, -1
	s_delay_alu instid0(VALU_DEP_1)
	v_cndmask_b32_e64 v3, 0, 1, s11
	v_not_b32_e32 v7, v2
	v_cmp_gt_i32_e64 s12, 0, v2
	v_not_b32_e32 v2, v4
	v_and_b32_e32 v1, 0xff, v27
	v_cmp_ne_u32_e64 s11, 0, v3
	v_ashrrev_i32_e32 v7, 31, v7
	v_lshlrev_b32_e32 v3, 26, v27
	v_ashrrev_i32_e32 v2, 31, v2
	v_lshlrev_b32_e32 v1, 2, v1
	v_xor_b32_e32 v0, s11, v0
	v_cmp_gt_i32_e64 s11, 0, v4
	v_not_b32_e32 v4, v5
	v_xor_b32_e32 v7, s12, v7
	v_cmp_gt_i32_e64 s12, 0, v5
	v_and_b32_e32 v0, exec_lo, v0
	v_not_b32_e32 v5, v6
	v_ashrrev_i32_e32 v4, 31, v4
	v_xor_b32_e32 v2, s11, v2
	v_cmp_gt_i32_e64 s11, 0, v6
	v_and_b32_e32 v0, v0, v7
	v_lshlrev_b32_e32 v7, 25, v27
	v_ashrrev_i32_e32 v5, 31, v5
	v_xor_b32_e32 v4, s12, v4
	v_not_b32_e32 v6, v3
	v_and_b32_e32 v0, v0, v2
	v_lshlrev_b32_e32 v2, 24, v27
	v_not_b32_e32 v50, v7
	v_xor_b32_e32 v5, s11, v5
	v_cmp_gt_i32_e64 s11, 0, v3
	v_and_b32_e32 v0, v0, v4
	v_ashrrev_i32_e32 v3, 31, v6
	v_cmp_gt_i32_e64 s12, 0, v7
	v_ashrrev_i32_e32 v4, 31, v50
	v_add_lshl_u32 v1, v21, v1, 2
	v_and_b32_e32 v0, v0, v5
	v_not_b32_e32 v5, v2
	v_xor_b32_e32 v3, s11, v3
	v_xor_b32_e32 v4, s12, v4
	v_cmp_gt_i32_e64 s11, 0, v2
	s_delay_alu instid0(VALU_DEP_4) | instskip(NEXT) | instid1(VALU_DEP_4)
	v_ashrrev_i32_e32 v2, 31, v5
	v_and_b32_e32 v0, v0, v3
	; wave barrier
	ds_load_b32 v50, v1 offset:16
	v_add_nc_u32_e32 v52, 16, v1
	v_xor_b32_e32 v2, s11, v2
	v_and_b32_e32 v0, v0, v4
	; wave barrier
	s_delay_alu instid0(VALU_DEP_1) | instskip(NEXT) | instid1(VALU_DEP_1)
	v_and_b32_e32 v0, v0, v2
	v_mbcnt_lo_u32_b32 v51, v0, 0
	v_cmp_ne_u32_e64 s12, 0, v0
	s_delay_alu instid0(VALU_DEP_2) | instskip(NEXT) | instid1(VALU_DEP_1)
	v_cmp_eq_u32_e64 s11, 0, v51
	s_and_b32 s12, s12, s11
	s_delay_alu instid0(SALU_CYCLE_1)
	s_and_saveexec_b32 s11, s12
	s_cbranch_execz .LBB63_12
; %bb.11:                               ;   in Loop: Header=BB63_2 Depth=1
	s_waitcnt lgkmcnt(0)
	v_bcnt_u32_b32 v0, v0, v50
	ds_store_b32 v52, v0
.LBB63_12:                              ;   in Loop: Header=BB63_2 Depth=1
	s_or_b32 exec_lo, exec_lo, s11
	v_and_b32_e32 v0, 1, v28
	v_lshlrev_b32_e32 v2, 30, v28
	v_lshlrev_b32_e32 v4, 29, v28
	;; [unrolled: 1-line block ×4, first 2 shown]
	v_add_co_u32 v0, s11, v0, -1
	s_delay_alu instid0(VALU_DEP_1)
	v_cndmask_b32_e64 v3, 0, 1, s11
	v_not_b32_e32 v7, v2
	v_cmp_gt_i32_e64 s12, 0, v2
	v_not_b32_e32 v2, v4
	v_and_b32_e32 v1, 0xff, v28
	v_cmp_ne_u32_e64 s11, 0, v3
	v_ashrrev_i32_e32 v7, 31, v7
	v_lshlrev_b32_e32 v3, 26, v28
	v_ashrrev_i32_e32 v2, 31, v2
	v_lshlrev_b32_e32 v1, 2, v1
	v_xor_b32_e32 v0, s11, v0
	v_cmp_gt_i32_e64 s11, 0, v4
	v_not_b32_e32 v4, v5
	v_xor_b32_e32 v7, s12, v7
	v_cmp_gt_i32_e64 s12, 0, v5
	v_and_b32_e32 v0, exec_lo, v0
	v_not_b32_e32 v5, v6
	v_ashrrev_i32_e32 v4, 31, v4
	v_xor_b32_e32 v2, s11, v2
	v_cmp_gt_i32_e64 s11, 0, v6
	v_and_b32_e32 v0, v0, v7
	v_lshlrev_b32_e32 v7, 25, v28
	v_ashrrev_i32_e32 v5, 31, v5
	v_xor_b32_e32 v4, s12, v4
	v_not_b32_e32 v6, v3
	v_and_b32_e32 v0, v0, v2
	v_lshlrev_b32_e32 v2, 24, v28
	v_not_b32_e32 v53, v7
	v_xor_b32_e32 v5, s11, v5
	v_cmp_gt_i32_e64 s11, 0, v3
	v_and_b32_e32 v0, v0, v4
	v_ashrrev_i32_e32 v3, 31, v6
	v_cmp_gt_i32_e64 s12, 0, v7
	v_ashrrev_i32_e32 v4, 31, v53
	v_add_lshl_u32 v1, v21, v1, 2
	v_and_b32_e32 v0, v0, v5
	v_not_b32_e32 v5, v2
	v_xor_b32_e32 v3, s11, v3
	v_xor_b32_e32 v4, s12, v4
	v_cmp_gt_i32_e64 s11, 0, v2
	s_delay_alu instid0(VALU_DEP_4) | instskip(NEXT) | instid1(VALU_DEP_4)
	v_ashrrev_i32_e32 v2, 31, v5
	v_and_b32_e32 v0, v0, v3
	; wave barrier
	ds_load_b32 v53, v1 offset:16
	v_add_nc_u32_e32 v55, 16, v1
	v_xor_b32_e32 v2, s11, v2
	v_and_b32_e32 v0, v0, v4
	; wave barrier
	s_delay_alu instid0(VALU_DEP_1) | instskip(NEXT) | instid1(VALU_DEP_1)
	v_and_b32_e32 v0, v0, v2
	v_mbcnt_lo_u32_b32 v54, v0, 0
	v_cmp_ne_u32_e64 s12, 0, v0
	s_delay_alu instid0(VALU_DEP_2) | instskip(NEXT) | instid1(VALU_DEP_1)
	v_cmp_eq_u32_e64 s11, 0, v54
	s_and_b32 s12, s12, s11
	s_delay_alu instid0(SALU_CYCLE_1)
	s_and_saveexec_b32 s11, s12
	s_cbranch_execz .LBB63_14
; %bb.13:                               ;   in Loop: Header=BB63_2 Depth=1
	s_waitcnt lgkmcnt(0)
	v_bcnt_u32_b32 v0, v0, v53
	ds_store_b32 v55, v0
.LBB63_14:                              ;   in Loop: Header=BB63_2 Depth=1
	s_or_b32 exec_lo, exec_lo, s11
	v_and_b32_e32 v0, 1, v29
	v_lshlrev_b32_e32 v2, 30, v29
	v_lshlrev_b32_e32 v4, 29, v29
	;; [unrolled: 1-line block ×4, first 2 shown]
	v_add_co_u32 v0, s11, v0, -1
	s_delay_alu instid0(VALU_DEP_1)
	v_cndmask_b32_e64 v3, 0, 1, s11
	v_not_b32_e32 v7, v2
	v_cmp_gt_i32_e64 s12, 0, v2
	v_not_b32_e32 v2, v4
	v_and_b32_e32 v1, 0xff, v29
	v_cmp_ne_u32_e64 s11, 0, v3
	v_ashrrev_i32_e32 v7, 31, v7
	v_lshlrev_b32_e32 v3, 26, v29
	v_ashrrev_i32_e32 v2, 31, v2
	v_lshlrev_b32_e32 v1, 2, v1
	v_xor_b32_e32 v0, s11, v0
	v_cmp_gt_i32_e64 s11, 0, v4
	v_not_b32_e32 v4, v5
	v_xor_b32_e32 v7, s12, v7
	v_cmp_gt_i32_e64 s12, 0, v5
	v_and_b32_e32 v0, exec_lo, v0
	v_not_b32_e32 v5, v6
	v_ashrrev_i32_e32 v4, 31, v4
	v_xor_b32_e32 v2, s11, v2
	v_cmp_gt_i32_e64 s11, 0, v6
	v_and_b32_e32 v0, v0, v7
	v_lshlrev_b32_e32 v7, 25, v29
	v_ashrrev_i32_e32 v5, 31, v5
	v_xor_b32_e32 v4, s12, v4
	v_not_b32_e32 v6, v3
	v_and_b32_e32 v0, v0, v2
	v_lshlrev_b32_e32 v2, 24, v29
	v_not_b32_e32 v56, v7
	v_xor_b32_e32 v5, s11, v5
	v_cmp_gt_i32_e64 s11, 0, v3
	v_and_b32_e32 v0, v0, v4
	v_ashrrev_i32_e32 v3, 31, v6
	v_cmp_gt_i32_e64 s12, 0, v7
	v_ashrrev_i32_e32 v4, 31, v56
	v_add_lshl_u32 v1, v21, v1, 2
	v_and_b32_e32 v0, v0, v5
	v_not_b32_e32 v5, v2
	v_xor_b32_e32 v3, s11, v3
	v_xor_b32_e32 v4, s12, v4
	v_cmp_gt_i32_e64 s11, 0, v2
	s_delay_alu instid0(VALU_DEP_4) | instskip(NEXT) | instid1(VALU_DEP_4)
	v_ashrrev_i32_e32 v2, 31, v5
	v_and_b32_e32 v0, v0, v3
	; wave barrier
	ds_load_b32 v56, v1 offset:16
	v_add_nc_u32_e32 v58, 16, v1
	v_xor_b32_e32 v2, s11, v2
	v_and_b32_e32 v0, v0, v4
	; wave barrier
	s_delay_alu instid0(VALU_DEP_1) | instskip(NEXT) | instid1(VALU_DEP_1)
	v_and_b32_e32 v0, v0, v2
	v_mbcnt_lo_u32_b32 v57, v0, 0
	v_cmp_ne_u32_e64 s12, 0, v0
	s_delay_alu instid0(VALU_DEP_2) | instskip(NEXT) | instid1(VALU_DEP_1)
	v_cmp_eq_u32_e64 s11, 0, v57
	s_and_b32 s12, s12, s11
	s_delay_alu instid0(SALU_CYCLE_1)
	s_and_saveexec_b32 s11, s12
	s_cbranch_execz .LBB63_16
; %bb.15:                               ;   in Loop: Header=BB63_2 Depth=1
	s_waitcnt lgkmcnt(0)
	v_bcnt_u32_b32 v0, v0, v56
	ds_store_b32 v58, v0
.LBB63_16:                              ;   in Loop: Header=BB63_2 Depth=1
	s_or_b32 exec_lo, exec_lo, s11
	v_and_b32_e32 v0, 1, v30
	v_lshlrev_b32_e32 v2, 30, v30
	v_lshlrev_b32_e32 v4, 29, v30
	;; [unrolled: 1-line block ×4, first 2 shown]
	v_add_co_u32 v0, s11, v0, -1
	s_delay_alu instid0(VALU_DEP_1)
	v_cndmask_b32_e64 v3, 0, 1, s11
	v_not_b32_e32 v7, v2
	v_cmp_gt_i32_e64 s12, 0, v2
	v_not_b32_e32 v2, v4
	v_and_b32_e32 v1, 0xff, v30
	v_cmp_ne_u32_e64 s11, 0, v3
	v_ashrrev_i32_e32 v7, 31, v7
	v_lshlrev_b32_e32 v3, 26, v30
	v_ashrrev_i32_e32 v2, 31, v2
	v_lshlrev_b32_e32 v1, 2, v1
	v_xor_b32_e32 v0, s11, v0
	v_cmp_gt_i32_e64 s11, 0, v4
	v_not_b32_e32 v4, v5
	v_xor_b32_e32 v7, s12, v7
	v_cmp_gt_i32_e64 s12, 0, v5
	v_and_b32_e32 v0, exec_lo, v0
	v_not_b32_e32 v5, v6
	v_ashrrev_i32_e32 v4, 31, v4
	v_xor_b32_e32 v2, s11, v2
	v_cmp_gt_i32_e64 s11, 0, v6
	v_and_b32_e32 v0, v0, v7
	v_lshlrev_b32_e32 v7, 25, v30
	v_ashrrev_i32_e32 v5, 31, v5
	v_xor_b32_e32 v4, s12, v4
	v_not_b32_e32 v6, v3
	v_and_b32_e32 v0, v0, v2
	v_lshlrev_b32_e32 v2, 24, v30
	v_not_b32_e32 v59, v7
	v_xor_b32_e32 v5, s11, v5
	v_cmp_gt_i32_e64 s11, 0, v3
	v_and_b32_e32 v0, v0, v4
	v_ashrrev_i32_e32 v3, 31, v6
	v_cmp_gt_i32_e64 s12, 0, v7
	v_ashrrev_i32_e32 v4, 31, v59
	v_add_lshl_u32 v1, v21, v1, 2
	v_and_b32_e32 v0, v0, v5
	v_not_b32_e32 v5, v2
	v_xor_b32_e32 v3, s11, v3
	v_xor_b32_e32 v4, s12, v4
	v_cmp_gt_i32_e64 s11, 0, v2
	s_delay_alu instid0(VALU_DEP_4) | instskip(NEXT) | instid1(VALU_DEP_4)
	v_ashrrev_i32_e32 v2, 31, v5
	v_and_b32_e32 v0, v0, v3
	; wave barrier
	ds_load_b32 v59, v1 offset:16
	v_add_nc_u32_e32 v61, 16, v1
	v_xor_b32_e32 v2, s11, v2
	v_and_b32_e32 v0, v0, v4
	; wave barrier
	s_delay_alu instid0(VALU_DEP_1) | instskip(NEXT) | instid1(VALU_DEP_1)
	v_and_b32_e32 v0, v0, v2
	v_mbcnt_lo_u32_b32 v60, v0, 0
	v_cmp_ne_u32_e64 s12, 0, v0
	s_delay_alu instid0(VALU_DEP_2) | instskip(NEXT) | instid1(VALU_DEP_1)
	v_cmp_eq_u32_e64 s11, 0, v60
	s_and_b32 s12, s12, s11
	s_delay_alu instid0(SALU_CYCLE_1)
	s_and_saveexec_b32 s11, s12
	s_cbranch_execz .LBB63_18
; %bb.17:                               ;   in Loop: Header=BB63_2 Depth=1
	s_waitcnt lgkmcnt(0)
	v_bcnt_u32_b32 v0, v0, v59
	ds_store_b32 v61, v0
.LBB63_18:                              ;   in Loop: Header=BB63_2 Depth=1
	s_or_b32 exec_lo, exec_lo, s11
	; wave barrier
	s_waitcnt lgkmcnt(0)
	s_barrier
	buffer_gl0_inv
	ds_load_2addr_b64 v[4:7], v13 offset0:2 offset1:3
	ds_load_2addr_b64 v[0:3], v15 offset0:2 offset1:3
	s_waitcnt lgkmcnt(1)
	v_add_nc_u32_e32 v62, v5, v4
	s_delay_alu instid0(VALU_DEP_1) | instskip(SKIP_1) | instid1(VALU_DEP_1)
	v_add3_u32 v62, v62, v6, v7
	s_waitcnt lgkmcnt(0)
	v_add3_u32 v62, v62, v0, v1
	s_delay_alu instid0(VALU_DEP_1) | instskip(NEXT) | instid1(VALU_DEP_1)
	v_add3_u32 v3, v62, v2, v3
	v_mov_b32_dpp v62, v3 row_shr:1 row_mask:0xf bank_mask:0xf
	s_delay_alu instid0(VALU_DEP_1) | instskip(NEXT) | instid1(VALU_DEP_1)
	v_cndmask_b32_e64 v62, v62, 0, s0
	v_add_nc_u32_e32 v3, v62, v3
	s_delay_alu instid0(VALU_DEP_1) | instskip(NEXT) | instid1(VALU_DEP_1)
	v_mov_b32_dpp v62, v3 row_shr:2 row_mask:0xf bank_mask:0xf
	v_cndmask_b32_e64 v62, 0, v62, s1
	s_delay_alu instid0(VALU_DEP_1) | instskip(NEXT) | instid1(VALU_DEP_1)
	v_add_nc_u32_e32 v3, v3, v62
	v_mov_b32_dpp v62, v3 row_shr:4 row_mask:0xf bank_mask:0xf
	s_delay_alu instid0(VALU_DEP_1) | instskip(NEXT) | instid1(VALU_DEP_1)
	v_cndmask_b32_e64 v62, 0, v62, s2
	v_add_nc_u32_e32 v3, v3, v62
	s_delay_alu instid0(VALU_DEP_1) | instskip(NEXT) | instid1(VALU_DEP_1)
	v_mov_b32_dpp v62, v3 row_shr:8 row_mask:0xf bank_mask:0xf
	v_cndmask_b32_e64 v62, 0, v62, s3
	s_delay_alu instid0(VALU_DEP_1) | instskip(SKIP_3) | instid1(VALU_DEP_1)
	v_add_nc_u32_e32 v3, v3, v62
	ds_swizzle_b32 v62, v3 offset:swizzle(BROADCAST,32,15)
	s_waitcnt lgkmcnt(0)
	v_cndmask_b32_e64 v62, v62, 0, s4
	v_add_nc_u32_e32 v3, v3, v62
	s_and_saveexec_b32 s11, s10
	s_cbranch_execz .LBB63_20
; %bb.19:                               ;   in Loop: Header=BB63_2 Depth=1
	ds_store_b32 v18, v3
.LBB63_20:                              ;   in Loop: Header=BB63_2 Depth=1
	s_or_b32 exec_lo, exec_lo, s11
	s_waitcnt lgkmcnt(0)
	s_barrier
	buffer_gl0_inv
	s_and_saveexec_b32 s11, s5
	s_cbranch_execz .LBB63_22
; %bb.21:                               ;   in Loop: Header=BB63_2 Depth=1
	ds_load_b32 v62, v22
	s_waitcnt lgkmcnt(0)
	v_mov_b32_dpp v63, v62 row_shr:1 row_mask:0xf bank_mask:0xf
	s_delay_alu instid0(VALU_DEP_1) | instskip(NEXT) | instid1(VALU_DEP_1)
	v_cndmask_b32_e64 v63, v63, 0, s8
	v_add_nc_u32_e32 v62, v63, v62
	s_delay_alu instid0(VALU_DEP_1) | instskip(NEXT) | instid1(VALU_DEP_1)
	v_mov_b32_dpp v63, v62 row_shr:2 row_mask:0xf bank_mask:0xf
	v_cndmask_b32_e64 v63, 0, v63, s9
	s_delay_alu instid0(VALU_DEP_1)
	v_add_nc_u32_e32 v62, v62, v63
	ds_store_b32 v22, v62
.LBB63_22:                              ;   in Loop: Header=BB63_2 Depth=1
	s_or_b32 exec_lo, exec_lo, s11
	v_mov_b32_e32 v62, 0
	s_waitcnt lgkmcnt(0)
	s_barrier
	buffer_gl0_inv
	s_and_saveexec_b32 s11, s6
	s_cbranch_execz .LBB63_1
; %bb.23:                               ;   in Loop: Header=BB63_2 Depth=1
	ds_load_b32 v62, v20
	s_branch .LBB63_1
.LBB63_24:
	s_waitcnt lgkmcnt(0)
	v_lshrrev_b32_e32 v9, 8, v0
	s_add_u32 s0, s18, s13
	v_lshrrev_b32_e32 v10, 16, v0
	v_lshrrev_b32_e32 v11, 24, v0
	v_add_nc_u16 v0, v6, v0
	s_addc_u32 s1, s19, 0
	v_add_co_u32 v6, s0, s0, v8
	v_lshrrev_b32_e32 v12, 8, v1
	v_lshrrev_b32_e32 v13, 16, v1
	;; [unrolled: 1-line block ×3, first 2 shown]
	v_add_nc_u16 v9, v7, v9
	v_add_co_ci_u32_e64 v7, null, s1, 0, s0
	v_add_nc_u16 v10, v23, v10
	v_add_nc_u16 v11, v24, v11
	;; [unrolled: 1-line block ×6, first 2 shown]
	s_clause 0x7
	global_store_b8 v[6:7], v0, off
	global_store_b8 v[6:7], v9, off offset:128
	global_store_b8 v[6:7], v10, off offset:256
	;; [unrolled: 1-line block ×7, first 2 shown]
	s_nop 0
	s_sendmsg sendmsg(MSG_DEALLOC_VGPRS)
	s_endpgm
	.section	.rodata,"a",@progbits
	.p2align	6, 0x0
	.amdhsa_kernel _Z17sort_pairs_kernelI22helper_blocked_blockedaLj128ELj8ELj10EEvPKT0_PS1_
		.amdhsa_group_segment_fixed_size 4112
		.amdhsa_private_segment_fixed_size 0
		.amdhsa_kernarg_size 272
		.amdhsa_user_sgpr_count 15
		.amdhsa_user_sgpr_dispatch_ptr 0
		.amdhsa_user_sgpr_queue_ptr 0
		.amdhsa_user_sgpr_kernarg_segment_ptr 1
		.amdhsa_user_sgpr_dispatch_id 0
		.amdhsa_user_sgpr_private_segment_size 0
		.amdhsa_wavefront_size32 1
		.amdhsa_uses_dynamic_stack 0
		.amdhsa_enable_private_segment 0
		.amdhsa_system_sgpr_workgroup_id_x 1
		.amdhsa_system_sgpr_workgroup_id_y 0
		.amdhsa_system_sgpr_workgroup_id_z 0
		.amdhsa_system_sgpr_workgroup_info 0
		.amdhsa_system_vgpr_workitem_id 2
		.amdhsa_next_free_vgpr 64
		.amdhsa_next_free_sgpr 20
		.amdhsa_reserve_vcc 1
		.amdhsa_float_round_mode_32 0
		.amdhsa_float_round_mode_16_64 0
		.amdhsa_float_denorm_mode_32 3
		.amdhsa_float_denorm_mode_16_64 3
		.amdhsa_dx10_clamp 1
		.amdhsa_ieee_mode 1
		.amdhsa_fp16_overflow 0
		.amdhsa_workgroup_processor_mode 1
		.amdhsa_memory_ordered 1
		.amdhsa_forward_progress 0
		.amdhsa_shared_vgpr_count 0
		.amdhsa_exception_fp_ieee_invalid_op 0
		.amdhsa_exception_fp_denorm_src 0
		.amdhsa_exception_fp_ieee_div_zero 0
		.amdhsa_exception_fp_ieee_overflow 0
		.amdhsa_exception_fp_ieee_underflow 0
		.amdhsa_exception_fp_ieee_inexact 0
		.amdhsa_exception_int_div_zero 0
	.end_amdhsa_kernel
	.section	.text._Z17sort_pairs_kernelI22helper_blocked_blockedaLj128ELj8ELj10EEvPKT0_PS1_,"axG",@progbits,_Z17sort_pairs_kernelI22helper_blocked_blockedaLj128ELj8ELj10EEvPKT0_PS1_,comdat
.Lfunc_end63:
	.size	_Z17sort_pairs_kernelI22helper_blocked_blockedaLj128ELj8ELj10EEvPKT0_PS1_, .Lfunc_end63-_Z17sort_pairs_kernelI22helper_blocked_blockedaLj128ELj8ELj10EEvPKT0_PS1_
                                        ; -- End function
	.section	.AMDGPU.csdata,"",@progbits
; Kernel info:
; codeLenInByte = 5096
; NumSgprs: 22
; NumVgprs: 64
; ScratchSize: 0
; MemoryBound: 0
; FloatMode: 240
; IeeeMode: 1
; LDSByteSize: 4112 bytes/workgroup (compile time only)
; SGPRBlocks: 2
; VGPRBlocks: 7
; NumSGPRsForWavesPerEU: 22
; NumVGPRsForWavesPerEU: 64
; Occupancy: 16
; WaveLimiterHint : 1
; COMPUTE_PGM_RSRC2:SCRATCH_EN: 0
; COMPUTE_PGM_RSRC2:USER_SGPR: 15
; COMPUTE_PGM_RSRC2:TRAP_HANDLER: 0
; COMPUTE_PGM_RSRC2:TGID_X_EN: 1
; COMPUTE_PGM_RSRC2:TGID_Y_EN: 0
; COMPUTE_PGM_RSRC2:TGID_Z_EN: 0
; COMPUTE_PGM_RSRC2:TIDIG_COMP_CNT: 2
	.section	.text._Z16sort_keys_kernelI22helper_blocked_blockedaLj192ELj1ELj10EEvPKT0_PS1_,"axG",@progbits,_Z16sort_keys_kernelI22helper_blocked_blockedaLj192ELj1ELj10EEvPKT0_PS1_,comdat
	.protected	_Z16sort_keys_kernelI22helper_blocked_blockedaLj192ELj1ELj10EEvPKT0_PS1_ ; -- Begin function _Z16sort_keys_kernelI22helper_blocked_blockedaLj192ELj1ELj10EEvPKT0_PS1_
	.globl	_Z16sort_keys_kernelI22helper_blocked_blockedaLj192ELj1ELj10EEvPKT0_PS1_
	.p2align	8
	.type	_Z16sort_keys_kernelI22helper_blocked_blockedaLj192ELj1ELj10EEvPKT0_PS1_,@function
_Z16sort_keys_kernelI22helper_blocked_blockedaLj192ELj1ELj10EEvPKT0_PS1_: ; @_Z16sort_keys_kernelI22helper_blocked_blockedaLj192ELj1ELj10EEvPKT0_PS1_
; %bb.0:
	s_clause 0x1
	s_load_b128 s[16:19], s[0:1], 0x0
	s_load_b32 s10, s[0:1], 0x1c
	s_mulk_i32 s15, 0xc0
	v_and_b32_e32 v8, 0x3ff, v0
	v_mbcnt_lo_u32_b32 v1, -1, 0
	v_bfe_u32 v3, v0, 10, 10
	v_bfe_u32 v0, v0, 20, 10
	s_delay_alu instid0(VALU_DEP_3) | instskip(SKIP_4) | instid1(VALU_DEP_4)
	v_and_b32_e32 v4, 15, v1
	v_add_nc_u32_e32 v6, -1, v1
	v_cmp_eq_u32_e32 vcc_lo, 0, v1
	v_and_b32_e32 v7, 7, v1
	v_and_b32_e32 v5, 16, v1
	v_cmp_gt_i32_e64 s7, 0, v6
	s_delay_alu instid0(VALU_DEP_3) | instskip(NEXT) | instid1(VALU_DEP_3)
	v_cmp_eq_u32_e64 s8, 0, v7
	v_cmp_eq_u32_e64 s4, 0, v5
	s_waitcnt lgkmcnt(0)
	s_add_u32 s0, s16, s15
	s_addc_u32 s1, s17, 0
	s_lshr_b32 s9, s10, 16
	global_load_u8 v2, v8, s[0:1]
	s_mov_b32 s0, 0
	v_mad_u32_u24 v3, v0, s9, v3
	s_mov_b32 s1, s0
	s_mov_b32 s3, s0
	;; [unrolled: 1-line block ×3, first 2 shown]
	v_mov_b32_e32 v10, s1
	v_dual_mov_b32 v12, s3 :: v_dual_mov_b32 v9, s0
	v_mov_b32_e32 v11, s2
	v_cmp_eq_u32_e64 s0, 0, v4
	v_cmp_lt_u32_e64 s1, 1, v4
	v_cmp_lt_u32_e64 s2, 3, v4
	;; [unrolled: 1-line block ×3, first 2 shown]
	v_and_b32_e32 v4, 0xe0, v8
	v_cndmask_b32_e64 v5, v6, v1, s7
	v_lshrrev_b32_e32 v6, 3, v8
	s_and_b32 s10, s10, 0xffff
	v_lshlrev_b32_e32 v13, 5, v8
	v_min_u32_e32 v4, 0xa0, v4
	v_mad_u64_u32 v[0:1], null, v3, s10, v[8:9]
	v_mul_u32_u24_e32 v19, 3, v8
	v_and_b32_e32 v14, 28, v6
	s_delay_alu instid0(VALU_DEP_4)
	v_or_b32_e32 v1, 31, v4
	v_cmp_gt_u32_e64 s5, 6, v8
	v_cmp_lt_u32_e64 s6, 31, v8
	v_cmp_eq_u32_e64 s7, 0, v8
	v_cmp_lt_u32_e64 s9, 1, v7
	v_cmp_lt_u32_e64 s10, 3, v7
	v_or_b32_e32 v15, 24, v13
	v_lshlrev_b32_e32 v16, 2, v5
	v_add_nc_u32_e32 v17, -4, v14
	v_cmp_eq_u32_e64 s11, v1, v8
	v_lshrrev_b32_e32 v18, 5, v0
	v_add_nc_u32_e32 v19, v8, v19
	s_mov_b32 s16, 10
	s_waitcnt vmcnt(0)
	v_xor_b32_e32 v20, 0xffffff80, v2
	s_branch .LBB64_2
.LBB64_1:                               ;   in Loop: Header=BB64_2 Depth=1
	s_or_b32 exec_lo, exec_lo, s12
	s_waitcnt lgkmcnt(0)
	v_add_nc_u32_e32 v3, v23, v3
	s_add_i32 s16, s16, -1
	s_delay_alu instid0(SALU_CYCLE_1) | instskip(SKIP_3) | instid1(VALU_DEP_1)
	s_cmp_eq_u32 s16, 0
	ds_bpermute_b32 v3, v16, v3
	s_waitcnt lgkmcnt(0)
	v_cndmask_b32_e32 v3, v3, v23, vcc_lo
	v_cndmask_b32_e64 v3, v3, 0, s7
	s_delay_alu instid0(VALU_DEP_1) | instskip(NEXT) | instid1(VALU_DEP_1)
	v_add_nc_u32_e32 v4, v3, v4
	v_add_nc_u32_e32 v5, v4, v5
	s_delay_alu instid0(VALU_DEP_1) | instskip(NEXT) | instid1(VALU_DEP_1)
	v_add_nc_u32_e32 v6, v5, v6
	v_add_nc_u32_e32 v23, v6, v7
	s_delay_alu instid0(VALU_DEP_1) | instskip(NEXT) | instid1(VALU_DEP_1)
	v_add_nc_u32_e32 v24, v23, v0
	v_add_nc_u32_e32 v0, v24, v1
	s_delay_alu instid0(VALU_DEP_1)
	v_add_nc_u32_e32 v1, v0, v2
	ds_store_2addr_b64 v13, v[3:4], v[5:6] offset0:3 offset1:4
	ds_store_2addr_b64 v15, v[23:24], v[0:1] offset0:2 offset1:3
	s_waitcnt lgkmcnt(0)
	s_barrier
	buffer_gl0_inv
	ds_load_b32 v0, v22
	s_waitcnt lgkmcnt(0)
	s_barrier
	buffer_gl0_inv
	v_add_nc_u32_e32 v0, v0, v21
	ds_store_b8 v0, v20
	s_waitcnt lgkmcnt(0)
	s_barrier
	buffer_gl0_inv
	ds_load_u8 v20, v8
	s_cbranch_scc1 .LBB64_10
.LBB64_2:                               ; =>This Inner Loop Header: Depth=1
	s_waitcnt lgkmcnt(0)
	s_delay_alu instid0(VALU_DEP_1)
	v_and_b32_e32 v0, 1, v20
	v_lshlrev_b32_e32 v1, 30, v20
	v_lshlrev_b32_e32 v2, 29, v20
	;; [unrolled: 1-line block ×4, first 2 shown]
	v_add_co_u32 v0, s12, v0, -1
	s_delay_alu instid0(VALU_DEP_1)
	v_cndmask_b32_e64 v3, 0, 1, s12
	v_not_b32_e32 v7, v1
	v_cmp_gt_i32_e64 s13, 0, v1
	v_not_b32_e32 v1, v2
	v_lshlrev_b32_e32 v6, 26, v20
	v_cmp_ne_u32_e64 s12, 0, v3
	v_ashrrev_i32_e32 v7, 31, v7
	v_lshlrev_b32_e32 v3, 25, v20
	v_ashrrev_i32_e32 v1, 31, v1
	v_cmp_gt_i32_e64 s14, 0, v5
	v_xor_b32_e32 v0, s12, v0
	v_cmp_gt_i32_e64 s12, 0, v2
	v_not_b32_e32 v2, v4
	v_xor_b32_e32 v7, s13, v7
	v_cmp_gt_i32_e64 s13, 0, v4
	v_and_b32_e32 v0, exec_lo, v0
	v_xor_b32_e32 v1, s12, v1
	v_ashrrev_i32_e32 v2, 31, v2
	v_not_b32_e32 v4, v5
	v_not_b32_e32 v5, v6
	v_and_b32_e32 v0, v0, v7
	v_cmp_gt_i32_e64 s12, 0, v6
	v_xor_b32_e32 v2, s13, v2
	v_not_b32_e32 v6, v3
	ds_store_2addr_b64 v13, v[9:10], v[11:12] offset0:3 offset1:4
	ds_store_2addr_b64 v15, v[9:10], v[11:12] offset0:2 offset1:3
	v_and_b32_e32 v0, v0, v1
	v_ashrrev_i32_e32 v1, 31, v4
	v_ashrrev_i32_e32 v4, 31, v5
	v_lshlrev_b32_e32 v5, 24, v20
	s_waitcnt lgkmcnt(0)
	v_and_b32_e32 v0, v0, v2
	v_xor_b32_e32 v1, s14, v1
	v_xor_b32_e32 v2, s12, v4
	v_cmp_gt_i32_e64 s12, 0, v3
	v_not_b32_e32 v3, v5
	v_ashrrev_i32_e32 v4, 31, v6
	v_and_b32_e32 v0, v0, v1
	v_cmp_gt_i32_e64 s13, 0, v5
	s_barrier
	v_ashrrev_i32_e32 v1, 31, v3
	v_xor_b32_e32 v3, s12, v4
	v_and_b32_e32 v0, v0, v2
	buffer_gl0_inv
	v_xor_b32_e32 v1, s13, v1
	; wave barrier
	v_and_b32_e32 v0, v0, v3
	s_delay_alu instid0(VALU_DEP_1) | instskip(SKIP_1) | instid1(VALU_DEP_2)
	v_and_b32_e32 v0, v0, v1
	v_and_b32_e32 v1, 0xff, v20
	v_mbcnt_lo_u32_b32 v21, v0, 0
	s_delay_alu instid0(VALU_DEP_2) | instskip(SKIP_1) | instid1(VALU_DEP_3)
	v_mad_u32_u24 v1, v1, 6, v18
	v_cmp_ne_u32_e64 s13, 0, v0
	v_cmp_eq_u32_e64 s12, 0, v21
	s_delay_alu instid0(VALU_DEP_3) | instskip(NEXT) | instid1(VALU_DEP_2)
	v_lshl_add_u32 v22, v1, 2, 24
	s_and_b32 s13, s13, s12
	s_delay_alu instid0(SALU_CYCLE_1)
	s_and_saveexec_b32 s12, s13
	s_cbranch_execz .LBB64_4
; %bb.3:                                ;   in Loop: Header=BB64_2 Depth=1
	v_bcnt_u32_b32 v0, v0, 0
	ds_store_b32 v22, v0
.LBB64_4:                               ;   in Loop: Header=BB64_2 Depth=1
	s_or_b32 exec_lo, exec_lo, s12
	; wave barrier
	s_waitcnt lgkmcnt(0)
	s_barrier
	buffer_gl0_inv
	ds_load_2addr_b64 v[4:7], v13 offset0:3 offset1:4
	ds_load_2addr_b64 v[0:3], v15 offset0:2 offset1:3
	s_waitcnt lgkmcnt(1)
	v_add_nc_u32_e32 v23, v5, v4
	s_delay_alu instid0(VALU_DEP_1) | instskip(SKIP_1) | instid1(VALU_DEP_1)
	v_add3_u32 v23, v23, v6, v7
	s_waitcnt lgkmcnt(0)
	v_add3_u32 v23, v23, v0, v1
	s_delay_alu instid0(VALU_DEP_1) | instskip(NEXT) | instid1(VALU_DEP_1)
	v_add3_u32 v3, v23, v2, v3
	v_mov_b32_dpp v23, v3 row_shr:1 row_mask:0xf bank_mask:0xf
	s_delay_alu instid0(VALU_DEP_1) | instskip(NEXT) | instid1(VALU_DEP_1)
	v_cndmask_b32_e64 v23, v23, 0, s0
	v_add_nc_u32_e32 v3, v23, v3
	s_delay_alu instid0(VALU_DEP_1) | instskip(NEXT) | instid1(VALU_DEP_1)
	v_mov_b32_dpp v23, v3 row_shr:2 row_mask:0xf bank_mask:0xf
	v_cndmask_b32_e64 v23, 0, v23, s1
	s_delay_alu instid0(VALU_DEP_1) | instskip(NEXT) | instid1(VALU_DEP_1)
	v_add_nc_u32_e32 v3, v3, v23
	v_mov_b32_dpp v23, v3 row_shr:4 row_mask:0xf bank_mask:0xf
	s_delay_alu instid0(VALU_DEP_1) | instskip(NEXT) | instid1(VALU_DEP_1)
	v_cndmask_b32_e64 v23, 0, v23, s2
	v_add_nc_u32_e32 v3, v3, v23
	s_delay_alu instid0(VALU_DEP_1) | instskip(NEXT) | instid1(VALU_DEP_1)
	v_mov_b32_dpp v23, v3 row_shr:8 row_mask:0xf bank_mask:0xf
	v_cndmask_b32_e64 v23, 0, v23, s3
	s_delay_alu instid0(VALU_DEP_1) | instskip(SKIP_3) | instid1(VALU_DEP_1)
	v_add_nc_u32_e32 v3, v3, v23
	ds_swizzle_b32 v23, v3 offset:swizzle(BROADCAST,32,15)
	s_waitcnt lgkmcnt(0)
	v_cndmask_b32_e64 v23, v23, 0, s4
	v_add_nc_u32_e32 v3, v3, v23
	s_and_saveexec_b32 s12, s11
	s_cbranch_execz .LBB64_6
; %bb.5:                                ;   in Loop: Header=BB64_2 Depth=1
	ds_store_b32 v14, v3
.LBB64_6:                               ;   in Loop: Header=BB64_2 Depth=1
	s_or_b32 exec_lo, exec_lo, s12
	s_waitcnt lgkmcnt(0)
	s_barrier
	buffer_gl0_inv
	s_and_saveexec_b32 s12, s5
	s_cbranch_execz .LBB64_8
; %bb.7:                                ;   in Loop: Header=BB64_2 Depth=1
	ds_load_b32 v23, v19
	s_waitcnt lgkmcnt(0)
	v_mov_b32_dpp v24, v23 row_shr:1 row_mask:0xf bank_mask:0xf
	s_delay_alu instid0(VALU_DEP_1) | instskip(NEXT) | instid1(VALU_DEP_1)
	v_cndmask_b32_e64 v24, v24, 0, s8
	v_add_nc_u32_e32 v23, v24, v23
	s_delay_alu instid0(VALU_DEP_1) | instskip(NEXT) | instid1(VALU_DEP_1)
	v_mov_b32_dpp v24, v23 row_shr:2 row_mask:0xf bank_mask:0xf
	v_cndmask_b32_e64 v24, 0, v24, s9
	s_delay_alu instid0(VALU_DEP_1) | instskip(NEXT) | instid1(VALU_DEP_1)
	v_add_nc_u32_e32 v23, v23, v24
	v_mov_b32_dpp v24, v23 row_shr:4 row_mask:0xf bank_mask:0xf
	s_delay_alu instid0(VALU_DEP_1) | instskip(NEXT) | instid1(VALU_DEP_1)
	v_cndmask_b32_e64 v24, 0, v24, s10
	v_add_nc_u32_e32 v23, v23, v24
	ds_store_b32 v19, v23
.LBB64_8:                               ;   in Loop: Header=BB64_2 Depth=1
	s_or_b32 exec_lo, exec_lo, s12
	v_mov_b32_e32 v23, 0
	s_waitcnt lgkmcnt(0)
	s_barrier
	buffer_gl0_inv
	s_and_saveexec_b32 s12, s6
	s_cbranch_execz .LBB64_1
; %bb.9:                                ;   in Loop: Header=BB64_2 Depth=1
	ds_load_b32 v23, v17
	s_branch .LBB64_1
.LBB64_10:
	s_add_u32 s0, s18, s15
	s_addc_u32 s1, s19, 0
	v_add_co_u32 v0, s0, s0, v8
	s_waitcnt lgkmcnt(0)
	v_xor_b32_e32 v2, 0x80, v20
	v_add_co_ci_u32_e64 v1, null, s1, 0, s0
	global_store_b8 v[0:1], v2, off
	s_nop 0
	s_sendmsg sendmsg(MSG_DEALLOC_VGPRS)
	s_endpgm
	.section	.rodata,"a",@progbits
	.p2align	6, 0x0
	.amdhsa_kernel _Z16sort_keys_kernelI22helper_blocked_blockedaLj192ELj1ELj10EEvPKT0_PS1_
		.amdhsa_group_segment_fixed_size 6176
		.amdhsa_private_segment_fixed_size 0
		.amdhsa_kernarg_size 272
		.amdhsa_user_sgpr_count 15
		.amdhsa_user_sgpr_dispatch_ptr 0
		.amdhsa_user_sgpr_queue_ptr 0
		.amdhsa_user_sgpr_kernarg_segment_ptr 1
		.amdhsa_user_sgpr_dispatch_id 0
		.amdhsa_user_sgpr_private_segment_size 0
		.amdhsa_wavefront_size32 1
		.amdhsa_uses_dynamic_stack 0
		.amdhsa_enable_private_segment 0
		.amdhsa_system_sgpr_workgroup_id_x 1
		.amdhsa_system_sgpr_workgroup_id_y 0
		.amdhsa_system_sgpr_workgroup_id_z 0
		.amdhsa_system_sgpr_workgroup_info 0
		.amdhsa_system_vgpr_workitem_id 2
		.amdhsa_next_free_vgpr 25
		.amdhsa_next_free_sgpr 20
		.amdhsa_reserve_vcc 1
		.amdhsa_float_round_mode_32 0
		.amdhsa_float_round_mode_16_64 0
		.amdhsa_float_denorm_mode_32 3
		.amdhsa_float_denorm_mode_16_64 3
		.amdhsa_dx10_clamp 1
		.amdhsa_ieee_mode 1
		.amdhsa_fp16_overflow 0
		.amdhsa_workgroup_processor_mode 1
		.amdhsa_memory_ordered 1
		.amdhsa_forward_progress 0
		.amdhsa_shared_vgpr_count 0
		.amdhsa_exception_fp_ieee_invalid_op 0
		.amdhsa_exception_fp_denorm_src 0
		.amdhsa_exception_fp_ieee_div_zero 0
		.amdhsa_exception_fp_ieee_overflow 0
		.amdhsa_exception_fp_ieee_underflow 0
		.amdhsa_exception_fp_ieee_inexact 0
		.amdhsa_exception_int_div_zero 0
	.end_amdhsa_kernel
	.section	.text._Z16sort_keys_kernelI22helper_blocked_blockedaLj192ELj1ELj10EEvPKT0_PS1_,"axG",@progbits,_Z16sort_keys_kernelI22helper_blocked_blockedaLj192ELj1ELj10EEvPKT0_PS1_,comdat
.Lfunc_end64:
	.size	_Z16sort_keys_kernelI22helper_blocked_blockedaLj192ELj1ELj10EEvPKT0_PS1_, .Lfunc_end64-_Z16sort_keys_kernelI22helper_blocked_blockedaLj192ELj1ELj10EEvPKT0_PS1_
                                        ; -- End function
	.section	.AMDGPU.csdata,"",@progbits
; Kernel info:
; codeLenInByte = 1360
; NumSgprs: 22
; NumVgprs: 25
; ScratchSize: 0
; MemoryBound: 0
; FloatMode: 240
; IeeeMode: 1
; LDSByteSize: 6176 bytes/workgroup (compile time only)
; SGPRBlocks: 2
; VGPRBlocks: 3
; NumSGPRsForWavesPerEU: 22
; NumVGPRsForWavesPerEU: 25
; Occupancy: 15
; WaveLimiterHint : 0
; COMPUTE_PGM_RSRC2:SCRATCH_EN: 0
; COMPUTE_PGM_RSRC2:USER_SGPR: 15
; COMPUTE_PGM_RSRC2:TRAP_HANDLER: 0
; COMPUTE_PGM_RSRC2:TGID_X_EN: 1
; COMPUTE_PGM_RSRC2:TGID_Y_EN: 0
; COMPUTE_PGM_RSRC2:TGID_Z_EN: 0
; COMPUTE_PGM_RSRC2:TIDIG_COMP_CNT: 2
	.section	.text._Z17sort_pairs_kernelI22helper_blocked_blockedaLj192ELj1ELj10EEvPKT0_PS1_,"axG",@progbits,_Z17sort_pairs_kernelI22helper_blocked_blockedaLj192ELj1ELj10EEvPKT0_PS1_,comdat
	.protected	_Z17sort_pairs_kernelI22helper_blocked_blockedaLj192ELj1ELj10EEvPKT0_PS1_ ; -- Begin function _Z17sort_pairs_kernelI22helper_blocked_blockedaLj192ELj1ELj10EEvPKT0_PS1_
	.globl	_Z17sort_pairs_kernelI22helper_blocked_blockedaLj192ELj1ELj10EEvPKT0_PS1_
	.p2align	8
	.type	_Z17sort_pairs_kernelI22helper_blocked_blockedaLj192ELj1ELj10EEvPKT0_PS1_,@function
_Z17sort_pairs_kernelI22helper_blocked_blockedaLj192ELj1ELj10EEvPKT0_PS1_: ; @_Z17sort_pairs_kernelI22helper_blocked_blockedaLj192ELj1ELj10EEvPKT0_PS1_
; %bb.0:
	s_clause 0x1
	s_load_b128 s[16:19], s[0:1], 0x0
	s_load_b32 s10, s[0:1], 0x1c
	s_mulk_i32 s15, 0xc0
	v_and_b32_e32 v8, 0x3ff, v0
	v_mbcnt_lo_u32_b32 v1, -1, 0
	v_bfe_u32 v3, v0, 10, 10
	v_bfe_u32 v0, v0, 20, 10
	s_delay_alu instid0(VALU_DEP_3) | instskip(SKIP_4) | instid1(VALU_DEP_4)
	v_and_b32_e32 v4, 15, v1
	v_add_nc_u32_e32 v6, -1, v1
	v_cmp_eq_u32_e32 vcc_lo, 0, v1
	v_and_b32_e32 v7, 7, v1
	v_and_b32_e32 v5, 16, v1
	v_cmp_gt_i32_e64 s7, 0, v6
	s_delay_alu instid0(VALU_DEP_3) | instskip(NEXT) | instid1(VALU_DEP_3)
	v_cmp_eq_u32_e64 s8, 0, v7
	v_cmp_eq_u32_e64 s4, 0, v5
	s_waitcnt lgkmcnt(0)
	s_add_u32 s0, s16, s15
	s_addc_u32 s1, s17, 0
	s_lshr_b32 s9, s10, 16
	global_load_u8 v2, v8, s[0:1]
	s_mov_b32 s0, 0
	v_mad_u32_u24 v3, v0, s9, v3
	s_mov_b32 s1, s0
	s_mov_b32 s3, s0
	;; [unrolled: 1-line block ×3, first 2 shown]
	v_mov_b32_e32 v10, s1
	v_dual_mov_b32 v12, s3 :: v_dual_mov_b32 v9, s0
	v_mov_b32_e32 v11, s2
	v_cmp_eq_u32_e64 s0, 0, v4
	v_cmp_lt_u32_e64 s1, 1, v4
	v_cmp_lt_u32_e64 s2, 3, v4
	;; [unrolled: 1-line block ×3, first 2 shown]
	v_and_b32_e32 v4, 0xe0, v8
	v_cndmask_b32_e64 v5, v6, v1, s7
	v_lshrrev_b32_e32 v6, 3, v8
	s_and_b32 s10, s10, 0xffff
	v_lshlrev_b32_e32 v13, 5, v8
	v_min_u32_e32 v4, 0xa0, v4
	v_mad_u64_u32 v[0:1], null, v3, s10, v[8:9]
	v_mul_u32_u24_e32 v19, 3, v8
	v_and_b32_e32 v14, 28, v6
	s_delay_alu instid0(VALU_DEP_4)
	v_or_b32_e32 v1, 31, v4
	v_cmp_gt_u32_e64 s5, 6, v8
	v_cmp_lt_u32_e64 s6, 31, v8
	v_cmp_eq_u32_e64 s7, 0, v8
	v_cmp_lt_u32_e64 s9, 1, v7
	v_cmp_lt_u32_e64 s10, 3, v7
	v_or_b32_e32 v15, 24, v13
	v_lshlrev_b32_e32 v16, 2, v5
	v_add_nc_u32_e32 v17, -4, v14
	v_cmp_eq_u32_e64 s11, v1, v8
	v_lshrrev_b32_e32 v18, 5, v0
	v_add_nc_u32_e32 v19, v8, v19
	s_mov_b32 s16, 10
	s_waitcnt vmcnt(0)
	v_add_nc_u16 v20, v2, 1
	v_xor_b32_e32 v21, 0xffffff80, v2
	s_branch .LBB65_2
.LBB65_1:                               ;   in Loop: Header=BB65_2 Depth=1
	s_or_b32 exec_lo, exec_lo, s12
	s_waitcnt lgkmcnt(0)
	v_add_nc_u32_e32 v3, v24, v3
	s_add_i32 s16, s16, -1
	s_delay_alu instid0(SALU_CYCLE_1) | instskip(SKIP_3) | instid1(VALU_DEP_1)
	s_cmp_lg_u32 s16, 0
	ds_bpermute_b32 v3, v16, v3
	s_waitcnt lgkmcnt(0)
	v_cndmask_b32_e32 v3, v3, v24, vcc_lo
	v_cndmask_b32_e64 v3, v3, 0, s7
	s_delay_alu instid0(VALU_DEP_1) | instskip(NEXT) | instid1(VALU_DEP_1)
	v_add_nc_u32_e32 v4, v3, v4
	v_add_nc_u32_e32 v5, v4, v5
	s_delay_alu instid0(VALU_DEP_1) | instskip(NEXT) | instid1(VALU_DEP_1)
	v_add_nc_u32_e32 v6, v5, v6
	v_add_nc_u32_e32 v24, v6, v7
	;; [unrolled: 3-line block ×3, first 2 shown]
	s_delay_alu instid0(VALU_DEP_1)
	v_add_nc_u32_e32 v1, v0, v2
	ds_store_2addr_b64 v13, v[3:4], v[5:6] offset0:3 offset1:4
	ds_store_2addr_b64 v15, v[24:25], v[0:1] offset0:2 offset1:3
	s_waitcnt lgkmcnt(0)
	s_barrier
	buffer_gl0_inv
	ds_load_b32 v0, v23
	s_waitcnt lgkmcnt(0)
	s_barrier
	buffer_gl0_inv
	v_add_nc_u32_e32 v0, v0, v22
	ds_store_b8 v0, v21
	s_waitcnt lgkmcnt(0)
	s_barrier
	buffer_gl0_inv
	ds_load_u8 v21, v8
	s_waitcnt lgkmcnt(0)
	s_barrier
	buffer_gl0_inv
	ds_store_b8 v0, v20
	s_waitcnt lgkmcnt(0)
	s_barrier
	buffer_gl0_inv
	ds_load_u8 v20, v8
	s_cbranch_scc0 .LBB65_10
.LBB65_2:                               ; =>This Inner Loop Header: Depth=1
	s_delay_alu instid0(VALU_DEP_1)
	v_and_b32_e32 v0, 1, v21
	v_lshlrev_b32_e32 v1, 30, v21
	v_lshlrev_b32_e32 v2, 29, v21
	;; [unrolled: 1-line block ×4, first 2 shown]
	v_add_co_u32 v0, s12, v0, -1
	s_delay_alu instid0(VALU_DEP_1)
	v_cndmask_b32_e64 v3, 0, 1, s12
	v_not_b32_e32 v7, v1
	v_cmp_gt_i32_e64 s13, 0, v1
	v_not_b32_e32 v1, v2
	v_lshlrev_b32_e32 v6, 26, v21
	v_cmp_ne_u32_e64 s12, 0, v3
	v_ashrrev_i32_e32 v7, 31, v7
	v_lshlrev_b32_e32 v3, 25, v21
	v_ashrrev_i32_e32 v1, 31, v1
	v_cmp_gt_i32_e64 s14, 0, v5
	v_xor_b32_e32 v0, s12, v0
	v_cmp_gt_i32_e64 s12, 0, v2
	v_not_b32_e32 v2, v4
	v_xor_b32_e32 v7, s13, v7
	v_cmp_gt_i32_e64 s13, 0, v4
	v_and_b32_e32 v0, exec_lo, v0
	v_xor_b32_e32 v1, s12, v1
	v_ashrrev_i32_e32 v2, 31, v2
	v_not_b32_e32 v4, v5
	v_not_b32_e32 v5, v6
	v_and_b32_e32 v0, v0, v7
	v_cmp_gt_i32_e64 s12, 0, v6
	v_xor_b32_e32 v2, s13, v2
	v_not_b32_e32 v6, v3
	ds_store_2addr_b64 v13, v[9:10], v[11:12] offset0:3 offset1:4
	ds_store_2addr_b64 v15, v[9:10], v[11:12] offset0:2 offset1:3
	v_and_b32_e32 v0, v0, v1
	v_ashrrev_i32_e32 v1, 31, v4
	v_ashrrev_i32_e32 v4, 31, v5
	v_lshlrev_b32_e32 v5, 24, v21
	s_waitcnt lgkmcnt(0)
	v_and_b32_e32 v0, v0, v2
	v_xor_b32_e32 v1, s14, v1
	v_xor_b32_e32 v2, s12, v4
	v_cmp_gt_i32_e64 s12, 0, v3
	v_not_b32_e32 v3, v5
	v_ashrrev_i32_e32 v4, 31, v6
	v_and_b32_e32 v0, v0, v1
	v_cmp_gt_i32_e64 s13, 0, v5
	s_barrier
	v_ashrrev_i32_e32 v1, 31, v3
	v_xor_b32_e32 v3, s12, v4
	v_and_b32_e32 v0, v0, v2
	buffer_gl0_inv
	v_xor_b32_e32 v1, s13, v1
	; wave barrier
	v_and_b32_e32 v0, v0, v3
	s_delay_alu instid0(VALU_DEP_1) | instskip(SKIP_1) | instid1(VALU_DEP_2)
	v_and_b32_e32 v0, v0, v1
	v_and_b32_e32 v1, 0xff, v21
	v_mbcnt_lo_u32_b32 v22, v0, 0
	s_delay_alu instid0(VALU_DEP_2) | instskip(SKIP_1) | instid1(VALU_DEP_3)
	v_mad_u32_u24 v1, v1, 6, v18
	v_cmp_ne_u32_e64 s13, 0, v0
	v_cmp_eq_u32_e64 s12, 0, v22
	s_delay_alu instid0(VALU_DEP_3) | instskip(NEXT) | instid1(VALU_DEP_2)
	v_lshl_add_u32 v23, v1, 2, 24
	s_and_b32 s13, s13, s12
	s_delay_alu instid0(SALU_CYCLE_1)
	s_and_saveexec_b32 s12, s13
	s_cbranch_execz .LBB65_4
; %bb.3:                                ;   in Loop: Header=BB65_2 Depth=1
	v_bcnt_u32_b32 v0, v0, 0
	ds_store_b32 v23, v0
.LBB65_4:                               ;   in Loop: Header=BB65_2 Depth=1
	s_or_b32 exec_lo, exec_lo, s12
	; wave barrier
	s_waitcnt lgkmcnt(0)
	s_barrier
	buffer_gl0_inv
	ds_load_2addr_b64 v[4:7], v13 offset0:3 offset1:4
	ds_load_2addr_b64 v[0:3], v15 offset0:2 offset1:3
	s_waitcnt lgkmcnt(1)
	v_add_nc_u32_e32 v24, v5, v4
	s_delay_alu instid0(VALU_DEP_1) | instskip(SKIP_1) | instid1(VALU_DEP_1)
	v_add3_u32 v24, v24, v6, v7
	s_waitcnt lgkmcnt(0)
	v_add3_u32 v24, v24, v0, v1
	s_delay_alu instid0(VALU_DEP_1) | instskip(NEXT) | instid1(VALU_DEP_1)
	v_add3_u32 v3, v24, v2, v3
	v_mov_b32_dpp v24, v3 row_shr:1 row_mask:0xf bank_mask:0xf
	s_delay_alu instid0(VALU_DEP_1) | instskip(NEXT) | instid1(VALU_DEP_1)
	v_cndmask_b32_e64 v24, v24, 0, s0
	v_add_nc_u32_e32 v3, v24, v3
	s_delay_alu instid0(VALU_DEP_1) | instskip(NEXT) | instid1(VALU_DEP_1)
	v_mov_b32_dpp v24, v3 row_shr:2 row_mask:0xf bank_mask:0xf
	v_cndmask_b32_e64 v24, 0, v24, s1
	s_delay_alu instid0(VALU_DEP_1) | instskip(NEXT) | instid1(VALU_DEP_1)
	v_add_nc_u32_e32 v3, v3, v24
	v_mov_b32_dpp v24, v3 row_shr:4 row_mask:0xf bank_mask:0xf
	s_delay_alu instid0(VALU_DEP_1) | instskip(NEXT) | instid1(VALU_DEP_1)
	v_cndmask_b32_e64 v24, 0, v24, s2
	v_add_nc_u32_e32 v3, v3, v24
	s_delay_alu instid0(VALU_DEP_1) | instskip(NEXT) | instid1(VALU_DEP_1)
	v_mov_b32_dpp v24, v3 row_shr:8 row_mask:0xf bank_mask:0xf
	v_cndmask_b32_e64 v24, 0, v24, s3
	s_delay_alu instid0(VALU_DEP_1) | instskip(SKIP_3) | instid1(VALU_DEP_1)
	v_add_nc_u32_e32 v3, v3, v24
	ds_swizzle_b32 v24, v3 offset:swizzle(BROADCAST,32,15)
	s_waitcnt lgkmcnt(0)
	v_cndmask_b32_e64 v24, v24, 0, s4
	v_add_nc_u32_e32 v3, v3, v24
	s_and_saveexec_b32 s12, s11
	s_cbranch_execz .LBB65_6
; %bb.5:                                ;   in Loop: Header=BB65_2 Depth=1
	ds_store_b32 v14, v3
.LBB65_6:                               ;   in Loop: Header=BB65_2 Depth=1
	s_or_b32 exec_lo, exec_lo, s12
	s_waitcnt lgkmcnt(0)
	s_barrier
	buffer_gl0_inv
	s_and_saveexec_b32 s12, s5
	s_cbranch_execz .LBB65_8
; %bb.7:                                ;   in Loop: Header=BB65_2 Depth=1
	ds_load_b32 v24, v19
	s_waitcnt lgkmcnt(0)
	v_mov_b32_dpp v25, v24 row_shr:1 row_mask:0xf bank_mask:0xf
	s_delay_alu instid0(VALU_DEP_1) | instskip(NEXT) | instid1(VALU_DEP_1)
	v_cndmask_b32_e64 v25, v25, 0, s8
	v_add_nc_u32_e32 v24, v25, v24
	s_delay_alu instid0(VALU_DEP_1) | instskip(NEXT) | instid1(VALU_DEP_1)
	v_mov_b32_dpp v25, v24 row_shr:2 row_mask:0xf bank_mask:0xf
	v_cndmask_b32_e64 v25, 0, v25, s9
	s_delay_alu instid0(VALU_DEP_1) | instskip(NEXT) | instid1(VALU_DEP_1)
	v_add_nc_u32_e32 v24, v24, v25
	v_mov_b32_dpp v25, v24 row_shr:4 row_mask:0xf bank_mask:0xf
	s_delay_alu instid0(VALU_DEP_1) | instskip(NEXT) | instid1(VALU_DEP_1)
	v_cndmask_b32_e64 v25, 0, v25, s10
	v_add_nc_u32_e32 v24, v24, v25
	ds_store_b32 v19, v24
.LBB65_8:                               ;   in Loop: Header=BB65_2 Depth=1
	s_or_b32 exec_lo, exec_lo, s12
	v_mov_b32_e32 v24, 0
	s_waitcnt lgkmcnt(0)
	s_barrier
	buffer_gl0_inv
	s_and_saveexec_b32 s12, s6
	s_cbranch_execz .LBB65_1
; %bb.9:                                ;   in Loop: Header=BB65_2 Depth=1
	ds_load_b32 v24, v17
	s_branch .LBB65_1
.LBB65_10:
	s_waitcnt lgkmcnt(0)
	v_add_nc_u16 v0, v20, v21
	s_add_u32 s0, s18, s15
	s_addc_u32 s1, s19, 0
	s_delay_alu instid0(VALU_DEP_1) | instskip(SKIP_1) | instid1(VALU_DEP_1)
	v_add_nc_u16 v2, v0, 0xff80
	v_add_co_u32 v0, s0, s0, v8
	v_add_co_ci_u32_e64 v1, null, s1, 0, s0
	global_store_b8 v[0:1], v2, off
	s_nop 0
	s_sendmsg sendmsg(MSG_DEALLOC_VGPRS)
	s_endpgm
	.section	.rodata,"a",@progbits
	.p2align	6, 0x0
	.amdhsa_kernel _Z17sort_pairs_kernelI22helper_blocked_blockedaLj192ELj1ELj10EEvPKT0_PS1_
		.amdhsa_group_segment_fixed_size 6176
		.amdhsa_private_segment_fixed_size 0
		.amdhsa_kernarg_size 272
		.amdhsa_user_sgpr_count 15
		.amdhsa_user_sgpr_dispatch_ptr 0
		.amdhsa_user_sgpr_queue_ptr 0
		.amdhsa_user_sgpr_kernarg_segment_ptr 1
		.amdhsa_user_sgpr_dispatch_id 0
		.amdhsa_user_sgpr_private_segment_size 0
		.amdhsa_wavefront_size32 1
		.amdhsa_uses_dynamic_stack 0
		.amdhsa_enable_private_segment 0
		.amdhsa_system_sgpr_workgroup_id_x 1
		.amdhsa_system_sgpr_workgroup_id_y 0
		.amdhsa_system_sgpr_workgroup_id_z 0
		.amdhsa_system_sgpr_workgroup_info 0
		.amdhsa_system_vgpr_workitem_id 2
		.amdhsa_next_free_vgpr 26
		.amdhsa_next_free_sgpr 20
		.amdhsa_reserve_vcc 1
		.amdhsa_float_round_mode_32 0
		.amdhsa_float_round_mode_16_64 0
		.amdhsa_float_denorm_mode_32 3
		.amdhsa_float_denorm_mode_16_64 3
		.amdhsa_dx10_clamp 1
		.amdhsa_ieee_mode 1
		.amdhsa_fp16_overflow 0
		.amdhsa_workgroup_processor_mode 1
		.amdhsa_memory_ordered 1
		.amdhsa_forward_progress 0
		.amdhsa_shared_vgpr_count 0
		.amdhsa_exception_fp_ieee_invalid_op 0
		.amdhsa_exception_fp_denorm_src 0
		.amdhsa_exception_fp_ieee_div_zero 0
		.amdhsa_exception_fp_ieee_overflow 0
		.amdhsa_exception_fp_ieee_underflow 0
		.amdhsa_exception_fp_ieee_inexact 0
		.amdhsa_exception_int_div_zero 0
	.end_amdhsa_kernel
	.section	.text._Z17sort_pairs_kernelI22helper_blocked_blockedaLj192ELj1ELj10EEvPKT0_PS1_,"axG",@progbits,_Z17sort_pairs_kernelI22helper_blocked_blockedaLj192ELj1ELj10EEvPKT0_PS1_,comdat
.Lfunc_end65:
	.size	_Z17sort_pairs_kernelI22helper_blocked_blockedaLj192ELj1ELj10EEvPKT0_PS1_, .Lfunc_end65-_Z17sort_pairs_kernelI22helper_blocked_blockedaLj192ELj1ELj10EEvPKT0_PS1_
                                        ; -- End function
	.section	.AMDGPU.csdata,"",@progbits
; Kernel info:
; codeLenInByte = 1428
; NumSgprs: 22
; NumVgprs: 26
; ScratchSize: 0
; MemoryBound: 0
; FloatMode: 240
; IeeeMode: 1
; LDSByteSize: 6176 bytes/workgroup (compile time only)
; SGPRBlocks: 2
; VGPRBlocks: 3
; NumSGPRsForWavesPerEU: 22
; NumVGPRsForWavesPerEU: 26
; Occupancy: 15
; WaveLimiterHint : 0
; COMPUTE_PGM_RSRC2:SCRATCH_EN: 0
; COMPUTE_PGM_RSRC2:USER_SGPR: 15
; COMPUTE_PGM_RSRC2:TRAP_HANDLER: 0
; COMPUTE_PGM_RSRC2:TGID_X_EN: 1
; COMPUTE_PGM_RSRC2:TGID_Y_EN: 0
; COMPUTE_PGM_RSRC2:TGID_Z_EN: 0
; COMPUTE_PGM_RSRC2:TIDIG_COMP_CNT: 2
	.section	.text._Z16sort_keys_kernelI22helper_blocked_blockedaLj192ELj3ELj10EEvPKT0_PS1_,"axG",@progbits,_Z16sort_keys_kernelI22helper_blocked_blockedaLj192ELj3ELj10EEvPKT0_PS1_,comdat
	.protected	_Z16sort_keys_kernelI22helper_blocked_blockedaLj192ELj3ELj10EEvPKT0_PS1_ ; -- Begin function _Z16sort_keys_kernelI22helper_blocked_blockedaLj192ELj3ELj10EEvPKT0_PS1_
	.globl	_Z16sort_keys_kernelI22helper_blocked_blockedaLj192ELj3ELj10EEvPKT0_PS1_
	.p2align	8
	.type	_Z16sort_keys_kernelI22helper_blocked_blockedaLj192ELj3ELj10EEvPKT0_PS1_,@function
_Z16sort_keys_kernelI22helper_blocked_blockedaLj192ELj3ELj10EEvPKT0_PS1_: ; @_Z16sort_keys_kernelI22helper_blocked_blockedaLj192ELj3ELj10EEvPKT0_PS1_
; %bb.0:
	s_clause 0x1
	s_load_b128 s[16:19], s[0:1], 0x0
	s_load_b32 s11, s[0:1], 0x1c
	s_mul_i32 s14, s15, 0x240
	v_and_b32_e32 v8, 0x3ff, v0
	v_mbcnt_lo_u32_b32 v4, -1, 0
	v_bfe_u32 v6, v0, 10, 10
	v_bfe_u32 v0, v0, 20, 10
	s_mov_b32 s15, 10
	s_delay_alu instid0(VALU_DEP_3)
	v_add_nc_u32_e32 v15, -1, v4
	v_and_b32_e32 v16, 7, v4
	v_mul_u32_u24_e32 v5, 3, v4
	v_and_b32_e32 v14, 16, v4
	v_cmp_eq_u32_e32 vcc_lo, 0, v4
	v_cmp_gt_i32_e64 s7, 0, v15
	v_cmp_eq_u32_e64 s8, 0, v16
	v_cmp_lt_u32_e64 s9, 1, v16
	v_cmp_lt_u32_e64 s10, 3, v16
	v_cmp_eq_u32_e64 s4, 0, v14
	v_cndmask_b32_e64 v15, v15, v4, s7
	s_waitcnt lgkmcnt(0)
	s_add_u32 s0, s16, s14
	s_addc_u32 s1, s17, 0
	s_lshr_b32 s12, s11, 16
	s_clause 0x2
	global_load_u8 v1, v8, s[0:1] offset:192
	global_load_u8 v2, v8, s[0:1]
	global_load_u8 v3, v8, s[0:1] offset:384
	s_mov_b32 s0, 0
	v_mad_u32_u24 v6, v0, s12, v6
	s_mov_b32 s3, s0
	s_mov_b32 s2, s0
	v_dual_mov_b32 v12, s3 :: v_dual_and_b32 v7, 15, v4
	s_mov_b32 s1, s0
	s_delay_alu instid0(SALU_CYCLE_1) | instskip(SKIP_1) | instid1(VALU_DEP_3)
	v_dual_mov_b32 v11, s2 :: v_dual_mov_b32 v10, s1
	v_mov_b32_e32 v9, s0
	v_cmp_eq_u32_e64 s0, 0, v7
	v_cmp_lt_u32_e64 s1, 1, v7
	v_cmp_lt_u32_e64 s2, 3, v7
	;; [unrolled: 1-line block ×3, first 2 shown]
	v_and_b32_e32 v7, 0xe0, v8
	v_lshrrev_b32_e32 v17, 5, v8
	v_lshlrev_b32_e32 v13, 5, v8
	s_and_b32 s11, s11, 0xffff
	v_cmp_gt_u32_e64 s5, 6, v8
	v_min_u32_e32 v7, 0xa0, v7
	v_mul_u32_u24_e32 v20, 0x60, v17
	v_lshlrev_b32_e32 v16, 2, v17
	v_mad_i32_i24 v17, 0xffffffe3, v8, v13
	v_cmp_lt_u32_e64 s6, 31, v8
	v_cmp_eq_u32_e64 s7, 0, v8
	v_or_b32_e32 v14, 24, v13
	v_lshlrev_b32_e32 v15, 2, v15
	v_or_b32_e32 v18, v4, v20
	v_add_nc_u32_e32 v19, -4, v16
	v_add_nc_u32_e32 v20, v5, v20
	v_add_nc_u32_e32 v22, v17, v8
	s_waitcnt vmcnt(2)
	v_lshlrev_b16 v1, 8, v1
	s_waitcnt vmcnt(1)
	s_delay_alu instid0(VALU_DEP_1) | instskip(SKIP_2) | instid1(VALU_DEP_3)
	v_or_b32_e32 v2, v2, v1
	v_mad_u64_u32 v[0:1], null, v6, s11, v[8:9]
	v_or_b32_e32 v1, 31, v7
	v_and_b32_e32 v2, 0xffff, v2
	s_delay_alu instid0(VALU_DEP_2) | instskip(NEXT) | instid1(VALU_DEP_4)
	v_cmp_eq_u32_e64 s11, v1, v8
	v_lshrrev_b32_e32 v21, 5, v0
	s_waitcnt vmcnt(0)
	s_delay_alu instid0(VALU_DEP_3)
	v_lshl_or_b32 v3, v3, 16, v2
	s_branch .LBB66_2
.LBB66_1:                               ;   in Loop: Header=BB66_2 Depth=1
	s_or_b32 exec_lo, exec_lo, s12
	s_waitcnt lgkmcnt(0)
	v_add_nc_u32_e32 v3, v34, v3
	s_add_i32 s15, s15, -1
	s_delay_alu instid0(SALU_CYCLE_1) | instskip(SKIP_3) | instid1(VALU_DEP_1)
	s_cmp_eq_u32 s15, 0
	ds_bpermute_b32 v3, v15, v3
	s_waitcnt lgkmcnt(0)
	v_cndmask_b32_e32 v3, v3, v34, vcc_lo
	v_cndmask_b32_e64 v3, v3, 0, s7
	s_delay_alu instid0(VALU_DEP_1) | instskip(NEXT) | instid1(VALU_DEP_1)
	v_add_nc_u32_e32 v4, v3, v4
	v_add_nc_u32_e32 v5, v4, v5
	s_delay_alu instid0(VALU_DEP_1) | instskip(NEXT) | instid1(VALU_DEP_1)
	v_add_nc_u32_e32 v6, v5, v6
	v_add_nc_u32_e32 v34, v6, v7
	;; [unrolled: 3-line block ×3, first 2 shown]
	s_delay_alu instid0(VALU_DEP_1)
	v_add_nc_u32_e32 v1, v0, v2
	ds_store_2addr_b64 v13, v[3:4], v[5:6] offset0:3 offset1:4
	ds_store_2addr_b64 v14, v[34:35], v[0:1] offset0:2 offset1:3
	s_waitcnt lgkmcnt(0)
	s_barrier
	buffer_gl0_inv
	ds_load_b32 v0, v27
	ds_load_b32 v1, v30
	;; [unrolled: 1-line block ×3, first 2 shown]
	s_waitcnt lgkmcnt(0)
	s_barrier
	buffer_gl0_inv
	v_add_nc_u32_e32 v0, v0, v26
	v_add3_u32 v1, v29, v28, v1
	v_add3_u32 v2, v32, v31, v2
	ds_store_b8 v0, v23
	ds_store_b8 v1, v24
	ds_store_b8 v2, v25
	s_waitcnt lgkmcnt(0)
	s_barrier
	buffer_gl0_inv
	ds_load_u8 v0, v17 offset:1
	ds_load_u8 v1, v17
	ds_load_u8 v3, v17 offset:2
	s_waitcnt lgkmcnt(2)
	v_xor_b32_e32 v0, 0xffffff80, v0
	s_waitcnt lgkmcnt(1)
	v_xor_b32_e32 v2, 0xffffff80, v1
	;; [unrolled: 2-line block ×3, first 2 shown]
	v_lshlrev_b16 v3, 8, v0
	s_delay_alu instid0(VALU_DEP_3) | instskip(NEXT) | instid1(VALU_DEP_3)
	v_and_b32_e32 v4, 0xff, v2
	v_and_b32_e32 v5, 0xff, v1
	s_delay_alu instid0(VALU_DEP_2) | instskip(NEXT) | instid1(VALU_DEP_2)
	v_or_b32_e32 v3, v4, v3
	v_lshlrev_b32_e32 v4, 16, v5
	s_delay_alu instid0(VALU_DEP_2) | instskip(NEXT) | instid1(VALU_DEP_1)
	v_and_b32_e32 v3, 0xffff, v3
	v_or_b32_e32 v3, v3, v4
	s_cbranch_scc1 .LBB66_14
.LBB66_2:                               ; =>This Inner Loop Header: Depth=1
	s_delay_alu instid0(VALU_DEP_1) | instskip(SKIP_2) | instid1(VALU_DEP_3)
	v_lshrrev_b32_e32 v0, 8, v3
	v_lshrrev_b32_e32 v1, 16, v3
	v_xor_b32_e32 v2, 0x80, v3
	v_xor_b32_e32 v0, 0x80, v0
	s_delay_alu instid0(VALU_DEP_3)
	v_xor_b32_e32 v1, 0x80, v1
	ds_store_b8 v20, v2
	ds_store_b8 v20, v0 offset:1
	ds_store_b8 v20, v1 offset:2
	; wave barrier
	ds_load_u8 v23, v18
	ds_load_u8 v24, v18 offset:32
	ds_load_u8 v25, v18 offset:64
	; wave barrier
	; wave barrier
	s_waitcnt lgkmcnt(0)
	s_barrier
	buffer_gl0_inv
	ds_store_2addr_b64 v13, v[9:10], v[11:12] offset0:3 offset1:4
	ds_store_2addr_b64 v14, v[9:10], v[11:12] offset0:2 offset1:3
	s_waitcnt lgkmcnt(0)
	s_barrier
	buffer_gl0_inv
	; wave barrier
	v_and_b32_e32 v0, 1, v23
	v_lshlrev_b32_e32 v1, 30, v23
	v_lshlrev_b32_e32 v2, 29, v23
	;; [unrolled: 1-line block ×4, first 2 shown]
	v_add_co_u32 v0, s12, v0, -1
	s_delay_alu instid0(VALU_DEP_1)
	v_cndmask_b32_e64 v4, 0, 1, s12
	v_not_b32_e32 v26, v1
	v_cmp_gt_i32_e64 s13, 0, v1
	v_not_b32_e32 v1, v2
	v_lshlrev_b32_e32 v6, 26, v23
	v_cmp_ne_u32_e64 s12, 0, v4
	v_ashrrev_i32_e32 v26, 31, v26
	v_lshlrev_b32_e32 v7, 25, v23
	v_ashrrev_i32_e32 v1, 31, v1
	v_lshlrev_b32_e32 v4, 24, v23
	v_xor_b32_e32 v0, s12, v0
	v_cmp_gt_i32_e64 s12, 0, v2
	v_not_b32_e32 v2, v3
	v_xor_b32_e32 v26, s13, v26
	v_cmp_gt_i32_e64 s13, 0, v3
	v_and_b32_e32 v0, exec_lo, v0
	v_not_b32_e32 v3, v5
	v_ashrrev_i32_e32 v2, 31, v2
	v_xor_b32_e32 v1, s12, v1
	v_cmp_gt_i32_e64 s12, 0, v5
	v_and_b32_e32 v0, v0, v26
	v_not_b32_e32 v5, v6
	v_ashrrev_i32_e32 v3, 31, v3
	v_xor_b32_e32 v2, s13, v2
	v_cmp_gt_i32_e64 s13, 0, v6
	v_and_b32_e32 v0, v0, v1
	;; [unrolled: 5-line block ×4, first 2 shown]
	v_ashrrev_i32_e32 v2, 31, v2
	v_xor_b32_e32 v1, s12, v1
	s_delay_alu instid0(VALU_DEP_3) | instskip(NEXT) | instid1(VALU_DEP_3)
	v_and_b32_e32 v0, v0, v5
	v_xor_b32_e32 v2, s13, v2
	s_delay_alu instid0(VALU_DEP_2) | instskip(SKIP_1) | instid1(VALU_DEP_2)
	v_and_b32_e32 v0, v0, v1
	v_and_b32_e32 v1, 0xff, v23
	;; [unrolled: 1-line block ×3, first 2 shown]
	s_delay_alu instid0(VALU_DEP_2) | instskip(NEXT) | instid1(VALU_DEP_2)
	v_mad_u32_u24 v1, v1, 6, v21
	v_mbcnt_lo_u32_b32 v26, v0, 0
	v_cmp_ne_u32_e64 s13, 0, v0
	s_delay_alu instid0(VALU_DEP_3) | instskip(NEXT) | instid1(VALU_DEP_3)
	v_lshl_add_u32 v27, v1, 2, 24
	v_cmp_eq_u32_e64 s12, 0, v26
	s_delay_alu instid0(VALU_DEP_1) | instskip(NEXT) | instid1(SALU_CYCLE_1)
	s_and_b32 s13, s13, s12
	s_and_saveexec_b32 s12, s13
	s_cbranch_execz .LBB66_4
; %bb.3:                                ;   in Loop: Header=BB66_2 Depth=1
	v_bcnt_u32_b32 v0, v0, 0
	ds_store_b32 v27, v0
.LBB66_4:                               ;   in Loop: Header=BB66_2 Depth=1
	s_or_b32 exec_lo, exec_lo, s12
	v_and_b32_e32 v0, 1, v24
	v_lshlrev_b32_e32 v2, 30, v24
	v_lshlrev_b32_e32 v4, 29, v24
	v_lshlrev_b32_e32 v5, 28, v24
	v_lshlrev_b32_e32 v6, 27, v24
	v_add_co_u32 v0, s12, v0, -1
	s_delay_alu instid0(VALU_DEP_1)
	v_cndmask_b32_e64 v3, 0, 1, s12
	v_not_b32_e32 v7, v2
	v_cmp_gt_i32_e64 s13, 0, v2
	v_not_b32_e32 v2, v4
	v_and_b32_e32 v1, 0xff, v24
	v_cmp_ne_u32_e64 s12, 0, v3
	v_ashrrev_i32_e32 v7, 31, v7
	v_lshlrev_b32_e32 v3, 26, v24
	v_ashrrev_i32_e32 v2, 31, v2
	v_mul_u32_u24_e32 v1, 6, v1
	v_xor_b32_e32 v0, s12, v0
	v_cmp_gt_i32_e64 s12, 0, v4
	v_not_b32_e32 v4, v5
	v_xor_b32_e32 v7, s13, v7
	v_cmp_gt_i32_e64 s13, 0, v5
	v_and_b32_e32 v0, exec_lo, v0
	v_not_b32_e32 v5, v6
	v_ashrrev_i32_e32 v4, 31, v4
	v_xor_b32_e32 v2, s12, v2
	v_cmp_gt_i32_e64 s12, 0, v6
	v_and_b32_e32 v0, v0, v7
	v_lshlrev_b32_e32 v7, 25, v24
	v_ashrrev_i32_e32 v5, 31, v5
	v_xor_b32_e32 v4, s13, v4
	v_not_b32_e32 v6, v3
	v_and_b32_e32 v0, v0, v2
	v_lshlrev_b32_e32 v2, 24, v24
	v_not_b32_e32 v28, v7
	v_xor_b32_e32 v5, s12, v5
	v_cmp_gt_i32_e64 s12, 0, v3
	v_and_b32_e32 v0, v0, v4
	v_ashrrev_i32_e32 v3, 31, v6
	v_cmp_gt_i32_e64 s13, 0, v7
	v_ashrrev_i32_e32 v4, 31, v28
	v_add_lshl_u32 v1, v21, v1, 2
	v_and_b32_e32 v0, v0, v5
	v_not_b32_e32 v5, v2
	v_xor_b32_e32 v3, s12, v3
	v_xor_b32_e32 v4, s13, v4
	v_cmp_gt_i32_e64 s12, 0, v2
	s_delay_alu instid0(VALU_DEP_4) | instskip(NEXT) | instid1(VALU_DEP_4)
	v_ashrrev_i32_e32 v2, 31, v5
	v_and_b32_e32 v0, v0, v3
	; wave barrier
	ds_load_b32 v28, v1 offset:24
	v_add_nc_u32_e32 v30, 24, v1
	v_xor_b32_e32 v2, s12, v2
	v_and_b32_e32 v0, v0, v4
	; wave barrier
	s_delay_alu instid0(VALU_DEP_1) | instskip(NEXT) | instid1(VALU_DEP_1)
	v_and_b32_e32 v0, v0, v2
	v_mbcnt_lo_u32_b32 v29, v0, 0
	v_cmp_ne_u32_e64 s13, 0, v0
	s_delay_alu instid0(VALU_DEP_2) | instskip(NEXT) | instid1(VALU_DEP_1)
	v_cmp_eq_u32_e64 s12, 0, v29
	s_and_b32 s13, s13, s12
	s_delay_alu instid0(SALU_CYCLE_1)
	s_and_saveexec_b32 s12, s13
	s_cbranch_execz .LBB66_6
; %bb.5:                                ;   in Loop: Header=BB66_2 Depth=1
	s_waitcnt lgkmcnt(0)
	v_bcnt_u32_b32 v0, v0, v28
	ds_store_b32 v30, v0
.LBB66_6:                               ;   in Loop: Header=BB66_2 Depth=1
	s_or_b32 exec_lo, exec_lo, s12
	v_and_b32_e32 v0, 1, v25
	v_lshlrev_b32_e32 v2, 30, v25
	v_lshlrev_b32_e32 v4, 29, v25
	;; [unrolled: 1-line block ×4, first 2 shown]
	v_add_co_u32 v0, s12, v0, -1
	s_delay_alu instid0(VALU_DEP_1)
	v_cndmask_b32_e64 v3, 0, 1, s12
	v_not_b32_e32 v7, v2
	v_cmp_gt_i32_e64 s13, 0, v2
	v_not_b32_e32 v2, v4
	v_and_b32_e32 v1, 0xff, v25
	v_cmp_ne_u32_e64 s12, 0, v3
	v_ashrrev_i32_e32 v7, 31, v7
	v_lshlrev_b32_e32 v3, 26, v25
	v_ashrrev_i32_e32 v2, 31, v2
	v_mul_u32_u24_e32 v1, 6, v1
	v_xor_b32_e32 v0, s12, v0
	v_cmp_gt_i32_e64 s12, 0, v4
	v_not_b32_e32 v4, v5
	v_xor_b32_e32 v7, s13, v7
	v_cmp_gt_i32_e64 s13, 0, v5
	v_and_b32_e32 v0, exec_lo, v0
	v_not_b32_e32 v5, v6
	v_ashrrev_i32_e32 v4, 31, v4
	v_xor_b32_e32 v2, s12, v2
	v_cmp_gt_i32_e64 s12, 0, v6
	v_and_b32_e32 v0, v0, v7
	v_lshlrev_b32_e32 v7, 25, v25
	v_ashrrev_i32_e32 v5, 31, v5
	v_xor_b32_e32 v4, s13, v4
	v_not_b32_e32 v6, v3
	v_and_b32_e32 v0, v0, v2
	v_lshlrev_b32_e32 v2, 24, v25
	v_not_b32_e32 v31, v7
	v_xor_b32_e32 v5, s12, v5
	v_cmp_gt_i32_e64 s12, 0, v3
	v_and_b32_e32 v0, v0, v4
	v_ashrrev_i32_e32 v3, 31, v6
	v_cmp_gt_i32_e64 s13, 0, v7
	v_ashrrev_i32_e32 v4, 31, v31
	v_add_lshl_u32 v1, v21, v1, 2
	v_and_b32_e32 v0, v0, v5
	v_not_b32_e32 v5, v2
	v_xor_b32_e32 v3, s12, v3
	v_xor_b32_e32 v4, s13, v4
	v_cmp_gt_i32_e64 s12, 0, v2
	s_delay_alu instid0(VALU_DEP_4) | instskip(NEXT) | instid1(VALU_DEP_4)
	v_ashrrev_i32_e32 v2, 31, v5
	v_and_b32_e32 v0, v0, v3
	; wave barrier
	ds_load_b32 v31, v1 offset:24
	v_add_nc_u32_e32 v33, 24, v1
	v_xor_b32_e32 v2, s12, v2
	v_and_b32_e32 v0, v0, v4
	; wave barrier
	s_delay_alu instid0(VALU_DEP_1) | instskip(NEXT) | instid1(VALU_DEP_1)
	v_and_b32_e32 v0, v0, v2
	v_mbcnt_lo_u32_b32 v32, v0, 0
	v_cmp_ne_u32_e64 s13, 0, v0
	s_delay_alu instid0(VALU_DEP_2) | instskip(NEXT) | instid1(VALU_DEP_1)
	v_cmp_eq_u32_e64 s12, 0, v32
	s_and_b32 s13, s13, s12
	s_delay_alu instid0(SALU_CYCLE_1)
	s_and_saveexec_b32 s12, s13
	s_cbranch_execz .LBB66_8
; %bb.7:                                ;   in Loop: Header=BB66_2 Depth=1
	s_waitcnt lgkmcnt(0)
	v_bcnt_u32_b32 v0, v0, v31
	ds_store_b32 v33, v0
.LBB66_8:                               ;   in Loop: Header=BB66_2 Depth=1
	s_or_b32 exec_lo, exec_lo, s12
	; wave barrier
	s_waitcnt lgkmcnt(0)
	s_barrier
	buffer_gl0_inv
	ds_load_2addr_b64 v[4:7], v13 offset0:3 offset1:4
	ds_load_2addr_b64 v[0:3], v14 offset0:2 offset1:3
	s_waitcnt lgkmcnt(1)
	v_add_nc_u32_e32 v34, v5, v4
	s_delay_alu instid0(VALU_DEP_1) | instskip(SKIP_1) | instid1(VALU_DEP_1)
	v_add3_u32 v34, v34, v6, v7
	s_waitcnt lgkmcnt(0)
	v_add3_u32 v34, v34, v0, v1
	s_delay_alu instid0(VALU_DEP_1) | instskip(NEXT) | instid1(VALU_DEP_1)
	v_add3_u32 v3, v34, v2, v3
	v_mov_b32_dpp v34, v3 row_shr:1 row_mask:0xf bank_mask:0xf
	s_delay_alu instid0(VALU_DEP_1) | instskip(NEXT) | instid1(VALU_DEP_1)
	v_cndmask_b32_e64 v34, v34, 0, s0
	v_add_nc_u32_e32 v3, v34, v3
	s_delay_alu instid0(VALU_DEP_1) | instskip(NEXT) | instid1(VALU_DEP_1)
	v_mov_b32_dpp v34, v3 row_shr:2 row_mask:0xf bank_mask:0xf
	v_cndmask_b32_e64 v34, 0, v34, s1
	s_delay_alu instid0(VALU_DEP_1) | instskip(NEXT) | instid1(VALU_DEP_1)
	v_add_nc_u32_e32 v3, v3, v34
	v_mov_b32_dpp v34, v3 row_shr:4 row_mask:0xf bank_mask:0xf
	s_delay_alu instid0(VALU_DEP_1) | instskip(NEXT) | instid1(VALU_DEP_1)
	v_cndmask_b32_e64 v34, 0, v34, s2
	v_add_nc_u32_e32 v3, v3, v34
	s_delay_alu instid0(VALU_DEP_1) | instskip(NEXT) | instid1(VALU_DEP_1)
	v_mov_b32_dpp v34, v3 row_shr:8 row_mask:0xf bank_mask:0xf
	v_cndmask_b32_e64 v34, 0, v34, s3
	s_delay_alu instid0(VALU_DEP_1) | instskip(SKIP_3) | instid1(VALU_DEP_1)
	v_add_nc_u32_e32 v3, v3, v34
	ds_swizzle_b32 v34, v3 offset:swizzle(BROADCAST,32,15)
	s_waitcnt lgkmcnt(0)
	v_cndmask_b32_e64 v34, v34, 0, s4
	v_add_nc_u32_e32 v3, v3, v34
	s_and_saveexec_b32 s12, s11
	s_cbranch_execz .LBB66_10
; %bb.9:                                ;   in Loop: Header=BB66_2 Depth=1
	ds_store_b32 v16, v3
.LBB66_10:                              ;   in Loop: Header=BB66_2 Depth=1
	s_or_b32 exec_lo, exec_lo, s12
	s_waitcnt lgkmcnt(0)
	s_barrier
	buffer_gl0_inv
	s_and_saveexec_b32 s12, s5
	s_cbranch_execz .LBB66_12
; %bb.11:                               ;   in Loop: Header=BB66_2 Depth=1
	ds_load_b32 v34, v22
	s_waitcnt lgkmcnt(0)
	v_mov_b32_dpp v35, v34 row_shr:1 row_mask:0xf bank_mask:0xf
	s_delay_alu instid0(VALU_DEP_1) | instskip(NEXT) | instid1(VALU_DEP_1)
	v_cndmask_b32_e64 v35, v35, 0, s8
	v_add_nc_u32_e32 v34, v35, v34
	s_delay_alu instid0(VALU_DEP_1) | instskip(NEXT) | instid1(VALU_DEP_1)
	v_mov_b32_dpp v35, v34 row_shr:2 row_mask:0xf bank_mask:0xf
	v_cndmask_b32_e64 v35, 0, v35, s9
	s_delay_alu instid0(VALU_DEP_1) | instskip(NEXT) | instid1(VALU_DEP_1)
	v_add_nc_u32_e32 v34, v34, v35
	v_mov_b32_dpp v35, v34 row_shr:4 row_mask:0xf bank_mask:0xf
	s_delay_alu instid0(VALU_DEP_1) | instskip(NEXT) | instid1(VALU_DEP_1)
	v_cndmask_b32_e64 v35, 0, v35, s10
	v_add_nc_u32_e32 v34, v34, v35
	ds_store_b32 v22, v34
.LBB66_12:                              ;   in Loop: Header=BB66_2 Depth=1
	s_or_b32 exec_lo, exec_lo, s12
	v_mov_b32_e32 v34, 0
	s_waitcnt lgkmcnt(0)
	s_barrier
	buffer_gl0_inv
	s_and_saveexec_b32 s12, s6
	s_cbranch_execz .LBB66_1
; %bb.13:                               ;   in Loop: Header=BB66_2 Depth=1
	ds_load_b32 v34, v19
	s_branch .LBB66_1
.LBB66_14:
	s_add_u32 s0, s18, s14
	s_addc_u32 s1, s19, 0
	v_add_co_u32 v3, s0, s0, v8
	s_delay_alu instid0(VALU_DEP_1)
	v_add_co_ci_u32_e64 v4, null, s1, 0, s0
	s_clause 0x2
	global_store_b8 v[3:4], v2, off
	global_store_b8 v[3:4], v0, off offset:192
	global_store_b8 v[3:4], v1, off offset:384
	s_nop 0
	s_sendmsg sendmsg(MSG_DEALLOC_VGPRS)
	s_endpgm
	.section	.rodata,"a",@progbits
	.p2align	6, 0x0
	.amdhsa_kernel _Z16sort_keys_kernelI22helper_blocked_blockedaLj192ELj3ELj10EEvPKT0_PS1_
		.amdhsa_group_segment_fixed_size 6176
		.amdhsa_private_segment_fixed_size 0
		.amdhsa_kernarg_size 272
		.amdhsa_user_sgpr_count 15
		.amdhsa_user_sgpr_dispatch_ptr 0
		.amdhsa_user_sgpr_queue_ptr 0
		.amdhsa_user_sgpr_kernarg_segment_ptr 1
		.amdhsa_user_sgpr_dispatch_id 0
		.amdhsa_user_sgpr_private_segment_size 0
		.amdhsa_wavefront_size32 1
		.amdhsa_uses_dynamic_stack 0
		.amdhsa_enable_private_segment 0
		.amdhsa_system_sgpr_workgroup_id_x 1
		.amdhsa_system_sgpr_workgroup_id_y 0
		.amdhsa_system_sgpr_workgroup_id_z 0
		.amdhsa_system_sgpr_workgroup_info 0
		.amdhsa_system_vgpr_workitem_id 2
		.amdhsa_next_free_vgpr 36
		.amdhsa_next_free_sgpr 20
		.amdhsa_reserve_vcc 1
		.amdhsa_float_round_mode_32 0
		.amdhsa_float_round_mode_16_64 0
		.amdhsa_float_denorm_mode_32 3
		.amdhsa_float_denorm_mode_16_64 3
		.amdhsa_dx10_clamp 1
		.amdhsa_ieee_mode 1
		.amdhsa_fp16_overflow 0
		.amdhsa_workgroup_processor_mode 1
		.amdhsa_memory_ordered 1
		.amdhsa_forward_progress 0
		.amdhsa_shared_vgpr_count 0
		.amdhsa_exception_fp_ieee_invalid_op 0
		.amdhsa_exception_fp_denorm_src 0
		.amdhsa_exception_fp_ieee_div_zero 0
		.amdhsa_exception_fp_ieee_overflow 0
		.amdhsa_exception_fp_ieee_underflow 0
		.amdhsa_exception_fp_ieee_inexact 0
		.amdhsa_exception_int_div_zero 0
	.end_amdhsa_kernel
	.section	.text._Z16sort_keys_kernelI22helper_blocked_blockedaLj192ELj3ELj10EEvPKT0_PS1_,"axG",@progbits,_Z16sort_keys_kernelI22helper_blocked_blockedaLj192ELj3ELj10EEvPKT0_PS1_,comdat
.Lfunc_end66:
	.size	_Z16sort_keys_kernelI22helper_blocked_blockedaLj192ELj3ELj10EEvPKT0_PS1_, .Lfunc_end66-_Z16sort_keys_kernelI22helper_blocked_blockedaLj192ELj3ELj10EEvPKT0_PS1_
                                        ; -- End function
	.section	.AMDGPU.csdata,"",@progbits
; Kernel info:
; codeLenInByte = 2404
; NumSgprs: 22
; NumVgprs: 36
; ScratchSize: 0
; MemoryBound: 0
; FloatMode: 240
; IeeeMode: 1
; LDSByteSize: 6176 bytes/workgroup (compile time only)
; SGPRBlocks: 2
; VGPRBlocks: 4
; NumSGPRsForWavesPerEU: 22
; NumVGPRsForWavesPerEU: 36
; Occupancy: 15
; WaveLimiterHint : 1
; COMPUTE_PGM_RSRC2:SCRATCH_EN: 0
; COMPUTE_PGM_RSRC2:USER_SGPR: 15
; COMPUTE_PGM_RSRC2:TRAP_HANDLER: 0
; COMPUTE_PGM_RSRC2:TGID_X_EN: 1
; COMPUTE_PGM_RSRC2:TGID_Y_EN: 0
; COMPUTE_PGM_RSRC2:TGID_Z_EN: 0
; COMPUTE_PGM_RSRC2:TIDIG_COMP_CNT: 2
	.section	.text._Z17sort_pairs_kernelI22helper_blocked_blockedaLj192ELj3ELj10EEvPKT0_PS1_,"axG",@progbits,_Z17sort_pairs_kernelI22helper_blocked_blockedaLj192ELj3ELj10EEvPKT0_PS1_,comdat
	.protected	_Z17sort_pairs_kernelI22helper_blocked_blockedaLj192ELj3ELj10EEvPKT0_PS1_ ; -- Begin function _Z17sort_pairs_kernelI22helper_blocked_blockedaLj192ELj3ELj10EEvPKT0_PS1_
	.globl	_Z17sort_pairs_kernelI22helper_blocked_blockedaLj192ELj3ELj10EEvPKT0_PS1_
	.p2align	8
	.type	_Z17sort_pairs_kernelI22helper_blocked_blockedaLj192ELj3ELj10EEvPKT0_PS1_,@function
_Z17sort_pairs_kernelI22helper_blocked_blockedaLj192ELj3ELj10EEvPKT0_PS1_: ; @_Z17sort_pairs_kernelI22helper_blocked_blockedaLj192ELj3ELj10EEvPKT0_PS1_
; %bb.0:
	s_clause 0x1
	s_load_b128 s[16:19], s[0:1], 0x0
	s_load_b32 s11, s[0:1], 0x1c
	s_mul_i32 s14, s15, 0x240
	v_and_b32_e32 v8, 0x3ff, v0
	v_mbcnt_lo_u32_b32 v4, -1, 0
	v_bfe_u32 v6, v0, 10, 10
	v_bfe_u32 v0, v0, 20, 10
	s_mov_b32 s15, 10
	s_delay_alu instid0(VALU_DEP_3)
	v_add_nc_u32_e32 v15, -1, v4
	v_mul_u32_u24_e32 v5, 3, v4
	v_and_b32_e32 v14, 16, v4
	v_cmp_eq_u32_e32 vcc_lo, 0, v4
	v_and_b32_e32 v16, 7, v4
	v_cmp_gt_i32_e64 s7, 0, v15
	v_and_b32_e32 v7, 15, v4
	v_cmp_eq_u32_e64 s4, 0, v14
	s_delay_alu instid0(VALU_DEP_4) | instskip(NEXT) | instid1(VALU_DEP_4)
	v_cmp_eq_u32_e64 s8, 0, v16
	v_cndmask_b32_e64 v15, v15, v4, s7
	s_waitcnt lgkmcnt(0)
	s_add_u32 s0, s16, s14
	s_addc_u32 s1, s17, 0
	s_clause 0x2
	global_load_u8 v2, v8, s[0:1]
	global_load_u8 v1, v8, s[0:1] offset:192
	global_load_u8 v3, v8, s[0:1] offset:384
	s_mov_b32 s0, 0
	s_lshr_b32 s12, s11, 16
	s_mov_b32 s1, s0
	s_mov_b32 s2, s0
	;; [unrolled: 1-line block ×3, first 2 shown]
	v_dual_mov_b32 v10, s1 :: v_dual_mov_b32 v9, s0
	v_lshrrev_b32_e32 v17, 5, v8
	v_mov_b32_e32 v12, s3
	v_mad_u32_u24 v6, v0, s12, v6
	v_mov_b32_e32 v11, s2
	v_cmp_eq_u32_e64 s0, 0, v7
	v_mul_u32_u24_e32 v20, 0x60, v17
	v_cmp_lt_u32_e64 s1, 1, v7
	v_cmp_lt_u32_e64 s2, 3, v7
	;; [unrolled: 1-line block ×3, first 2 shown]
	v_and_b32_e32 v7, 0xe0, v8
	v_or_b32_e32 v18, v4, v20
	s_and_b32 s11, s11, 0xffff
	v_lshlrev_b32_e32 v13, 5, v8
	v_cmp_lt_u32_e64 s9, 1, v16
	v_min_u32_e32 v7, 0xa0, v7
	v_cmp_lt_u32_e64 s10, 3, v16
	v_lshlrev_b32_e32 v17, 2, v17
	v_mad_i32_i24 v16, 0xffffffe3, v8, v13
	v_cmp_gt_u32_e64 s5, 6, v8
	v_or_b32_e32 v7, 31, v7
	v_cmp_lt_u32_e64 s6, 31, v8
	v_cmp_eq_u32_e64 s7, 0, v8
	v_or_b32_e32 v14, 24, v13
	v_lshlrev_b32_e32 v15, 2, v15
	v_add_nc_u32_e32 v20, v5, v20
	v_add_nc_u32_e32 v22, v16, v8
	s_waitcnt vmcnt(2)
	v_add_nc_u16 v19, v2, 1
	s_waitcnt vmcnt(1)
	v_lshlrev_b16 v4, 8, v1
	s_delay_alu instid0(VALU_DEP_2) | instskip(SKIP_3) | instid1(VALU_DEP_3)
	v_and_b32_e32 v1, 0xff, v19
	s_waitcnt vmcnt(0)
	v_add_nc_u16 v19, v3, 1
	v_lshlrev_b32_e32 v3, 16, v3
	v_or_b32_e32 v21, v4, v1
	v_mad_u64_u32 v[0:1], null, v6, s11, v[8:9]
	v_or_b32_e32 v1, v2, v4
	v_and_b32_e32 v2, 0xff, v19
	s_delay_alu instid0(VALU_DEP_4)
	v_add_nc_u16 v4, v21, 0x100
	v_add_nc_u32_e32 v19, -4, v17
	v_cmp_eq_u32_e64 s11, v7, v8
	v_and_b32_e32 v1, 0xffff, v1
	v_lshlrev_b32_e32 v2, 16, v2
	v_and_b32_e32 v4, 0xffff, v4
	v_lshrrev_b32_e32 v21, 5, v0
	s_delay_alu instid0(VALU_DEP_4) | instskip(NEXT) | instid1(VALU_DEP_3)
	v_or_b32_e32 v7, v1, v3
	v_or_b32_e32 v0, v4, v2
	s_branch .LBB67_2
.LBB67_1:                               ;   in Loop: Header=BB67_2 Depth=1
	s_or_b32 exec_lo, exec_lo, s12
	s_waitcnt lgkmcnt(0)
	v_add_nc_u32_e32 v3, v37, v3
	s_add_i32 s15, s15, -1
	s_delay_alu instid0(SALU_CYCLE_1) | instskip(SKIP_3) | instid1(VALU_DEP_1)
	s_cmp_eq_u32 s15, 0
	ds_bpermute_b32 v3, v15, v3
	s_waitcnt lgkmcnt(0)
	v_cndmask_b32_e32 v3, v3, v37, vcc_lo
	v_cndmask_b32_e64 v3, v3, 0, s7
	s_delay_alu instid0(VALU_DEP_1) | instskip(NEXT) | instid1(VALU_DEP_1)
	v_add_nc_u32_e32 v4, v3, v4
	v_add_nc_u32_e32 v5, v4, v5
	s_delay_alu instid0(VALU_DEP_1) | instskip(NEXT) | instid1(VALU_DEP_1)
	v_add_nc_u32_e32 v6, v5, v6
	v_add_nc_u32_e32 v37, v6, v7
	;; [unrolled: 3-line block ×3, first 2 shown]
	s_delay_alu instid0(VALU_DEP_1)
	v_add_nc_u32_e32 v1, v0, v2
	ds_store_2addr_b64 v13, v[3:4], v[5:6] offset0:3 offset1:4
	ds_store_2addr_b64 v14, v[37:38], v[0:1] offset0:2 offset1:3
	s_waitcnt lgkmcnt(0)
	s_barrier
	buffer_gl0_inv
	ds_load_b32 v0, v30
	ds_load_b32 v1, v33
	;; [unrolled: 1-line block ×3, first 2 shown]
	s_waitcnt lgkmcnt(0)
	s_barrier
	buffer_gl0_inv
	v_add_nc_u32_e32 v0, v0, v29
	v_add3_u32 v1, v32, v31, v1
	v_add3_u32 v2, v35, v34, v2
	ds_store_b8 v0, v23
	ds_store_b8 v1, v24
	;; [unrolled: 1-line block ×3, first 2 shown]
	s_waitcnt lgkmcnt(0)
	s_barrier
	buffer_gl0_inv
	ds_load_u8 v5, v16
	ds_load_u8 v4, v16 offset:1
	ds_load_u8 v7, v16 offset:2
	s_waitcnt lgkmcnt(0)
	s_barrier
	buffer_gl0_inv
	ds_store_b8 v0, v26
	ds_store_b8 v1, v27
	;; [unrolled: 1-line block ×3, first 2 shown]
	s_waitcnt lgkmcnt(0)
	s_barrier
	buffer_gl0_inv
	ds_load_u8 v1, v16 offset:1
	ds_load_u8 v3, v16
	ds_load_u8 v2, v16 offset:2
	v_xor_b32_e32 v6, 0xffffff80, v5
	v_xor_b32_e32 v4, 0xffffff80, v4
	;; [unrolled: 1-line block ×3, first 2 shown]
	s_delay_alu instid0(VALU_DEP_3) | instskip(NEXT) | instid1(VALU_DEP_3)
	v_and_b32_e32 v23, 0xff, v6
	v_lshlrev_b16 v7, 8, v4
	s_delay_alu instid0(VALU_DEP_3) | instskip(SKIP_2) | instid1(VALU_DEP_3)
	v_and_b32_e32 v24, 0xff, v5
	s_waitcnt lgkmcnt(2)
	v_lshlrev_b16 v0, 8, v1
	v_or_b32_e32 v7, v23, v7
	s_waitcnt lgkmcnt(0)
	v_lshlrev_b32_e32 v23, 16, v2
	s_delay_alu instid0(VALU_DEP_3) | instskip(SKIP_2) | instid1(VALU_DEP_3)
	v_or_b32_e32 v0, v3, v0
	v_lshlrev_b32_e32 v24, 16, v24
	v_and_b32_e32 v7, 0xffff, v7
	v_and_b32_e32 v0, 0xffff, v0
	s_delay_alu instid0(VALU_DEP_2) | instskip(NEXT) | instid1(VALU_DEP_2)
	v_or_b32_e32 v7, v7, v24
	v_or_b32_e32 v0, v0, v23
	s_cbranch_scc1 .LBB67_14
.LBB67_2:                               ; =>This Inner Loop Header: Depth=1
	s_delay_alu instid0(VALU_DEP_2) | instskip(SKIP_2) | instid1(VALU_DEP_3)
	v_lshrrev_b32_e32 v1, 8, v7
	v_lshrrev_b32_e32 v2, 16, v7
	v_xor_b32_e32 v3, 0x80, v7
	v_xor_b32_e32 v1, 0x80, v1
	s_delay_alu instid0(VALU_DEP_3)
	v_xor_b32_e32 v2, 0x80, v2
	ds_store_b8 v20, v3
	ds_store_b8 v20, v1 offset:1
	ds_store_b8 v20, v2 offset:2
	; wave barrier
	ds_load_u8 v23, v18
	v_lshrrev_b32_e32 v1, 8, v0
	ds_load_u8 v24, v18 offset:32
	ds_load_u8 v25, v18 offset:64
	; wave barrier
	ds_store_b8 v20, v0
	ds_store_b8 v20, v1 offset:1
	ds_store_b8_d16_hi v20, v0 offset:2
	; wave barrier
	s_waitcnt lgkmcnt(5)
	v_and_b32_e32 v2, 1, v23
	v_lshlrev_b32_e32 v3, 30, v23
	v_lshlrev_b32_e32 v4, 29, v23
	;; [unrolled: 1-line block ×4, first 2 shown]
	v_add_co_u32 v2, s12, v2, -1
	s_delay_alu instid0(VALU_DEP_1)
	v_cndmask_b32_e64 v6, 0, 1, s12
	v_not_b32_e32 v28, v3
	v_cmp_gt_i32_e64 s13, 0, v3
	v_not_b32_e32 v3, v4
	v_lshlrev_b32_e32 v26, 26, v23
	v_cmp_ne_u32_e64 s12, 0, v6
	v_ashrrev_i32_e32 v28, 31, v28
	v_lshlrev_b32_e32 v27, 25, v23
	v_ashrrev_i32_e32 v3, 31, v3
	v_lshlrev_b32_e32 v6, 24, v23
	v_xor_b32_e32 v2, s12, v2
	v_cmp_gt_i32_e64 s12, 0, v4
	v_not_b32_e32 v4, v5
	v_xor_b32_e32 v28, s13, v28
	v_cmp_gt_i32_e64 s13, 0, v5
	v_and_b32_e32 v2, exec_lo, v2
	v_not_b32_e32 v5, v7
	v_ashrrev_i32_e32 v4, 31, v4
	v_xor_b32_e32 v3, s12, v3
	v_cmp_gt_i32_e64 s12, 0, v7
	v_and_b32_e32 v2, v2, v28
	v_not_b32_e32 v7, v26
	v_ashrrev_i32_e32 v5, 31, v5
	v_xor_b32_e32 v4, s13, v4
	v_cmp_gt_i32_e64 s13, 0, v26
	v_and_b32_e32 v2, v2, v3
	;; [unrolled: 5-line block ×4, first 2 shown]
	v_ashrrev_i32_e32 v4, 31, v4
	v_xor_b32_e32 v3, s12, v3
	ds_load_u8 v26, v18
	ds_load_u8 v27, v18 offset:32
	ds_load_u8 v28, v18 offset:64
	s_waitcnt lgkmcnt(0)
	v_and_b32_e32 v2, v2, v7
	v_xor_b32_e32 v0, s13, v4
	s_barrier
	buffer_gl0_inv
	ds_store_2addr_b64 v13, v[9:10], v[11:12] offset0:3 offset1:4
	ds_store_2addr_b64 v14, v[9:10], v[11:12] offset0:2 offset1:3
	v_and_b32_e32 v1, v2, v3
	s_waitcnt lgkmcnt(0)
	s_barrier
	buffer_gl0_inv
	v_and_b32_e32 v0, v1, v0
	v_and_b32_e32 v1, 0xff, v23
	; wave barrier
	s_delay_alu instid0(VALU_DEP_2) | instskip(NEXT) | instid1(VALU_DEP_2)
	v_mbcnt_lo_u32_b32 v29, v0, 0
	v_mad_u32_u24 v1, v1, 6, v21
	v_cmp_ne_u32_e64 s13, 0, v0
	s_delay_alu instid0(VALU_DEP_3) | instskip(NEXT) | instid1(VALU_DEP_3)
	v_cmp_eq_u32_e64 s12, 0, v29
	v_lshl_add_u32 v30, v1, 2, 24
	s_delay_alu instid0(VALU_DEP_2) | instskip(NEXT) | instid1(SALU_CYCLE_1)
	s_and_b32 s13, s13, s12
	s_and_saveexec_b32 s12, s13
	s_cbranch_execz .LBB67_4
; %bb.3:                                ;   in Loop: Header=BB67_2 Depth=1
	v_bcnt_u32_b32 v0, v0, 0
	ds_store_b32 v30, v0
.LBB67_4:                               ;   in Loop: Header=BB67_2 Depth=1
	s_or_b32 exec_lo, exec_lo, s12
	v_and_b32_e32 v0, 1, v24
	v_lshlrev_b32_e32 v2, 30, v24
	v_lshlrev_b32_e32 v4, 29, v24
	;; [unrolled: 1-line block ×4, first 2 shown]
	v_add_co_u32 v0, s12, v0, -1
	s_delay_alu instid0(VALU_DEP_1)
	v_cndmask_b32_e64 v3, 0, 1, s12
	v_not_b32_e32 v7, v2
	v_cmp_gt_i32_e64 s13, 0, v2
	v_not_b32_e32 v2, v4
	v_and_b32_e32 v1, 0xff, v24
	v_cmp_ne_u32_e64 s12, 0, v3
	v_ashrrev_i32_e32 v7, 31, v7
	v_lshlrev_b32_e32 v3, 26, v24
	v_ashrrev_i32_e32 v2, 31, v2
	v_mul_u32_u24_e32 v1, 6, v1
	v_xor_b32_e32 v0, s12, v0
	v_cmp_gt_i32_e64 s12, 0, v4
	v_not_b32_e32 v4, v5
	v_xor_b32_e32 v7, s13, v7
	v_cmp_gt_i32_e64 s13, 0, v5
	v_and_b32_e32 v0, exec_lo, v0
	v_not_b32_e32 v5, v6
	v_ashrrev_i32_e32 v4, 31, v4
	v_xor_b32_e32 v2, s12, v2
	v_cmp_gt_i32_e64 s12, 0, v6
	v_and_b32_e32 v0, v0, v7
	v_lshlrev_b32_e32 v7, 25, v24
	v_ashrrev_i32_e32 v5, 31, v5
	v_xor_b32_e32 v4, s13, v4
	v_not_b32_e32 v6, v3
	v_and_b32_e32 v0, v0, v2
	v_lshlrev_b32_e32 v2, 24, v24
	v_not_b32_e32 v31, v7
	v_xor_b32_e32 v5, s12, v5
	v_cmp_gt_i32_e64 s12, 0, v3
	v_and_b32_e32 v0, v0, v4
	v_ashrrev_i32_e32 v3, 31, v6
	v_cmp_gt_i32_e64 s13, 0, v7
	v_ashrrev_i32_e32 v4, 31, v31
	v_add_lshl_u32 v1, v21, v1, 2
	v_and_b32_e32 v0, v0, v5
	v_not_b32_e32 v5, v2
	v_xor_b32_e32 v3, s12, v3
	v_xor_b32_e32 v4, s13, v4
	v_cmp_gt_i32_e64 s12, 0, v2
	s_delay_alu instid0(VALU_DEP_4) | instskip(NEXT) | instid1(VALU_DEP_4)
	v_ashrrev_i32_e32 v2, 31, v5
	v_and_b32_e32 v0, v0, v3
	; wave barrier
	ds_load_b32 v31, v1 offset:24
	v_add_nc_u32_e32 v33, 24, v1
	v_xor_b32_e32 v2, s12, v2
	v_and_b32_e32 v0, v0, v4
	; wave barrier
	s_delay_alu instid0(VALU_DEP_1) | instskip(NEXT) | instid1(VALU_DEP_1)
	v_and_b32_e32 v0, v0, v2
	v_mbcnt_lo_u32_b32 v32, v0, 0
	v_cmp_ne_u32_e64 s13, 0, v0
	s_delay_alu instid0(VALU_DEP_2) | instskip(NEXT) | instid1(VALU_DEP_1)
	v_cmp_eq_u32_e64 s12, 0, v32
	s_and_b32 s13, s13, s12
	s_delay_alu instid0(SALU_CYCLE_1)
	s_and_saveexec_b32 s12, s13
	s_cbranch_execz .LBB67_6
; %bb.5:                                ;   in Loop: Header=BB67_2 Depth=1
	s_waitcnt lgkmcnt(0)
	v_bcnt_u32_b32 v0, v0, v31
	ds_store_b32 v33, v0
.LBB67_6:                               ;   in Loop: Header=BB67_2 Depth=1
	s_or_b32 exec_lo, exec_lo, s12
	v_and_b32_e32 v0, 1, v25
	v_lshlrev_b32_e32 v2, 30, v25
	v_lshlrev_b32_e32 v4, 29, v25
	;; [unrolled: 1-line block ×4, first 2 shown]
	v_add_co_u32 v0, s12, v0, -1
	s_delay_alu instid0(VALU_DEP_1)
	v_cndmask_b32_e64 v3, 0, 1, s12
	v_not_b32_e32 v7, v2
	v_cmp_gt_i32_e64 s13, 0, v2
	v_not_b32_e32 v2, v4
	v_and_b32_e32 v1, 0xff, v25
	v_cmp_ne_u32_e64 s12, 0, v3
	v_ashrrev_i32_e32 v7, 31, v7
	v_lshlrev_b32_e32 v3, 26, v25
	v_ashrrev_i32_e32 v2, 31, v2
	v_mul_u32_u24_e32 v1, 6, v1
	v_xor_b32_e32 v0, s12, v0
	v_cmp_gt_i32_e64 s12, 0, v4
	v_not_b32_e32 v4, v5
	v_xor_b32_e32 v7, s13, v7
	v_cmp_gt_i32_e64 s13, 0, v5
	v_and_b32_e32 v0, exec_lo, v0
	v_not_b32_e32 v5, v6
	v_ashrrev_i32_e32 v4, 31, v4
	v_xor_b32_e32 v2, s12, v2
	v_cmp_gt_i32_e64 s12, 0, v6
	v_and_b32_e32 v0, v0, v7
	v_lshlrev_b32_e32 v7, 25, v25
	v_ashrrev_i32_e32 v5, 31, v5
	v_xor_b32_e32 v4, s13, v4
	v_not_b32_e32 v6, v3
	v_and_b32_e32 v0, v0, v2
	v_lshlrev_b32_e32 v2, 24, v25
	v_not_b32_e32 v34, v7
	v_xor_b32_e32 v5, s12, v5
	v_cmp_gt_i32_e64 s12, 0, v3
	v_and_b32_e32 v0, v0, v4
	v_ashrrev_i32_e32 v3, 31, v6
	v_cmp_gt_i32_e64 s13, 0, v7
	v_ashrrev_i32_e32 v4, 31, v34
	v_add_lshl_u32 v1, v21, v1, 2
	v_and_b32_e32 v0, v0, v5
	v_not_b32_e32 v5, v2
	v_xor_b32_e32 v3, s12, v3
	v_xor_b32_e32 v4, s13, v4
	v_cmp_gt_i32_e64 s12, 0, v2
	s_delay_alu instid0(VALU_DEP_4) | instskip(NEXT) | instid1(VALU_DEP_4)
	v_ashrrev_i32_e32 v2, 31, v5
	v_and_b32_e32 v0, v0, v3
	; wave barrier
	ds_load_b32 v34, v1 offset:24
	v_add_nc_u32_e32 v36, 24, v1
	v_xor_b32_e32 v2, s12, v2
	v_and_b32_e32 v0, v0, v4
	; wave barrier
	s_delay_alu instid0(VALU_DEP_1) | instskip(NEXT) | instid1(VALU_DEP_1)
	v_and_b32_e32 v0, v0, v2
	v_mbcnt_lo_u32_b32 v35, v0, 0
	v_cmp_ne_u32_e64 s13, 0, v0
	s_delay_alu instid0(VALU_DEP_2) | instskip(NEXT) | instid1(VALU_DEP_1)
	v_cmp_eq_u32_e64 s12, 0, v35
	s_and_b32 s13, s13, s12
	s_delay_alu instid0(SALU_CYCLE_1)
	s_and_saveexec_b32 s12, s13
	s_cbranch_execz .LBB67_8
; %bb.7:                                ;   in Loop: Header=BB67_2 Depth=1
	s_waitcnt lgkmcnt(0)
	v_bcnt_u32_b32 v0, v0, v34
	ds_store_b32 v36, v0
.LBB67_8:                               ;   in Loop: Header=BB67_2 Depth=1
	s_or_b32 exec_lo, exec_lo, s12
	; wave barrier
	s_waitcnt lgkmcnt(0)
	s_barrier
	buffer_gl0_inv
	ds_load_2addr_b64 v[4:7], v13 offset0:3 offset1:4
	ds_load_2addr_b64 v[0:3], v14 offset0:2 offset1:3
	s_waitcnt lgkmcnt(1)
	v_add_nc_u32_e32 v37, v5, v4
	s_delay_alu instid0(VALU_DEP_1) | instskip(SKIP_1) | instid1(VALU_DEP_1)
	v_add3_u32 v37, v37, v6, v7
	s_waitcnt lgkmcnt(0)
	v_add3_u32 v37, v37, v0, v1
	s_delay_alu instid0(VALU_DEP_1) | instskip(NEXT) | instid1(VALU_DEP_1)
	v_add3_u32 v3, v37, v2, v3
	v_mov_b32_dpp v37, v3 row_shr:1 row_mask:0xf bank_mask:0xf
	s_delay_alu instid0(VALU_DEP_1) | instskip(NEXT) | instid1(VALU_DEP_1)
	v_cndmask_b32_e64 v37, v37, 0, s0
	v_add_nc_u32_e32 v3, v37, v3
	s_delay_alu instid0(VALU_DEP_1) | instskip(NEXT) | instid1(VALU_DEP_1)
	v_mov_b32_dpp v37, v3 row_shr:2 row_mask:0xf bank_mask:0xf
	v_cndmask_b32_e64 v37, 0, v37, s1
	s_delay_alu instid0(VALU_DEP_1) | instskip(NEXT) | instid1(VALU_DEP_1)
	v_add_nc_u32_e32 v3, v3, v37
	v_mov_b32_dpp v37, v3 row_shr:4 row_mask:0xf bank_mask:0xf
	s_delay_alu instid0(VALU_DEP_1) | instskip(NEXT) | instid1(VALU_DEP_1)
	v_cndmask_b32_e64 v37, 0, v37, s2
	v_add_nc_u32_e32 v3, v3, v37
	s_delay_alu instid0(VALU_DEP_1) | instskip(NEXT) | instid1(VALU_DEP_1)
	v_mov_b32_dpp v37, v3 row_shr:8 row_mask:0xf bank_mask:0xf
	v_cndmask_b32_e64 v37, 0, v37, s3
	s_delay_alu instid0(VALU_DEP_1) | instskip(SKIP_3) | instid1(VALU_DEP_1)
	v_add_nc_u32_e32 v3, v3, v37
	ds_swizzle_b32 v37, v3 offset:swizzle(BROADCAST,32,15)
	s_waitcnt lgkmcnt(0)
	v_cndmask_b32_e64 v37, v37, 0, s4
	v_add_nc_u32_e32 v3, v3, v37
	s_and_saveexec_b32 s12, s11
	s_cbranch_execz .LBB67_10
; %bb.9:                                ;   in Loop: Header=BB67_2 Depth=1
	ds_store_b32 v17, v3
.LBB67_10:                              ;   in Loop: Header=BB67_2 Depth=1
	s_or_b32 exec_lo, exec_lo, s12
	s_waitcnt lgkmcnt(0)
	s_barrier
	buffer_gl0_inv
	s_and_saveexec_b32 s12, s5
	s_cbranch_execz .LBB67_12
; %bb.11:                               ;   in Loop: Header=BB67_2 Depth=1
	ds_load_b32 v37, v22
	s_waitcnt lgkmcnt(0)
	v_mov_b32_dpp v38, v37 row_shr:1 row_mask:0xf bank_mask:0xf
	s_delay_alu instid0(VALU_DEP_1) | instskip(NEXT) | instid1(VALU_DEP_1)
	v_cndmask_b32_e64 v38, v38, 0, s8
	v_add_nc_u32_e32 v37, v38, v37
	s_delay_alu instid0(VALU_DEP_1) | instskip(NEXT) | instid1(VALU_DEP_1)
	v_mov_b32_dpp v38, v37 row_shr:2 row_mask:0xf bank_mask:0xf
	v_cndmask_b32_e64 v38, 0, v38, s9
	s_delay_alu instid0(VALU_DEP_1) | instskip(NEXT) | instid1(VALU_DEP_1)
	v_add_nc_u32_e32 v37, v37, v38
	v_mov_b32_dpp v38, v37 row_shr:4 row_mask:0xf bank_mask:0xf
	s_delay_alu instid0(VALU_DEP_1) | instskip(NEXT) | instid1(VALU_DEP_1)
	v_cndmask_b32_e64 v38, 0, v38, s10
	v_add_nc_u32_e32 v37, v37, v38
	ds_store_b32 v22, v37
.LBB67_12:                              ;   in Loop: Header=BB67_2 Depth=1
	s_or_b32 exec_lo, exec_lo, s12
	v_mov_b32_e32 v37, 0
	s_waitcnt lgkmcnt(0)
	s_barrier
	buffer_gl0_inv
	s_and_saveexec_b32 s12, s6
	s_cbranch_execz .LBB67_1
; %bb.13:                               ;   in Loop: Header=BB67_2 Depth=1
	ds_load_b32 v37, v19
	s_branch .LBB67_1
.LBB67_14:
	s_add_u32 s0, s18, s14
	v_add_nc_u16 v0, v6, v3
	s_addc_u32 s1, s19, 0
	v_add_co_u32 v6, s0, s0, v8
	s_delay_alu instid0(VALU_DEP_1)
	v_add_co_ci_u32_e64 v7, null, s1, 0, s0
	v_add_nc_u16 v1, v4, v1
	v_add_nc_u16 v2, v5, v2
	s_clause 0x2
	global_store_b8 v[6:7], v0, off
	global_store_b8 v[6:7], v1, off offset:192
	global_store_b8 v[6:7], v2, off offset:384
	s_nop 0
	s_sendmsg sendmsg(MSG_DEALLOC_VGPRS)
	s_endpgm
	.section	.rodata,"a",@progbits
	.p2align	6, 0x0
	.amdhsa_kernel _Z17sort_pairs_kernelI22helper_blocked_blockedaLj192ELj3ELj10EEvPKT0_PS1_
		.amdhsa_group_segment_fixed_size 6176
		.amdhsa_private_segment_fixed_size 0
		.amdhsa_kernarg_size 272
		.amdhsa_user_sgpr_count 15
		.amdhsa_user_sgpr_dispatch_ptr 0
		.amdhsa_user_sgpr_queue_ptr 0
		.amdhsa_user_sgpr_kernarg_segment_ptr 1
		.amdhsa_user_sgpr_dispatch_id 0
		.amdhsa_user_sgpr_private_segment_size 0
		.amdhsa_wavefront_size32 1
		.amdhsa_uses_dynamic_stack 0
		.amdhsa_enable_private_segment 0
		.amdhsa_system_sgpr_workgroup_id_x 1
		.amdhsa_system_sgpr_workgroup_id_y 0
		.amdhsa_system_sgpr_workgroup_id_z 0
		.amdhsa_system_sgpr_workgroup_info 0
		.amdhsa_system_vgpr_workitem_id 2
		.amdhsa_next_free_vgpr 39
		.amdhsa_next_free_sgpr 20
		.amdhsa_reserve_vcc 1
		.amdhsa_float_round_mode_32 0
		.amdhsa_float_round_mode_16_64 0
		.amdhsa_float_denorm_mode_32 3
		.amdhsa_float_denorm_mode_16_64 3
		.amdhsa_dx10_clamp 1
		.amdhsa_ieee_mode 1
		.amdhsa_fp16_overflow 0
		.amdhsa_workgroup_processor_mode 1
		.amdhsa_memory_ordered 1
		.amdhsa_forward_progress 0
		.amdhsa_shared_vgpr_count 0
		.amdhsa_exception_fp_ieee_invalid_op 0
		.amdhsa_exception_fp_denorm_src 0
		.amdhsa_exception_fp_ieee_div_zero 0
		.amdhsa_exception_fp_ieee_overflow 0
		.amdhsa_exception_fp_ieee_underflow 0
		.amdhsa_exception_fp_ieee_inexact 0
		.amdhsa_exception_int_div_zero 0
	.end_amdhsa_kernel
	.section	.text._Z17sort_pairs_kernelI22helper_blocked_blockedaLj192ELj3ELj10EEvPKT0_PS1_,"axG",@progbits,_Z17sort_pairs_kernelI22helper_blocked_blockedaLj192ELj3ELj10EEvPKT0_PS1_,comdat
.Lfunc_end67:
	.size	_Z17sort_pairs_kernelI22helper_blocked_blockedaLj192ELj3ELj10EEvPKT0_PS1_, .Lfunc_end67-_Z17sort_pairs_kernelI22helper_blocked_blockedaLj192ELj3ELj10EEvPKT0_PS1_
                                        ; -- End function
	.section	.AMDGPU.csdata,"",@progbits
; Kernel info:
; codeLenInByte = 2648
; NumSgprs: 22
; NumVgprs: 39
; ScratchSize: 0
; MemoryBound: 0
; FloatMode: 240
; IeeeMode: 1
; LDSByteSize: 6176 bytes/workgroup (compile time only)
; SGPRBlocks: 2
; VGPRBlocks: 4
; NumSGPRsForWavesPerEU: 22
; NumVGPRsForWavesPerEU: 39
; Occupancy: 15
; WaveLimiterHint : 1
; COMPUTE_PGM_RSRC2:SCRATCH_EN: 0
; COMPUTE_PGM_RSRC2:USER_SGPR: 15
; COMPUTE_PGM_RSRC2:TRAP_HANDLER: 0
; COMPUTE_PGM_RSRC2:TGID_X_EN: 1
; COMPUTE_PGM_RSRC2:TGID_Y_EN: 0
; COMPUTE_PGM_RSRC2:TGID_Z_EN: 0
; COMPUTE_PGM_RSRC2:TIDIG_COMP_CNT: 2
	.section	.text._Z16sort_keys_kernelI22helper_blocked_blockedaLj192ELj4ELj10EEvPKT0_PS1_,"axG",@progbits,_Z16sort_keys_kernelI22helper_blocked_blockedaLj192ELj4ELj10EEvPKT0_PS1_,comdat
	.protected	_Z16sort_keys_kernelI22helper_blocked_blockedaLj192ELj4ELj10EEvPKT0_PS1_ ; -- Begin function _Z16sort_keys_kernelI22helper_blocked_blockedaLj192ELj4ELj10EEvPKT0_PS1_
	.globl	_Z16sort_keys_kernelI22helper_blocked_blockedaLj192ELj4ELj10EEvPKT0_PS1_
	.p2align	8
	.type	_Z16sort_keys_kernelI22helper_blocked_blockedaLj192ELj4ELj10EEvPKT0_PS1_,@function
_Z16sort_keys_kernelI22helper_blocked_blockedaLj192ELj4ELj10EEvPKT0_PS1_: ; @_Z16sort_keys_kernelI22helper_blocked_blockedaLj192ELj4ELj10EEvPKT0_PS1_
; %bb.0:
	s_load_b128 s[16:19], s[0:1], 0x0
	s_mul_i32 s20, s15, 0x300
	s_load_b32 s15, s[0:1], 0x1c
	v_and_b32_e32 v8, 0x3ff, v0
	v_mbcnt_lo_u32_b32 v5, -1, 0
	v_bfe_u32 v7, v0, 10, 10
	v_bfe_u32 v0, v0, 20, 10
	s_mov_b32 s21, 10
	s_delay_alu instid0(VALU_DEP_3)
	v_and_b32_e32 v6, 3, v5
	v_and_b32_e32 v19, 16, v5
	v_add_nc_u32_e32 v20, -1, v5
	v_and_b32_e32 v18, 15, v5
	v_cmp_eq_u32_e32 vcc_lo, 0, v5
	v_and_b32_e32 v21, 7, v5
	v_cmp_eq_u32_e64 s8, 0, v19
	v_cmp_gt_i32_e64 s11, 0, v20
	v_cmp_eq_u32_e64 s4, 0, v18
	v_cmp_lt_u32_e64 s5, 1, v18
	v_cmp_lt_u32_e64 s6, 3, v18
	s_waitcnt lgkmcnt(0)
	s_add_u32 s0, s16, s20
	s_addc_u32 s1, s17, 0
	s_lshr_b32 s16, s15, 16
	s_clause 0x3
	global_load_u8 v1, v8, s[0:1] offset:192
	global_load_u8 v2, v8, s[0:1] offset:576
	global_load_u8 v3, v8, s[0:1]
	global_load_u8 v4, v8, s[0:1] offset:384
	s_mov_b32 s0, 0
	v_mad_u32_u24 v7, v0, s16, v7
	s_mov_b32 s1, s0
	s_mov_b32 s3, s0
	;; [unrolled: 1-line block ×3, first 2 shown]
	v_mov_b32_e32 v10, s1
	v_dual_mov_b32 v12, s3 :: v_dual_and_b32 v13, 28, v5
	v_mov_b32_e32 v9, s0
	v_mov_b32_e32 v11, s2
	v_cmp_eq_u32_e64 s0, 3, v6
	v_cmp_eq_u32_e64 s1, 2, v6
	;; [unrolled: 1-line block ×4, first 2 shown]
	v_and_b32_e32 v6, 0xe0, v8
	v_lshrrev_b32_e32 v19, 3, v8
	s_and_b32 s15, s15, 0xffff
	v_lshlrev_b32_e32 v17, 5, v8
	v_cndmask_b32_e64 v5, v20, v5, s11
	v_min_u32_e32 v6, 0xa0, v6
	v_mul_i32_i24_e32 v23, 0xffffffe4, v8
	v_and_b32_e32 v19, 28, v19
	v_or_b32_e32 v14, 32, v13
	v_or_b32_e32 v15, 64, v13
	;; [unrolled: 1-line block ×3, first 2 shown]
	v_cmp_lt_u32_e64 s7, 7, v18
	v_cmp_gt_u32_e64 s9, 6, v8
	v_cmp_lt_u32_e64 s10, 31, v8
	v_cmp_eq_u32_e64 s11, 0, v8
	v_cmp_eq_u32_e64 s12, 0, v21
	v_cmp_lt_u32_e64 s13, 1, v21
	v_cmp_lt_u32_e64 s14, 3, v21
	v_or_b32_e32 v18, 24, v17
	v_lshlrev_b32_e32 v20, 2, v5
	v_add_nc_u32_e32 v21, -4, v19
	v_add_nc_u32_e32 v23, v17, v23
	s_waitcnt vmcnt(3)
	v_lshlrev_b16 v1, 8, v1
	s_waitcnt vmcnt(2)
	v_lshlrev_b16 v2, 8, v2
	s_waitcnt vmcnt(1)
	s_delay_alu instid0(VALU_DEP_2) | instskip(SKIP_1) | instid1(VALU_DEP_2)
	v_or_b32_e32 v3, v3, v1
	s_waitcnt vmcnt(0)
	v_or_b32_e32 v2, v4, v2
	v_mad_u64_u32 v[0:1], null, v7, s15, v[8:9]
	v_or_b32_e32 v1, 31, v6
	v_and_b32_e32 v3, 0xffff, v3
	s_delay_alu instid0(VALU_DEP_4) | instskip(NEXT) | instid1(VALU_DEP_3)
	v_lshlrev_b32_e32 v2, 16, v2
	v_cmp_eq_u32_e64 s15, v1, v8
	v_lshrrev_b32_e32 v22, 5, v0
	s_delay_alu instid0(VALU_DEP_3)
	v_or_b32_e32 v0, v3, v2
	s_branch .LBB68_2
.LBB68_1:                               ;   in Loop: Header=BB68_2 Depth=1
	s_or_b32 exec_lo, exec_lo, s16
	s_waitcnt lgkmcnt(0)
	v_add_nc_u32_e32 v3, v39, v3
	s_add_i32 s21, s21, -1
	s_delay_alu instid0(SALU_CYCLE_1) | instskip(SKIP_3) | instid1(VALU_DEP_1)
	s_cmp_eq_u32 s21, 0
	ds_bpermute_b32 v3, v20, v3
	s_waitcnt lgkmcnt(0)
	v_cndmask_b32_e32 v3, v3, v39, vcc_lo
	v_cndmask_b32_e64 v3, v3, 0, s11
	s_delay_alu instid0(VALU_DEP_1) | instskip(NEXT) | instid1(VALU_DEP_1)
	v_add_nc_u32_e32 v4, v3, v4
	v_add_nc_u32_e32 v5, v4, v5
	s_delay_alu instid0(VALU_DEP_1) | instskip(NEXT) | instid1(VALU_DEP_1)
	v_add_nc_u32_e32 v6, v5, v6
	v_add_nc_u32_e32 v39, v6, v7
	;; [unrolled: 3-line block ×3, first 2 shown]
	s_delay_alu instid0(VALU_DEP_1)
	v_add_nc_u32_e32 v1, v0, v2
	ds_store_2addr_b64 v17, v[3:4], v[5:6] offset0:3 offset1:4
	ds_store_2addr_b64 v18, v[39:40], v[0:1] offset0:2 offset1:3
	s_waitcnt lgkmcnt(0)
	s_barrier
	buffer_gl0_inv
	ds_load_b32 v0, v26
	ds_load_b32 v1, v30
	ds_load_b32 v2, v34
	ds_load_b32 v3, v38
	s_waitcnt lgkmcnt(0)
	s_barrier
	buffer_gl0_inv
	v_add_nc_u32_e32 v0, v0, v25
	v_add3_u32 v1, v29, v28, v1
	v_add3_u32 v2, v33, v32, v2
	;; [unrolled: 1-line block ×3, first 2 shown]
	ds_store_b8 v0, v24
	ds_store_b8 v1, v27
	;; [unrolled: 1-line block ×4, first 2 shown]
	s_waitcnt lgkmcnt(0)
	s_barrier
	buffer_gl0_inv
	ds_load_b32 v0, v23
	s_waitcnt lgkmcnt(0)
	v_lshrrev_b32_e32 v2, 8, v0
	v_lshrrev_b32_e32 v3, 24, v0
	;; [unrolled: 1-line block ×3, first 2 shown]
	v_xor_b32_e32 v1, 0xffffff80, v0
	s_delay_alu instid0(VALU_DEP_4) | instskip(NEXT) | instid1(VALU_DEP_4)
	v_xor_b32_e32 v2, 0xffffff80, v2
	v_xor_b32_e32 v3, 0xffffff80, v3
	s_delay_alu instid0(VALU_DEP_4) | instskip(NEXT) | instid1(VALU_DEP_4)
	v_xor_b32_e32 v4, 0xffffff80, v4
	v_and_b32_e32 v0, 0xff, v1
	s_delay_alu instid0(VALU_DEP_4) | instskip(NEXT) | instid1(VALU_DEP_4)
	v_lshlrev_b16 v5, 8, v2
	v_lshlrev_b16 v6, 8, v3
	s_delay_alu instid0(VALU_DEP_4) | instskip(NEXT) | instid1(VALU_DEP_3)
	v_and_b32_e32 v7, 0xff, v4
	v_or_b32_e32 v0, v0, v5
	s_delay_alu instid0(VALU_DEP_2) | instskip(NEXT) | instid1(VALU_DEP_2)
	v_or_b32_e32 v5, v7, v6
	v_and_b32_e32 v0, 0xffff, v0
	s_delay_alu instid0(VALU_DEP_2) | instskip(NEXT) | instid1(VALU_DEP_1)
	v_lshlrev_b32_e32 v5, 16, v5
	v_or_b32_e32 v0, v0, v5
	s_cbranch_scc1 .LBB68_16
.LBB68_2:                               ; =>This Inner Loop Header: Depth=1
	s_delay_alu instid0(VALU_DEP_1) | instskip(SKIP_3) | instid1(VALU_DEP_4)
	v_lshrrev_b32_e32 v1, 8, v0
	v_xor_b32_e32 v2, 0x80, v0
	v_lshrrev_b32_e32 v3, 16, v0
	v_lshrrev_b32_e32 v0, 24, v0
	v_xor_b32_e32 v1, 0x80, v1
	s_delay_alu instid0(VALU_DEP_4) | instskip(NEXT) | instid1(VALU_DEP_4)
	v_and_b32_e32 v2, 0xff, v2
	v_xor_b32_e32 v3, 0x80, v3
	s_delay_alu instid0(VALU_DEP_4)
	v_xor_b32_e32 v0, 0x80, v0
	s_barrier
	v_and_b32_e32 v1, 0xff, v1
	ds_bpermute_b32 v4, v13, v2
	v_and_b32_e32 v3, 0xff, v3
	v_and_b32_e32 v0, 0xffff, v0
	s_waitcnt lgkmcnt(0)
	buffer_gl0_inv
	ds_bpermute_b32 v5, v13, v1
	ds_store_2addr_b64 v17, v[9:10], v[11:12] offset0:3 offset1:4
	ds_store_2addr_b64 v18, v[9:10], v[11:12] offset0:2 offset1:3
	ds_bpermute_b32 v6, v13, v3
	ds_bpermute_b32 v7, v13, v0
	s_waitcnt lgkmcnt(0)
	s_barrier
	buffer_gl0_inv
	; wave barrier
	v_perm_b32 v5, v5, v4, 0x3020104
	s_delay_alu instid0(VALU_DEP_1) | instskip(SKIP_2) | instid1(VALU_DEP_1)
	v_cndmask_b32_e64 v4, v4, v5, s2
	ds_bpermute_b32 v5, v14, v2
	v_perm_b32 v6, v6, v4, 0x3020104
	v_cndmask_b32_e64 v4, v4, v6, s1
	s_delay_alu instid0(VALU_DEP_1) | instskip(SKIP_4) | instid1(VALU_DEP_2)
	v_perm_b32 v6, v7, v4, 0x3020104
	ds_bpermute_b32 v7, v14, v1
	v_cndmask_b32_e64 v4, v4, v6, s0
	s_waitcnt lgkmcnt(1)
	v_lshlrev_b16 v5, 8, v5
	v_and_b32_e32 v6, 0xff, v4
	s_delay_alu instid0(VALU_DEP_1) | instskip(NEXT) | instid1(VALU_DEP_1)
	v_or_b32_e32 v5, v6, v5
	v_and_b32_e32 v5, 0xffff, v5
	s_delay_alu instid0(VALU_DEP_1) | instskip(NEXT) | instid1(VALU_DEP_1)
	v_and_or_b32 v5, 0xffff0000, v4, v5
	v_cndmask_b32_e64 v4, v4, v5, s3
	s_waitcnt lgkmcnt(0)
	v_lshlrev_b16 v5, 8, v7
	ds_bpermute_b32 v7, v14, v3
	v_and_b32_e32 v6, 0xff, v4
	s_delay_alu instid0(VALU_DEP_1) | instskip(NEXT) | instid1(VALU_DEP_1)
	v_or_b32_e32 v5, v6, v5
	v_and_b32_e32 v5, 0xffff, v5
	s_delay_alu instid0(VALU_DEP_1) | instskip(NEXT) | instid1(VALU_DEP_1)
	v_and_or_b32 v5, 0xffff0000, v4, v5
	v_cndmask_b32_e64 v4, v4, v5, s2
	s_waitcnt lgkmcnt(0)
	v_lshlrev_b16 v5, 8, v7
	ds_bpermute_b32 v7, v14, v0
	v_and_b32_e32 v6, 0xff, v4
	s_delay_alu instid0(VALU_DEP_1) | instskip(NEXT) | instid1(VALU_DEP_1)
	v_or_b32_e32 v5, v6, v5
	v_and_b32_e32 v5, 0xffff, v5
	s_delay_alu instid0(VALU_DEP_1) | instskip(NEXT) | instid1(VALU_DEP_1)
	v_and_or_b32 v5, 0xffff0000, v4, v5
	v_cndmask_b32_e64 v4, v4, v5, s1
	s_waitcnt lgkmcnt(0)
	v_lshlrev_b16 v5, 8, v7
	s_delay_alu instid0(VALU_DEP_2) | instskip(NEXT) | instid1(VALU_DEP_1)
	v_and_b32_e32 v6, 0xff, v4
	v_or_b32_e32 v5, v6, v5
	ds_bpermute_b32 v6, v15, v2
	ds_bpermute_b32 v2, v16, v2
	v_and_b32_e32 v5, 0xffff, v5
	s_delay_alu instid0(VALU_DEP_1) | instskip(NEXT) | instid1(VALU_DEP_1)
	v_and_or_b32 v5, 0xffff0000, v4, v5
	v_cndmask_b32_e64 v4, v4, v5, s0
	s_delay_alu instid0(VALU_DEP_1)
	v_lshrrev_b32_e32 v5, 16, v4
	s_waitcnt lgkmcnt(1)
	v_and_b32_e32 v6, 0xff, v6
	s_waitcnt lgkmcnt(0)
	v_lshlrev_b16 v2, 8, v2
	v_and_b32_e32 v5, 0xffffff00, v5
	s_delay_alu instid0(VALU_DEP_1) | instskip(SKIP_3) | instid1(VALU_DEP_1)
	v_or_b32_e32 v5, v6, v5
	ds_bpermute_b32 v6, v15, v1
	ds_bpermute_b32 v1, v16, v1
	v_lshlrev_b32_e32 v5, 16, v5
	v_and_or_b32 v5, 0xffff, v4, v5
	s_delay_alu instid0(VALU_DEP_1) | instskip(NEXT) | instid1(VALU_DEP_1)
	v_cndmask_b32_e64 v4, v4, v5, s3
	v_lshrrev_b32_e32 v5, 16, v4
	s_waitcnt lgkmcnt(1)
	v_and_b32_e32 v6, 0xff, v6
	s_waitcnt lgkmcnt(0)
	v_lshlrev_b16 v1, 8, v1
	v_and_b32_e32 v5, 0xffffff00, v5
	s_delay_alu instid0(VALU_DEP_1) | instskip(SKIP_3) | instid1(VALU_DEP_1)
	v_or_b32_e32 v5, v6, v5
	ds_bpermute_b32 v6, v15, v3
	ds_bpermute_b32 v3, v16, v3
	v_lshlrev_b32_e32 v5, 16, v5
	v_and_or_b32 v5, 0xffff, v4, v5
	s_delay_alu instid0(VALU_DEP_1) | instskip(NEXT) | instid1(VALU_DEP_1)
	v_cndmask_b32_e64 v4, v4, v5, s2
	v_lshrrev_b32_e32 v5, 16, v4
	s_waitcnt lgkmcnt(1)
	v_and_b32_e32 v6, 0xff, v6
	s_waitcnt lgkmcnt(0)
	v_lshlrev_b16 v3, 8, v3
	v_and_b32_e32 v5, 0xffffff00, v5
	s_delay_alu instid0(VALU_DEP_1) | instskip(SKIP_3) | instid1(VALU_DEP_1)
	v_or_b32_e32 v5, v6, v5
	ds_bpermute_b32 v6, v15, v0
	ds_bpermute_b32 v0, v16, v0
	v_lshlrev_b32_e32 v5, 16, v5
	v_and_or_b32 v5, 0xffff, v4, v5
	s_delay_alu instid0(VALU_DEP_1) | instskip(NEXT) | instid1(VALU_DEP_1)
	v_cndmask_b32_e64 v4, v4, v5, s1
	v_lshrrev_b32_e32 v5, 16, v4
	s_waitcnt lgkmcnt(1)
	v_and_b32_e32 v6, 0xff, v6
	s_waitcnt lgkmcnt(0)
	v_lshlrev_b16 v0, 8, v0
	v_and_b32_e32 v5, 0xffffff00, v5
	s_delay_alu instid0(VALU_DEP_1) | instskip(NEXT) | instid1(VALU_DEP_1)
	v_or_b32_e32 v5, v6, v5
	v_lshlrev_b32_e32 v5, 16, v5
	s_delay_alu instid0(VALU_DEP_1) | instskip(NEXT) | instid1(VALU_DEP_1)
	v_and_or_b32 v5, 0xffff, v4, v5
	v_cndmask_b32_e64 v4, v4, v5, s0
	s_delay_alu instid0(VALU_DEP_1) | instskip(NEXT) | instid1(VALU_DEP_1)
	v_lshrrev_b32_e32 v5, 16, v4
	v_and_b32_e32 v5, 0xff, v5
	s_delay_alu instid0(VALU_DEP_1) | instskip(NEXT) | instid1(VALU_DEP_1)
	v_or_b32_e32 v2, v5, v2
	v_lshlrev_b32_e32 v2, 16, v2
	s_delay_alu instid0(VALU_DEP_1) | instskip(NEXT) | instid1(VALU_DEP_1)
	v_and_or_b32 v2, 0xffff, v4, v2
	v_cndmask_b32_e64 v2, v4, v2, s3
	s_delay_alu instid0(VALU_DEP_1) | instskip(NEXT) | instid1(VALU_DEP_1)
	v_lshrrev_b32_e32 v4, 16, v2
	v_and_b32_e32 v4, 0xff, v4
	s_delay_alu instid0(VALU_DEP_1) | instskip(NEXT) | instid1(VALU_DEP_1)
	v_or_b32_e32 v1, v4, v1
	v_lshlrev_b32_e32 v1, 16, v1
	s_delay_alu instid0(VALU_DEP_1) | instskip(NEXT) | instid1(VALU_DEP_1)
	v_and_or_b32 v1, 0xffff, v2, v1
	v_cndmask_b32_e64 v1, v2, v1, s2
	s_delay_alu instid0(VALU_DEP_1) | instskip(NEXT) | instid1(VALU_DEP_1)
	v_lshrrev_b32_e32 v2, 16, v1
	v_and_b32_e32 v2, 0xff, v2
	s_delay_alu instid0(VALU_DEP_1) | instskip(NEXT) | instid1(VALU_DEP_1)
	v_or_b32_e32 v2, v2, v3
	v_lshlrev_b32_e32 v2, 16, v2
	s_delay_alu instid0(VALU_DEP_1) | instskip(NEXT) | instid1(VALU_DEP_1)
	v_and_or_b32 v2, 0xffff, v1, v2
	v_cndmask_b32_e64 v1, v1, v2, s1
	s_delay_alu instid0(VALU_DEP_1) | instskip(NEXT) | instid1(VALU_DEP_1)
	v_lshrrev_b32_e32 v2, 16, v1
	v_and_b32_e32 v2, 0xff, v2
	s_delay_alu instid0(VALU_DEP_1) | instskip(NEXT) | instid1(VALU_DEP_1)
	v_or_b32_e32 v0, v2, v0
	v_lshlrev_b32_e32 v0, 16, v0
	s_delay_alu instid0(VALU_DEP_1) | instskip(NEXT) | instid1(VALU_DEP_1)
	v_and_or_b32 v0, 0xffff, v1, v0
	v_cndmask_b32_e64 v24, v1, v0, s0
	s_delay_alu instid0(VALU_DEP_1)
	v_and_b32_e32 v0, 1, v24
	v_lshlrev_b32_e32 v1, 30, v24
	v_lshlrev_b32_e32 v2, 29, v24
	;; [unrolled: 1-line block ×4, first 2 shown]
	v_add_co_u32 v0, s16, v0, -1
	s_delay_alu instid0(VALU_DEP_1)
	v_cndmask_b32_e64 v4, 0, 1, s16
	v_not_b32_e32 v25, v1
	v_cmp_gt_i32_e64 s17, 0, v1
	v_not_b32_e32 v1, v2
	v_lshlrev_b32_e32 v6, 26, v24
	v_cmp_ne_u32_e64 s16, 0, v4
	v_ashrrev_i32_e32 v25, 31, v25
	v_lshlrev_b32_e32 v7, 25, v24
	v_ashrrev_i32_e32 v1, 31, v1
	v_lshlrev_b32_e32 v4, 24, v24
	v_xor_b32_e32 v0, s16, v0
	v_cmp_gt_i32_e64 s16, 0, v2
	v_not_b32_e32 v2, v3
	v_xor_b32_e32 v25, s17, v25
	v_cmp_gt_i32_e64 s17, 0, v3
	v_and_b32_e32 v0, exec_lo, v0
	v_not_b32_e32 v3, v5
	v_ashrrev_i32_e32 v2, 31, v2
	v_xor_b32_e32 v1, s16, v1
	v_cmp_gt_i32_e64 s16, 0, v5
	v_and_b32_e32 v0, v0, v25
	v_not_b32_e32 v5, v6
	v_ashrrev_i32_e32 v3, 31, v3
	v_xor_b32_e32 v2, s17, v2
	v_cmp_gt_i32_e64 s17, 0, v6
	v_and_b32_e32 v0, v0, v1
	;; [unrolled: 5-line block ×4, first 2 shown]
	v_ashrrev_i32_e32 v2, 31, v2
	v_xor_b32_e32 v1, s16, v1
	s_delay_alu instid0(VALU_DEP_3) | instskip(NEXT) | instid1(VALU_DEP_3)
	v_and_b32_e32 v0, v0, v5
	v_xor_b32_e32 v2, s17, v2
	s_delay_alu instid0(VALU_DEP_2) | instskip(SKIP_1) | instid1(VALU_DEP_2)
	v_and_b32_e32 v0, v0, v1
	v_and_b32_e32 v1, 0xff, v24
	;; [unrolled: 1-line block ×3, first 2 shown]
	s_delay_alu instid0(VALU_DEP_2) | instskip(NEXT) | instid1(VALU_DEP_2)
	v_mad_u32_u24 v1, v1, 6, v22
	v_mbcnt_lo_u32_b32 v25, v0, 0
	v_cmp_ne_u32_e64 s17, 0, v0
	s_delay_alu instid0(VALU_DEP_3) | instskip(NEXT) | instid1(VALU_DEP_3)
	v_lshl_add_u32 v26, v1, 2, 24
	v_cmp_eq_u32_e64 s16, 0, v25
	s_delay_alu instid0(VALU_DEP_1) | instskip(NEXT) | instid1(SALU_CYCLE_1)
	s_and_b32 s17, s16, s17
	s_and_saveexec_b32 s16, s17
	s_cbranch_execz .LBB68_4
; %bb.3:                                ;   in Loop: Header=BB68_2 Depth=1
	v_bcnt_u32_b32 v0, v0, 0
	ds_store_b32 v26, v0
.LBB68_4:                               ;   in Loop: Header=BB68_2 Depth=1
	s_or_b32 exec_lo, exec_lo, s16
	v_bfe_u32 v0, v24, 8, 1
	v_lshrrev_b32_e32 v27, 8, v24
	; wave barrier
	s_delay_alu instid0(VALU_DEP_2) | instskip(NEXT) | instid1(VALU_DEP_1)
	v_add_co_u32 v0, s16, v0, -1
	v_cndmask_b32_e64 v1, 0, 1, s16
	s_delay_alu instid0(VALU_DEP_3)
	v_lshlrev_b32_e32 v2, 30, v27
	v_lshlrev_b32_e32 v3, 29, v27
	;; [unrolled: 1-line block ×4, first 2 shown]
	v_cmp_ne_u32_e64 s16, 0, v1
	v_not_b32_e32 v1, v2
	v_cmp_gt_i32_e64 s17, 0, v2
	v_not_b32_e32 v2, v3
	v_lshlrev_b32_e32 v6, 26, v27
	v_xor_b32_e32 v0, s16, v0
	v_ashrrev_i32_e32 v1, 31, v1
	v_cmp_gt_i32_e64 s16, 0, v3
	v_not_b32_e32 v3, v4
	v_ashrrev_i32_e32 v2, 31, v2
	v_and_b32_e32 v0, exec_lo, v0
	v_xor_b32_e32 v1, s17, v1
	v_cmp_gt_i32_e64 s17, 0, v4
	v_not_b32_e32 v4, v5
	v_ashrrev_i32_e32 v3, 31, v3
	v_xor_b32_e32 v2, s16, v2
	v_and_b32_e32 v0, v0, v1
	v_cmp_gt_i32_e64 s16, 0, v5
	v_not_b32_e32 v1, v6
	v_ashrrev_i32_e32 v4, 31, v4
	v_xor_b32_e32 v3, s17, v3
	v_and_b32_e32 v0, v0, v2
	v_lshlrev_b32_e32 v2, 25, v27
	v_cmp_gt_i32_e64 s17, 0, v6
	v_ashrrev_i32_e32 v1, 31, v1
	v_xor_b32_e32 v4, s16, v4
	v_and_b32_e32 v0, v0, v3
	v_not_b32_e32 v5, v2
	v_lshlrev_b32_e32 v6, 24, v27
	v_bfe_u32 v3, v24, 8, 8
	v_xor_b32_e32 v1, s17, v1
	v_and_b32_e32 v0, v0, v4
	v_cmp_gt_i32_e64 s16, 0, v2
	v_ashrrev_i32_e32 v2, 31, v5
	v_not_b32_e32 v4, v6
	v_mul_u32_u24_e32 v3, 6, v3
	v_and_b32_e32 v0, v0, v1
	s_delay_alu instid0(VALU_DEP_4) | instskip(SKIP_3) | instid1(VALU_DEP_4)
	v_xor_b32_e32 v1, s16, v2
	v_cmp_gt_i32_e64 s16, 0, v6
	v_ashrrev_i32_e32 v2, 31, v4
	v_add_lshl_u32 v3, v3, v22, 2
	v_and_b32_e32 v0, v0, v1
	s_delay_alu instid0(VALU_DEP_3) | instskip(SKIP_3) | instid1(VALU_DEP_1)
	v_xor_b32_e32 v1, s16, v2
	ds_load_b32 v28, v3 offset:24
	v_add_nc_u32_e32 v30, 24, v3
	; wave barrier
	v_and_b32_e32 v0, v0, v1
	v_mbcnt_lo_u32_b32 v29, v0, 0
	v_cmp_ne_u32_e64 s17, 0, v0
	s_delay_alu instid0(VALU_DEP_2) | instskip(NEXT) | instid1(VALU_DEP_1)
	v_cmp_eq_u32_e64 s16, 0, v29
	s_and_b32 s17, s17, s16
	s_delay_alu instid0(SALU_CYCLE_1)
	s_and_saveexec_b32 s16, s17
	s_cbranch_execz .LBB68_6
; %bb.5:                                ;   in Loop: Header=BB68_2 Depth=1
	s_waitcnt lgkmcnt(0)
	v_bcnt_u32_b32 v0, v0, v28
	ds_store_b32 v30, v0
.LBB68_6:                               ;   in Loop: Header=BB68_2 Depth=1
	s_or_b32 exec_lo, exec_lo, s16
	v_bfe_u32 v0, v24, 16, 1
	v_lshrrev_b32_e32 v31, 16, v24
	; wave barrier
	s_delay_alu instid0(VALU_DEP_2) | instskip(NEXT) | instid1(VALU_DEP_1)
	v_add_co_u32 v0, s16, v0, -1
	v_cndmask_b32_e64 v1, 0, 1, s16
	s_delay_alu instid0(VALU_DEP_3)
	v_lshlrev_b32_e32 v2, 30, v31
	v_lshlrev_b32_e32 v3, 29, v31
	;; [unrolled: 1-line block ×4, first 2 shown]
	v_cmp_ne_u32_e64 s16, 0, v1
	v_not_b32_e32 v1, v2
	v_cmp_gt_i32_e64 s17, 0, v2
	v_not_b32_e32 v2, v3
	v_lshlrev_b32_e32 v6, 26, v31
	v_xor_b32_e32 v0, s16, v0
	v_ashrrev_i32_e32 v1, 31, v1
	v_cmp_gt_i32_e64 s16, 0, v3
	v_not_b32_e32 v3, v4
	v_ashrrev_i32_e32 v2, 31, v2
	v_and_b32_e32 v0, exec_lo, v0
	v_xor_b32_e32 v1, s17, v1
	v_cmp_gt_i32_e64 s17, 0, v4
	v_not_b32_e32 v4, v5
	v_ashrrev_i32_e32 v3, 31, v3
	v_xor_b32_e32 v2, s16, v2
	v_and_b32_e32 v0, v0, v1
	v_cmp_gt_i32_e64 s16, 0, v5
	v_not_b32_e32 v1, v6
	v_ashrrev_i32_e32 v4, 31, v4
	v_xor_b32_e32 v3, s17, v3
	v_and_b32_e32 v0, v0, v2
	v_lshlrev_b32_e32 v2, 25, v31
	v_cmp_gt_i32_e64 s17, 0, v6
	v_ashrrev_i32_e32 v1, 31, v1
	v_xor_b32_e32 v4, s16, v4
	v_and_b32_e32 v0, v0, v3
	v_not_b32_e32 v5, v2
	v_lshlrev_b32_e32 v6, 24, v31
	v_bfe_u32 v3, v24, 16, 8
	v_xor_b32_e32 v1, s17, v1
	v_and_b32_e32 v0, v0, v4
	v_cmp_gt_i32_e64 s16, 0, v2
	v_ashrrev_i32_e32 v2, 31, v5
	v_not_b32_e32 v4, v6
	v_mul_u32_u24_e32 v3, 6, v3
	v_and_b32_e32 v0, v0, v1
	s_delay_alu instid0(VALU_DEP_4) | instskip(SKIP_3) | instid1(VALU_DEP_4)
	v_xor_b32_e32 v1, s16, v2
	v_cmp_gt_i32_e64 s16, 0, v6
	v_ashrrev_i32_e32 v2, 31, v4
	v_add_lshl_u32 v3, v3, v22, 2
	v_and_b32_e32 v0, v0, v1
	s_delay_alu instid0(VALU_DEP_3) | instskip(SKIP_3) | instid1(VALU_DEP_1)
	v_xor_b32_e32 v1, s16, v2
	ds_load_b32 v32, v3 offset:24
	v_add_nc_u32_e32 v34, 24, v3
	; wave barrier
	v_and_b32_e32 v0, v0, v1
	v_mbcnt_lo_u32_b32 v33, v0, 0
	v_cmp_ne_u32_e64 s17, 0, v0
	s_delay_alu instid0(VALU_DEP_2) | instskip(NEXT) | instid1(VALU_DEP_1)
	v_cmp_eq_u32_e64 s16, 0, v33
	s_and_b32 s17, s17, s16
	s_delay_alu instid0(SALU_CYCLE_1)
	s_and_saveexec_b32 s16, s17
	s_cbranch_execz .LBB68_8
; %bb.7:                                ;   in Loop: Header=BB68_2 Depth=1
	s_waitcnt lgkmcnt(0)
	v_bcnt_u32_b32 v0, v0, v32
	ds_store_b32 v34, v0
.LBB68_8:                               ;   in Loop: Header=BB68_2 Depth=1
	s_or_b32 exec_lo, exec_lo, s16
	v_bfe_u32 v0, v24, 24, 1
	v_lshrrev_b32_e32 v35, 24, v24
	; wave barrier
	s_delay_alu instid0(VALU_DEP_2) | instskip(NEXT) | instid1(VALU_DEP_1)
	v_add_co_u32 v0, s16, v0, -1
	v_cndmask_b32_e64 v1, 0, 1, s16
	s_delay_alu instid0(VALU_DEP_3)
	v_lshlrev_b32_e32 v2, 30, v35
	v_lshlrev_b32_e32 v3, 29, v35
	;; [unrolled: 1-line block ×4, first 2 shown]
	v_cmp_ne_u32_e64 s16, 0, v1
	v_not_b32_e32 v1, v2
	v_cmp_gt_i32_e64 s17, 0, v2
	v_not_b32_e32 v2, v3
	v_lshlrev_b32_e32 v6, 26, v35
	v_xor_b32_e32 v0, s16, v0
	v_ashrrev_i32_e32 v1, 31, v1
	v_cmp_gt_i32_e64 s16, 0, v3
	v_not_b32_e32 v3, v4
	v_ashrrev_i32_e32 v2, 31, v2
	v_and_b32_e32 v0, exec_lo, v0
	v_xor_b32_e32 v1, s17, v1
	v_cmp_gt_i32_e64 s17, 0, v4
	v_not_b32_e32 v4, v5
	v_ashrrev_i32_e32 v3, 31, v3
	v_xor_b32_e32 v2, s16, v2
	v_and_b32_e32 v0, v0, v1
	v_lshlrev_b32_e32 v1, 25, v35
	v_cmp_gt_i32_e64 s16, 0, v5
	v_ashrrev_i32_e32 v4, 31, v4
	v_xor_b32_e32 v3, s17, v3
	v_and_b32_e32 v0, v0, v2
	v_not_b32_e32 v5, v6
	v_not_b32_e32 v7, v1
	v_xor_b32_e32 v4, s16, v4
	v_cmp_gt_i32_e64 s16, 0, v6
	v_and_b32_e32 v0, v0, v3
	v_ashrrev_i32_e32 v3, 31, v5
	v_and_b32_e32 v2, 0xff000000, v24
	v_cmp_gt_i32_e64 s17, 0, v1
	v_ashrrev_i32_e32 v1, 31, v7
	v_and_b32_e32 v0, v0, v4
	v_not_b32_e32 v4, v24
	v_xor_b32_e32 v3, s16, v3
	v_mul_u32_u24_e32 v5, 6, v35
	v_xor_b32_e32 v1, s17, v1
	v_cmp_gt_i32_e64 s16, 0, v2
	v_ashrrev_i32_e32 v2, 31, v4
	v_and_b32_e32 v0, v0, v3
	v_add_lshl_u32 v3, v5, v22, 2
	s_delay_alu instid0(VALU_DEP_3) | instskip(NEXT) | instid1(VALU_DEP_3)
	v_xor_b32_e32 v2, s16, v2
	v_and_b32_e32 v0, v0, v1
	ds_load_b32 v36, v3 offset:24
	v_add_nc_u32_e32 v38, 24, v3
	; wave barrier
	v_and_b32_e32 v0, v0, v2
	s_delay_alu instid0(VALU_DEP_1) | instskip(SKIP_1) | instid1(VALU_DEP_2)
	v_mbcnt_lo_u32_b32 v37, v0, 0
	v_cmp_ne_u32_e64 s17, 0, v0
	v_cmp_eq_u32_e64 s16, 0, v37
	s_delay_alu instid0(VALU_DEP_1) | instskip(NEXT) | instid1(SALU_CYCLE_1)
	s_and_b32 s17, s17, s16
	s_and_saveexec_b32 s16, s17
	s_cbranch_execz .LBB68_10
; %bb.9:                                ;   in Loop: Header=BB68_2 Depth=1
	s_waitcnt lgkmcnt(0)
	v_bcnt_u32_b32 v0, v0, v36
	ds_store_b32 v38, v0
.LBB68_10:                              ;   in Loop: Header=BB68_2 Depth=1
	s_or_b32 exec_lo, exec_lo, s16
	; wave barrier
	s_waitcnt lgkmcnt(0)
	s_barrier
	buffer_gl0_inv
	ds_load_2addr_b64 v[4:7], v17 offset0:3 offset1:4
	ds_load_2addr_b64 v[0:3], v18 offset0:2 offset1:3
	s_waitcnt lgkmcnt(1)
	v_add_nc_u32_e32 v39, v5, v4
	s_delay_alu instid0(VALU_DEP_1) | instskip(SKIP_1) | instid1(VALU_DEP_1)
	v_add3_u32 v39, v39, v6, v7
	s_waitcnt lgkmcnt(0)
	v_add3_u32 v39, v39, v0, v1
	s_delay_alu instid0(VALU_DEP_1) | instskip(NEXT) | instid1(VALU_DEP_1)
	v_add3_u32 v3, v39, v2, v3
	v_mov_b32_dpp v39, v3 row_shr:1 row_mask:0xf bank_mask:0xf
	s_delay_alu instid0(VALU_DEP_1) | instskip(NEXT) | instid1(VALU_DEP_1)
	v_cndmask_b32_e64 v39, v39, 0, s4
	v_add_nc_u32_e32 v3, v39, v3
	s_delay_alu instid0(VALU_DEP_1) | instskip(NEXT) | instid1(VALU_DEP_1)
	v_mov_b32_dpp v39, v3 row_shr:2 row_mask:0xf bank_mask:0xf
	v_cndmask_b32_e64 v39, 0, v39, s5
	s_delay_alu instid0(VALU_DEP_1) | instskip(NEXT) | instid1(VALU_DEP_1)
	v_add_nc_u32_e32 v3, v3, v39
	v_mov_b32_dpp v39, v3 row_shr:4 row_mask:0xf bank_mask:0xf
	s_delay_alu instid0(VALU_DEP_1) | instskip(NEXT) | instid1(VALU_DEP_1)
	v_cndmask_b32_e64 v39, 0, v39, s6
	v_add_nc_u32_e32 v3, v3, v39
	s_delay_alu instid0(VALU_DEP_1) | instskip(NEXT) | instid1(VALU_DEP_1)
	v_mov_b32_dpp v39, v3 row_shr:8 row_mask:0xf bank_mask:0xf
	v_cndmask_b32_e64 v39, 0, v39, s7
	s_delay_alu instid0(VALU_DEP_1) | instskip(SKIP_3) | instid1(VALU_DEP_1)
	v_add_nc_u32_e32 v3, v3, v39
	ds_swizzle_b32 v39, v3 offset:swizzle(BROADCAST,32,15)
	s_waitcnt lgkmcnt(0)
	v_cndmask_b32_e64 v39, v39, 0, s8
	v_add_nc_u32_e32 v3, v3, v39
	s_and_saveexec_b32 s16, s15
	s_cbranch_execz .LBB68_12
; %bb.11:                               ;   in Loop: Header=BB68_2 Depth=1
	ds_store_b32 v19, v3
.LBB68_12:                              ;   in Loop: Header=BB68_2 Depth=1
	s_or_b32 exec_lo, exec_lo, s16
	s_waitcnt lgkmcnt(0)
	s_barrier
	buffer_gl0_inv
	s_and_saveexec_b32 s16, s9
	s_cbranch_execz .LBB68_14
; %bb.13:                               ;   in Loop: Header=BB68_2 Depth=1
	ds_load_b32 v39, v23
	s_waitcnt lgkmcnt(0)
	v_mov_b32_dpp v40, v39 row_shr:1 row_mask:0xf bank_mask:0xf
	s_delay_alu instid0(VALU_DEP_1) | instskip(NEXT) | instid1(VALU_DEP_1)
	v_cndmask_b32_e64 v40, v40, 0, s12
	v_add_nc_u32_e32 v39, v40, v39
	s_delay_alu instid0(VALU_DEP_1) | instskip(NEXT) | instid1(VALU_DEP_1)
	v_mov_b32_dpp v40, v39 row_shr:2 row_mask:0xf bank_mask:0xf
	v_cndmask_b32_e64 v40, 0, v40, s13
	s_delay_alu instid0(VALU_DEP_1) | instskip(NEXT) | instid1(VALU_DEP_1)
	v_add_nc_u32_e32 v39, v39, v40
	v_mov_b32_dpp v40, v39 row_shr:4 row_mask:0xf bank_mask:0xf
	s_delay_alu instid0(VALU_DEP_1) | instskip(NEXT) | instid1(VALU_DEP_1)
	v_cndmask_b32_e64 v40, 0, v40, s14
	v_add_nc_u32_e32 v39, v39, v40
	ds_store_b32 v23, v39
.LBB68_14:                              ;   in Loop: Header=BB68_2 Depth=1
	s_or_b32 exec_lo, exec_lo, s16
	v_mov_b32_e32 v39, 0
	s_waitcnt lgkmcnt(0)
	s_barrier
	buffer_gl0_inv
	s_and_saveexec_b32 s16, s10
	s_cbranch_execz .LBB68_1
; %bb.15:                               ;   in Loop: Header=BB68_2 Depth=1
	ds_load_b32 v39, v21
	s_branch .LBB68_1
.LBB68_16:
	s_add_u32 s0, s18, s20
	s_addc_u32 s1, s19, 0
	v_add_co_u32 v5, s0, s0, v8
	s_delay_alu instid0(VALU_DEP_1)
	v_add_co_ci_u32_e64 v6, null, s1, 0, s0
	s_clause 0x3
	global_store_b8 v[5:6], v1, off
	global_store_b8 v[5:6], v2, off offset:192
	global_store_b8 v[5:6], v4, off offset:384
	;; [unrolled: 1-line block ×3, first 2 shown]
	s_nop 0
	s_sendmsg sendmsg(MSG_DEALLOC_VGPRS)
	s_endpgm
	.section	.rodata,"a",@progbits
	.p2align	6, 0x0
	.amdhsa_kernel _Z16sort_keys_kernelI22helper_blocked_blockedaLj192ELj4ELj10EEvPKT0_PS1_
		.amdhsa_group_segment_fixed_size 6176
		.amdhsa_private_segment_fixed_size 0
		.amdhsa_kernarg_size 272
		.amdhsa_user_sgpr_count 15
		.amdhsa_user_sgpr_dispatch_ptr 0
		.amdhsa_user_sgpr_queue_ptr 0
		.amdhsa_user_sgpr_kernarg_segment_ptr 1
		.amdhsa_user_sgpr_dispatch_id 0
		.amdhsa_user_sgpr_private_segment_size 0
		.amdhsa_wavefront_size32 1
		.amdhsa_uses_dynamic_stack 0
		.amdhsa_enable_private_segment 0
		.amdhsa_system_sgpr_workgroup_id_x 1
		.amdhsa_system_sgpr_workgroup_id_y 0
		.amdhsa_system_sgpr_workgroup_id_z 0
		.amdhsa_system_sgpr_workgroup_info 0
		.amdhsa_system_vgpr_workitem_id 2
		.amdhsa_next_free_vgpr 41
		.amdhsa_next_free_sgpr 22
		.amdhsa_reserve_vcc 1
		.amdhsa_float_round_mode_32 0
		.amdhsa_float_round_mode_16_64 0
		.amdhsa_float_denorm_mode_32 3
		.amdhsa_float_denorm_mode_16_64 3
		.amdhsa_dx10_clamp 1
		.amdhsa_ieee_mode 1
		.amdhsa_fp16_overflow 0
		.amdhsa_workgroup_processor_mode 1
		.amdhsa_memory_ordered 1
		.amdhsa_forward_progress 0
		.amdhsa_shared_vgpr_count 0
		.amdhsa_exception_fp_ieee_invalid_op 0
		.amdhsa_exception_fp_denorm_src 0
		.amdhsa_exception_fp_ieee_div_zero 0
		.amdhsa_exception_fp_ieee_overflow 0
		.amdhsa_exception_fp_ieee_underflow 0
		.amdhsa_exception_fp_ieee_inexact 0
		.amdhsa_exception_int_div_zero 0
	.end_amdhsa_kernel
	.section	.text._Z16sort_keys_kernelI22helper_blocked_blockedaLj192ELj4ELj10EEvPKT0_PS1_,"axG",@progbits,_Z16sort_keys_kernelI22helper_blocked_blockedaLj192ELj4ELj10EEvPKT0_PS1_,comdat
.Lfunc_end68:
	.size	_Z16sort_keys_kernelI22helper_blocked_blockedaLj192ELj4ELj10EEvPKT0_PS1_, .Lfunc_end68-_Z16sort_keys_kernelI22helper_blocked_blockedaLj192ELj4ELj10EEvPKT0_PS1_
                                        ; -- End function
	.section	.AMDGPU.csdata,"",@progbits
; Kernel info:
; codeLenInByte = 3816
; NumSgprs: 24
; NumVgprs: 41
; ScratchSize: 0
; MemoryBound: 0
; FloatMode: 240
; IeeeMode: 1
; LDSByteSize: 6176 bytes/workgroup (compile time only)
; SGPRBlocks: 2
; VGPRBlocks: 5
; NumSGPRsForWavesPerEU: 24
; NumVGPRsForWavesPerEU: 41
; Occupancy: 15
; WaveLimiterHint : 1
; COMPUTE_PGM_RSRC2:SCRATCH_EN: 0
; COMPUTE_PGM_RSRC2:USER_SGPR: 15
; COMPUTE_PGM_RSRC2:TRAP_HANDLER: 0
; COMPUTE_PGM_RSRC2:TGID_X_EN: 1
; COMPUTE_PGM_RSRC2:TGID_Y_EN: 0
; COMPUTE_PGM_RSRC2:TGID_Z_EN: 0
; COMPUTE_PGM_RSRC2:TIDIG_COMP_CNT: 2
	.section	.text._Z17sort_pairs_kernelI22helper_blocked_blockedaLj192ELj4ELj10EEvPKT0_PS1_,"axG",@progbits,_Z17sort_pairs_kernelI22helper_blocked_blockedaLj192ELj4ELj10EEvPKT0_PS1_,comdat
	.protected	_Z17sort_pairs_kernelI22helper_blocked_blockedaLj192ELj4ELj10EEvPKT0_PS1_ ; -- Begin function _Z17sort_pairs_kernelI22helper_blocked_blockedaLj192ELj4ELj10EEvPKT0_PS1_
	.globl	_Z17sort_pairs_kernelI22helper_blocked_blockedaLj192ELj4ELj10EEvPKT0_PS1_
	.p2align	8
	.type	_Z17sort_pairs_kernelI22helper_blocked_blockedaLj192ELj4ELj10EEvPKT0_PS1_,@function
_Z17sort_pairs_kernelI22helper_blocked_blockedaLj192ELj4ELj10EEvPKT0_PS1_: ; @_Z17sort_pairs_kernelI22helper_blocked_blockedaLj192ELj4ELj10EEvPKT0_PS1_
; %bb.0:
	s_load_b128 s[16:19], s[0:1], 0x0
	s_mul_i32 s20, s15, 0x300
	s_load_b32 s15, s[0:1], 0x1c
	v_and_b32_e32 v8, 0x3ff, v0
	v_mbcnt_lo_u32_b32 v5, -1, 0
	v_bfe_u32 v7, v0, 10, 10
	v_bfe_u32 v0, v0, 20, 10
	s_mov_b32 s21, 10
	s_delay_alu instid0(VALU_DEP_3)
	v_add_nc_u32_e32 v20, -1, v5
	v_and_b32_e32 v6, 3, v5
	v_and_b32_e32 v18, 15, v5
	;; [unrolled: 1-line block ×3, first 2 shown]
	v_cmp_eq_u32_e32 vcc_lo, 0, v5
	v_cmp_gt_i32_e64 s11, 0, v20
	v_and_b32_e32 v21, 7, v5
	v_cmp_eq_u32_e64 s4, 0, v18
	v_cmp_eq_u32_e64 s8, 0, v19
	v_cmp_lt_u32_e64 s5, 1, v18
	v_cmp_lt_u32_e64 s6, 3, v18
	s_waitcnt lgkmcnt(0)
	s_add_u32 s0, s16, s20
	s_addc_u32 s1, s17, 0
	v_cmp_eq_u32_e64 s12, 0, v21
	s_clause 0x3
	global_load_u8 v2, v8, s[0:1]
	global_load_u8 v3, v8, s[0:1] offset:384
	global_load_u8 v1, v8, s[0:1] offset:192
	;; [unrolled: 1-line block ×3, first 2 shown]
	s_mov_b32 s0, 0
	v_cmp_lt_u32_e64 s13, 1, v21
	s_mov_b32 s3, s0
	s_mov_b32 s2, s0
	v_dual_mov_b32 v12, s3 :: v_dual_and_b32 v13, 28, v5
	v_cndmask_b32_e64 v5, v20, v5, s11
	v_cmp_lt_u32_e64 s14, 3, v21
	s_mov_b32 s1, s0
	s_lshr_b32 s16, s15, 16
	v_dual_mov_b32 v10, s1 :: v_dual_mov_b32 v11, s2
	v_lshlrev_b32_e32 v19, 2, v5
	v_mov_b32_e32 v9, s0
	v_mad_u32_u24 v7, v0, s16, v7
	v_cmp_eq_u32_e64 s0, 3, v6
	v_cmp_eq_u32_e64 s1, 2, v6
	;; [unrolled: 1-line block ×4, first 2 shown]
	v_and_b32_e32 v6, 0xe0, v8
	s_and_b32 s15, s15, 0xffff
	v_lshrrev_b32_e32 v20, 3, v8
	v_lshlrev_b32_e32 v17, 5, v8
	v_mul_i32_i24_e32 v23, 0xffffffe4, v8
	v_min_u32_e32 v6, 0xa0, v6
	v_or_b32_e32 v14, 32, v13
	v_and_b32_e32 v20, 28, v20
	v_or_b32_e32 v15, 64, v13
	v_or_b32_e32 v16, 0x60, v13
	v_cmp_lt_u32_e64 s7, 7, v18
	v_cmp_gt_u32_e64 s9, 6, v8
	v_cmp_lt_u32_e64 s10, 31, v8
	v_cmp_eq_u32_e64 s11, 0, v8
	v_or_b32_e32 v18, 24, v17
	v_add_nc_u32_e32 v23, v17, v23
	s_waitcnt vmcnt(3)
	v_add_nc_u16 v5, v2, 1
	s_waitcnt vmcnt(2)
	v_add_nc_u16 v21, v3, 1
	s_waitcnt vmcnt(1)
	v_lshlrev_b16 v22, 8, v1
	s_waitcnt vmcnt(0)
	v_lshlrev_b16 v4, 8, v4
	v_and_b32_e32 v1, 0xff, v5
	v_and_b32_e32 v5, 0xff, v21
	s_delay_alu instid0(VALU_DEP_2) | instskip(NEXT) | instid1(VALU_DEP_2)
	v_or_b32_e32 v21, v22, v1
	v_or_b32_e32 v5, v4, v5
	v_mad_u64_u32 v[0:1], null, v7, s15, v[8:9]
	v_or_b32_e32 v1, v2, v22
	v_or_b32_e32 v2, v3, v4
	v_add_nc_u16 v3, v21, 0x100
	v_add_nc_u16 v4, v5, 0x100
	v_or_b32_e32 v5, 31, v6
	v_and_b32_e32 v1, 0xffff, v1
	v_lshlrev_b32_e32 v2, 16, v2
	v_and_b32_e32 v3, 0xffff, v3
	v_lshlrev_b32_e32 v6, 16, v4
	v_add_nc_u32_e32 v21, -4, v20
	v_cmp_eq_u32_e64 s15, v5, v8
	v_lshrrev_b32_e32 v22, 5, v0
	v_or_b32_e32 v4, v1, v2
	v_or_b32_e32 v0, v3, v6
	s_branch .LBB69_2
.LBB69_1:                               ;   in Loop: Header=BB69_2 Depth=1
	s_or_b32 exec_lo, exec_lo, s16
	v_perm_b32 v36, v36, v30, 0x3020104
	s_waitcnt lgkmcnt(0)
	v_add_nc_u32_e32 v3, v55, v3
	s_add_i32 s21, s21, -1
	s_delay_alu instid0(SALU_CYCLE_1) | instskip(SKIP_4) | instid1(VALU_DEP_1)
	s_cmp_eq_u32 s21, 0
	v_cndmask_b32_e64 v30, v30, v36, s2
	ds_bpermute_b32 v3, v19, v3
	v_and_b32_e32 v26, 0xff, v26
	v_perm_b32 v35, v35, v30, 0x3020104
	v_cndmask_b32_e64 v30, v30, v35, s1
	s_delay_alu instid0(VALU_DEP_1) | instskip(NEXT) | instid1(VALU_DEP_1)
	v_perm_b32 v34, v34, v30, 0x3020104
	v_cndmask_b32_e64 v30, v30, v34, s0
	s_waitcnt lgkmcnt(0)
	v_cndmask_b32_e32 v3, v3, v55, vcc_lo
	s_delay_alu instid0(VALU_DEP_2) | instskip(NEXT) | instid1(VALU_DEP_2)
	v_perm_b32 v31, v30, v31, 0x7060004
	v_cndmask_b32_e64 v3, v3, 0, s11
	s_delay_alu instid0(VALU_DEP_2) | instskip(NEXT) | instid1(VALU_DEP_2)
	v_cndmask_b32_e64 v30, v30, v31, s3
	v_add_nc_u32_e32 v4, v3, v4
	s_delay_alu instid0(VALU_DEP_2) | instskip(NEXT) | instid1(VALU_DEP_2)
	v_perm_b32 v31, v30, v32, 0x7060004
	v_add_nc_u32_e32 v5, v4, v5
	s_delay_alu instid0(VALU_DEP_2) | instskip(NEXT) | instid1(VALU_DEP_2)
	v_cndmask_b32_e64 v30, v30, v31, s2
	v_add_nc_u32_e32 v6, v5, v6
	s_delay_alu instid0(VALU_DEP_2) | instskip(NEXT) | instid1(VALU_DEP_1)
	v_perm_b32 v29, v30, v29, 0x7060004
	v_cndmask_b32_e64 v29, v30, v29, s1
	s_delay_alu instid0(VALU_DEP_1) | instskip(NEXT) | instid1(VALU_DEP_1)
	v_perm_b32 v28, v29, v28, 0x7060004
	v_cndmask_b32_e64 v28, v29, v28, s0
	s_delay_alu instid0(VALU_DEP_1) | instskip(NEXT) | instid1(VALU_DEP_1)
	v_lshrrev_b32_e32 v29, 16, v28
	v_and_b32_e32 v29, 0xffffff00, v29
	s_delay_alu instid0(VALU_DEP_1) | instskip(SKIP_1) | instid1(VALU_DEP_2)
	v_or_b32_e32 v26, v26, v29
	v_and_b32_e32 v29, 0xff, v43
	v_lshlrev_b32_e32 v26, 16, v26
	s_delay_alu instid0(VALU_DEP_1) | instskip(NEXT) | instid1(VALU_DEP_1)
	v_and_or_b32 v26, 0xffff, v28, v26
	v_cndmask_b32_e64 v26, v28, v26, s3
	s_delay_alu instid0(VALU_DEP_1) | instskip(NEXT) | instid1(VALU_DEP_1)
	v_lshrrev_b32_e32 v28, 16, v26
	v_and_b32_e32 v28, 0xffffff00, v28
	s_delay_alu instid0(VALU_DEP_1) | instskip(SKIP_1) | instid1(VALU_DEP_2)
	v_or_b32_e32 v28, v29, v28
	v_and_b32_e32 v29, 0xff, v42
	v_lshlrev_b32_e32 v28, 16, v28
	s_delay_alu instid0(VALU_DEP_1) | instskip(NEXT) | instid1(VALU_DEP_1)
	v_and_or_b32 v28, 0xffff, v26, v28
	;; [unrolled: 10-line block ×3, first 2 shown]
	v_cndmask_b32_e64 v26, v26, v28, s1
	s_delay_alu instid0(VALU_DEP_1) | instskip(NEXT) | instid1(VALU_DEP_1)
	v_lshrrev_b32_e32 v28, 16, v26
	v_and_b32_e32 v28, 0xffffff00, v28
	s_delay_alu instid0(VALU_DEP_1) | instskip(SKIP_1) | instid1(VALU_DEP_2)
	v_or_b32_e32 v28, v29, v28
	v_lshlrev_b16 v29, 8, v40
	v_lshlrev_b32_e32 v28, 16, v28
	s_delay_alu instid0(VALU_DEP_1) | instskip(NEXT) | instid1(VALU_DEP_1)
	v_and_or_b32 v28, 0xffff, v26, v28
	v_cndmask_b32_e64 v26, v26, v28, s0
	s_delay_alu instid0(VALU_DEP_1) | instskip(NEXT) | instid1(VALU_DEP_1)
	v_lshrrev_b32_e32 v28, 16, v26
	v_and_b32_e32 v28, 0xff, v28
	s_delay_alu instid0(VALU_DEP_1) | instskip(NEXT) | instid1(VALU_DEP_1)
	v_or_b32_e32 v28, v28, v29
	v_lshlrev_b32_e32 v28, 16, v28
	s_delay_alu instid0(VALU_DEP_1) | instskip(NEXT) | instid1(VALU_DEP_1)
	v_and_or_b32 v28, 0xffff, v26, v28
	v_cndmask_b32_e64 v26, v26, v28, s3
	v_add_nc_u32_e32 v28, v6, v7
	v_lshlrev_b16 v7, 8, v38
	s_delay_alu instid0(VALU_DEP_3) | instskip(NEXT) | instid1(VALU_DEP_1)
	v_lshrrev_b32_e32 v29, 16, v26
	v_and_b32_e32 v30, 0xff, v29
	s_delay_alu instid0(VALU_DEP_4) | instskip(NEXT) | instid1(VALU_DEP_2)
	v_add_nc_u32_e32 v29, v28, v0
	v_or_b32_e32 v7, v30, v7
	s_delay_alu instid0(VALU_DEP_2) | instskip(NEXT) | instid1(VALU_DEP_2)
	v_add_nc_u32_e32 v0, v29, v1
	v_lshlrev_b32_e32 v7, 16, v7
	s_delay_alu instid0(VALU_DEP_2)
	v_add_nc_u32_e32 v1, v0, v2
	ds_store_2addr_b64 v17, v[3:4], v[5:6] offset0:3 offset1:4
	ds_store_2addr_b64 v18, v[28:29], v[0:1] offset0:2 offset1:3
	v_and_or_b32 v2, 0xffff, v26, v7
	s_waitcnt lgkmcnt(0)
	s_barrier
	buffer_gl0_inv
	v_lshlrev_b16 v6, 8, v27
	v_cndmask_b32_e64 v0, v26, v2, s2
	ds_load_b32 v1, v37
	ds_load_b32 v2, v46
	;; [unrolled: 1-line block ×4, first 2 shown]
	s_waitcnt lgkmcnt(0)
	s_barrier
	buffer_gl0_inv
	v_lshrrev_b32_e32 v5, 16, v0
	s_delay_alu instid0(VALU_DEP_1) | instskip(NEXT) | instid1(VALU_DEP_1)
	v_and_b32_e32 v5, 0xff, v5
	v_or_b32_e32 v5, v5, v6
	v_add_nc_u32_e32 v6, v1, v33
	v_add3_u32 v7, v45, v44, v2
	s_delay_alu instid0(VALU_DEP_3)
	v_lshlrev_b32_e32 v5, 16, v5
	v_add3_u32 v26, v49, v48, v3
	v_add3_u32 v4, v53, v52, v4
	ds_store_b8 v6, v24
	ds_store_b8 v7, v39
	;; [unrolled: 1-line block ×4, first 2 shown]
	v_and_or_b32 v1, 0xffff, v0, v5
	s_waitcnt lgkmcnt(0)
	s_barrier
	buffer_gl0_inv
	v_lshlrev_b16 v3, 8, v25
	v_cndmask_b32_e64 v0, v0, v1, s1
	ds_load_b32 v1, v23
	s_waitcnt lgkmcnt(0)
	s_barrier
	buffer_gl0_inv
	v_lshrrev_b32_e32 v2, 16, v0
	s_delay_alu instid0(VALU_DEP_1) | instskip(NEXT) | instid1(VALU_DEP_1)
	v_and_b32_e32 v2, 0xff, v2
	v_or_b32_e32 v2, v2, v3
	s_delay_alu instid0(VALU_DEP_1)
	v_lshlrev_b32_e32 v2, 16, v2
	v_lshrrev_b32_e32 v3, 8, v1
	v_lshrrev_b32_e32 v24, 24, v1
	;; [unrolled: 1-line block ×3, first 2 shown]
	v_xor_b32_e32 v5, 0xffffff80, v1
	v_and_or_b32 v2, 0xffff, v0, v2
	v_xor_b32_e32 v1, 0xffffff80, v3
	s_delay_alu instid0(VALU_DEP_4) | instskip(NEXT) | instid1(VALU_DEP_3)
	v_xor_b32_e32 v3, 0xffffff80, v25
	v_cndmask_b32_e64 v0, v0, v2, s0
	v_xor_b32_e32 v2, 0xffffff80, v24
	v_and_b32_e32 v24, 0xff, v5
	v_lshlrev_b16 v25, 8, v1
	v_and_b32_e32 v30, 0xff, v3
	v_lshrrev_b32_e32 v27, 8, v0
	v_lshrrev_b32_e32 v29, 24, v0
	v_lshlrev_b16 v28, 8, v2
	ds_store_b8 v6, v0
	ds_store_b8 v7, v27
	ds_store_b8_d16_hi v26, v0
	ds_store_b8 v4, v29
	s_waitcnt lgkmcnt(0)
	s_barrier
	buffer_gl0_inv
	ds_load_b32 v0, v23
	v_or_b32_e32 v4, v24, v25
	v_or_b32_e32 v6, v30, v28
	s_delay_alu instid0(VALU_DEP_2) | instskip(NEXT) | instid1(VALU_DEP_2)
	v_and_b32_e32 v4, 0xffff, v4
	v_lshlrev_b32_e32 v6, 16, v6
	s_delay_alu instid0(VALU_DEP_1)
	v_or_b32_e32 v4, v4, v6
	s_cbranch_scc1 .LBB69_16
.LBB69_2:                               ; =>This Inner Loop Header: Depth=1
	s_delay_alu instid0(VALU_DEP_1) | instskip(SKIP_3) | instid1(VALU_DEP_4)
	v_lshrrev_b32_e32 v1, 8, v4
	v_xor_b32_e32 v2, 0x80, v4
	v_lshrrev_b32_e32 v3, 16, v4
	v_lshrrev_b32_e32 v4, 24, v4
	v_xor_b32_e32 v1, 0x80, v1
	s_delay_alu instid0(VALU_DEP_4) | instskip(NEXT) | instid1(VALU_DEP_4)
	v_and_b32_e32 v2, 0xff, v2
	v_xor_b32_e32 v3, 0x80, v3
	s_delay_alu instid0(VALU_DEP_4)
	v_xor_b32_e32 v4, 0x80, v4
	s_waitcnt lgkmcnt(0)
	s_barrier
	v_and_b32_e32 v1, 0xff, v1
	ds_bpermute_b32 v5, v13, v2
	v_and_b32_e32 v3, 0xff, v3
	v_and_b32_e32 v4, 0xffff, v4
	s_waitcnt lgkmcnt(0)
	buffer_gl0_inv
	ds_bpermute_b32 v6, v13, v1
	ds_store_2addr_b64 v17, v[9:10], v[11:12] offset0:3 offset1:4
	ds_store_2addr_b64 v18, v[9:10], v[11:12] offset0:2 offset1:3
	ds_bpermute_b32 v7, v13, v3
	ds_bpermute_b32 v24, v13, v4
	s_waitcnt lgkmcnt(0)
	s_barrier
	buffer_gl0_inv
	; wave barrier
	v_perm_b32 v6, v6, v5, 0x3020104
	s_delay_alu instid0(VALU_DEP_1) | instskip(SKIP_2) | instid1(VALU_DEP_1)
	v_cndmask_b32_e64 v5, v5, v6, s2
	ds_bpermute_b32 v6, v14, v2
	v_perm_b32 v7, v7, v5, 0x3020104
	v_cndmask_b32_e64 v5, v5, v7, s1
	s_delay_alu instid0(VALU_DEP_1) | instskip(SKIP_4) | instid1(VALU_DEP_2)
	v_perm_b32 v7, v24, v5, 0x3020104
	ds_bpermute_b32 v24, v14, v1
	v_cndmask_b32_e64 v5, v5, v7, s0
	s_waitcnt lgkmcnt(1)
	v_lshlrev_b16 v6, 8, v6
	v_and_b32_e32 v7, 0xff, v5
	s_delay_alu instid0(VALU_DEP_1) | instskip(NEXT) | instid1(VALU_DEP_1)
	v_or_b32_e32 v6, v7, v6
	v_and_b32_e32 v6, 0xffff, v6
	s_delay_alu instid0(VALU_DEP_1) | instskip(NEXT) | instid1(VALU_DEP_1)
	v_and_or_b32 v6, 0xffff0000, v5, v6
	v_cndmask_b32_e64 v5, v5, v6, s3
	s_waitcnt lgkmcnt(0)
	v_lshlrev_b16 v6, 8, v24
	ds_bpermute_b32 v24, v14, v3
	v_and_b32_e32 v7, 0xff, v5
	s_delay_alu instid0(VALU_DEP_1) | instskip(NEXT) | instid1(VALU_DEP_1)
	v_or_b32_e32 v6, v7, v6
	v_and_b32_e32 v6, 0xffff, v6
	s_delay_alu instid0(VALU_DEP_1) | instskip(NEXT) | instid1(VALU_DEP_1)
	v_and_or_b32 v6, 0xffff0000, v5, v6
	v_cndmask_b32_e64 v5, v5, v6, s2
	s_waitcnt lgkmcnt(0)
	v_lshlrev_b16 v6, 8, v24
	ds_bpermute_b32 v24, v14, v4
	v_and_b32_e32 v7, 0xff, v5
	s_delay_alu instid0(VALU_DEP_1) | instskip(NEXT) | instid1(VALU_DEP_1)
	v_or_b32_e32 v6, v7, v6
	v_and_b32_e32 v6, 0xffff, v6
	s_delay_alu instid0(VALU_DEP_1) | instskip(NEXT) | instid1(VALU_DEP_1)
	v_and_or_b32 v6, 0xffff0000, v5, v6
	v_cndmask_b32_e64 v5, v5, v6, s1
	s_waitcnt lgkmcnt(0)
	v_lshlrev_b16 v6, 8, v24
	s_delay_alu instid0(VALU_DEP_2) | instskip(NEXT) | instid1(VALU_DEP_1)
	v_and_b32_e32 v7, 0xff, v5
	v_or_b32_e32 v6, v7, v6
	ds_bpermute_b32 v7, v15, v2
	ds_bpermute_b32 v2, v16, v2
	v_and_b32_e32 v6, 0xffff, v6
	s_delay_alu instid0(VALU_DEP_1) | instskip(NEXT) | instid1(VALU_DEP_1)
	v_and_or_b32 v6, 0xffff0000, v5, v6
	v_cndmask_b32_e64 v5, v5, v6, s0
	s_delay_alu instid0(VALU_DEP_1)
	v_lshrrev_b32_e32 v6, 16, v5
	s_waitcnt lgkmcnt(1)
	v_and_b32_e32 v7, 0xff, v7
	s_waitcnt lgkmcnt(0)
	v_lshlrev_b16 v2, 8, v2
	v_and_b32_e32 v6, 0xffffff00, v6
	s_delay_alu instid0(VALU_DEP_1) | instskip(SKIP_3) | instid1(VALU_DEP_1)
	v_or_b32_e32 v6, v7, v6
	ds_bpermute_b32 v7, v15, v1
	ds_bpermute_b32 v1, v16, v1
	v_lshlrev_b32_e32 v6, 16, v6
	v_and_or_b32 v6, 0xffff, v5, v6
	s_delay_alu instid0(VALU_DEP_1) | instskip(NEXT) | instid1(VALU_DEP_1)
	v_cndmask_b32_e64 v5, v5, v6, s3
	v_lshrrev_b32_e32 v6, 16, v5
	s_waitcnt lgkmcnt(1)
	v_and_b32_e32 v7, 0xff, v7
	s_waitcnt lgkmcnt(0)
	v_lshlrev_b16 v1, 8, v1
	v_and_b32_e32 v6, 0xffffff00, v6
	s_delay_alu instid0(VALU_DEP_1) | instskip(SKIP_3) | instid1(VALU_DEP_1)
	v_or_b32_e32 v6, v7, v6
	ds_bpermute_b32 v7, v15, v3
	ds_bpermute_b32 v3, v16, v3
	v_lshlrev_b32_e32 v6, 16, v6
	v_and_or_b32 v6, 0xffff, v5, v6
	s_delay_alu instid0(VALU_DEP_1) | instskip(NEXT) | instid1(VALU_DEP_1)
	v_cndmask_b32_e64 v5, v5, v6, s2
	v_lshrrev_b32_e32 v6, 16, v5
	s_waitcnt lgkmcnt(1)
	v_and_b32_e32 v7, 0xff, v7
	s_waitcnt lgkmcnt(0)
	v_lshlrev_b16 v3, 8, v3
	v_and_b32_e32 v6, 0xffffff00, v6
	s_delay_alu instid0(VALU_DEP_1) | instskip(SKIP_2) | instid1(VALU_DEP_1)
	v_or_b32_e32 v6, v7, v6
	ds_bpermute_b32 v7, v15, v4
	v_lshlrev_b32_e32 v6, 16, v6
	v_and_or_b32 v6, 0xffff, v5, v6
	s_delay_alu instid0(VALU_DEP_1) | instskip(NEXT) | instid1(VALU_DEP_1)
	v_cndmask_b32_e64 v5, v5, v6, s1
	v_lshrrev_b32_e32 v6, 16, v5
	s_waitcnt lgkmcnt(0)
	v_and_b32_e32 v7, 0xff, v7
	s_delay_alu instid0(VALU_DEP_2) | instskip(NEXT) | instid1(VALU_DEP_1)
	v_and_b32_e32 v6, 0xffffff00, v6
	v_or_b32_e32 v6, v7, v6
	s_delay_alu instid0(VALU_DEP_1) | instskip(NEXT) | instid1(VALU_DEP_1)
	v_lshlrev_b32_e32 v6, 16, v6
	v_and_or_b32 v6, 0xffff, v5, v6
	s_delay_alu instid0(VALU_DEP_1) | instskip(NEXT) | instid1(VALU_DEP_1)
	v_cndmask_b32_e64 v5, v5, v6, s0
	v_lshrrev_b32_e32 v6, 16, v5
	s_delay_alu instid0(VALU_DEP_1) | instskip(NEXT) | instid1(VALU_DEP_1)
	v_and_b32_e32 v6, 0xff, v6
	v_or_b32_e32 v2, v6, v2
	s_delay_alu instid0(VALU_DEP_1) | instskip(NEXT) | instid1(VALU_DEP_1)
	v_lshlrev_b32_e32 v2, 16, v2
	v_and_or_b32 v2, 0xffff, v5, v2
	s_delay_alu instid0(VALU_DEP_1) | instskip(NEXT) | instid1(VALU_DEP_1)
	v_cndmask_b32_e64 v2, v5, v2, s3
	v_lshrrev_b32_e32 v5, 16, v2
	s_delay_alu instid0(VALU_DEP_1) | instskip(NEXT) | instid1(VALU_DEP_1)
	v_and_b32_e32 v5, 0xff, v5
	v_or_b32_e32 v1, v5, v1
	v_bfe_u32 v5, v0, 16, 8
	s_delay_alu instid0(VALU_DEP_2) | instskip(SKIP_4) | instid1(VALU_DEP_1)
	v_lshlrev_b32_e32 v1, 16, v1
	ds_bpermute_b32 v35, v13, v5
	ds_bpermute_b32 v29, v14, v5
	;; [unrolled: 1-line block ×3, first 2 shown]
	v_and_or_b32 v1, 0xffff, v2, v1
	v_cndmask_b32_e64 v1, v2, v1, s2
	s_delay_alu instid0(VALU_DEP_1) | instskip(NEXT) | instid1(VALU_DEP_1)
	v_lshrrev_b32_e32 v2, 16, v1
	v_and_b32_e32 v2, 0xff, v2
	s_delay_alu instid0(VALU_DEP_1)
	v_or_b32_e32 v2, v2, v3
	ds_bpermute_b32 v3, v16, v4
	v_bfe_u32 v4, v0, 8, 8
	v_lshlrev_b32_e32 v2, 16, v2
	ds_bpermute_b32 v36, v13, v4
	ds_bpermute_b32 v32, v14, v4
	;; [unrolled: 1-line block ×3, first 2 shown]
	v_and_or_b32 v2, 0xffff, v1, v2
	s_delay_alu instid0(VALU_DEP_1) | instskip(NEXT) | instid1(VALU_DEP_1)
	v_cndmask_b32_e64 v1, v1, v2, s1
	v_lshrrev_b32_e32 v2, 16, v1
	s_waitcnt lgkmcnt(3)
	v_lshlrev_b16 v3, 8, v3
	s_delay_alu instid0(VALU_DEP_2) | instskip(NEXT) | instid1(VALU_DEP_1)
	v_and_b32_e32 v2, 0xff, v2
	v_or_b32_e32 v2, v2, v3
	v_and_b32_e32 v3, 0xff, v0
	v_lshrrev_b32_e32 v0, 24, v0
	s_delay_alu instid0(VALU_DEP_3)
	v_lshlrev_b32_e32 v2, 16, v2
	ds_bpermute_b32 v30, v13, v3
	ds_bpermute_b32 v31, v14, v3
	;; [unrolled: 1-line block ×4, first 2 shown]
	v_and_or_b32 v2, 0xffff, v1, v2
	ds_bpermute_b32 v34, v13, v0
	ds_bpermute_b32 v28, v14, v0
	;; [unrolled: 1-line block ×3, first 2 shown]
	v_cndmask_b32_e64 v24, v1, v2, s0
	s_delay_alu instid0(VALU_DEP_1)
	v_and_b32_e32 v1, 1, v24
	v_lshlrev_b32_e32 v2, 30, v24
	v_lshlrev_b32_e32 v6, 29, v24
	;; [unrolled: 1-line block ×4, first 2 shown]
	v_add_co_u32 v1, s16, v1, -1
	s_delay_alu instid0(VALU_DEP_1)
	v_cndmask_b32_e64 v25, 0, 1, s16
	v_not_b32_e32 v38, v2
	v_cmp_gt_i32_e64 s17, 0, v2
	v_not_b32_e32 v2, v6
	v_lshlrev_b32_e32 v33, 26, v24
	v_cmp_ne_u32_e64 s16, 0, v25
	v_ashrrev_i32_e32 v38, 31, v38
	v_lshlrev_b32_e32 v37, 25, v24
	v_ashrrev_i32_e32 v2, 31, v2
	v_lshlrev_b32_e32 v25, 24, v24
	v_xor_b32_e32 v1, s16, v1
	v_cmp_gt_i32_e64 s16, 0, v6
	v_not_b32_e32 v6, v7
	v_xor_b32_e32 v38, s17, v38
	v_cmp_gt_i32_e64 s17, 0, v7
	v_and_b32_e32 v1, exec_lo, v1
	v_not_b32_e32 v7, v27
	v_ashrrev_i32_e32 v6, 31, v6
	v_xor_b32_e32 v2, s16, v2
	v_cmp_gt_i32_e64 s16, 0, v27
	v_and_b32_e32 v1, v1, v38
	v_not_b32_e32 v27, v33
	v_ashrrev_i32_e32 v7, 31, v7
	v_xor_b32_e32 v6, s17, v6
	v_cmp_gt_i32_e64 s17, 0, v33
	v_and_b32_e32 v1, v1, v2
	;; [unrolled: 5-line block ×4, first 2 shown]
	v_ashrrev_i32_e32 v6, 31, v6
	v_xor_b32_e32 v2, s16, v2
	ds_bpermute_b32 v38, v16, v4
	ds_bpermute_b32 v25, v16, v0
	v_and_b32_e32 v1, v1, v27
	v_xor_b32_e32 v3, s17, v6
	ds_bpermute_b32 v27, v16, v5
	v_and_b32_e32 v1, v1, v2
	s_delay_alu instid0(VALU_DEP_1) | instskip(SKIP_1) | instid1(VALU_DEP_2)
	v_and_b32_e32 v0, v1, v3
	v_and_b32_e32 v1, 0xff, v24
	v_mbcnt_lo_u32_b32 v33, v0, 0
	s_delay_alu instid0(VALU_DEP_2) | instskip(SKIP_1) | instid1(VALU_DEP_3)
	v_mad_u32_u24 v1, v1, 6, v22
	v_cmp_ne_u32_e64 s17, 0, v0
	v_cmp_eq_u32_e64 s16, 0, v33
	s_delay_alu instid0(VALU_DEP_3) | instskip(NEXT) | instid1(VALU_DEP_2)
	v_lshl_add_u32 v37, v1, 2, 24
	s_and_b32 s17, s17, s16
	s_delay_alu instid0(SALU_CYCLE_1)
	s_and_saveexec_b32 s16, s17
	s_cbranch_execz .LBB69_4
; %bb.3:                                ;   in Loop: Header=BB69_2 Depth=1
	v_bcnt_u32_b32 v0, v0, 0
	ds_store_b32 v37, v0
.LBB69_4:                               ;   in Loop: Header=BB69_2 Depth=1
	s_or_b32 exec_lo, exec_lo, s16
	v_bfe_u32 v0, v24, 8, 1
	v_lshrrev_b32_e32 v39, 8, v24
	; wave barrier
	s_delay_alu instid0(VALU_DEP_2) | instskip(NEXT) | instid1(VALU_DEP_1)
	v_add_co_u32 v0, s16, v0, -1
	v_cndmask_b32_e64 v1, 0, 1, s16
	s_delay_alu instid0(VALU_DEP_3)
	v_lshlrev_b32_e32 v2, 30, v39
	v_lshlrev_b32_e32 v3, 29, v39
	;; [unrolled: 1-line block ×4, first 2 shown]
	v_cmp_ne_u32_e64 s16, 0, v1
	v_not_b32_e32 v1, v2
	v_cmp_gt_i32_e64 s17, 0, v2
	v_not_b32_e32 v2, v3
	v_lshlrev_b32_e32 v6, 26, v39
	v_xor_b32_e32 v0, s16, v0
	v_ashrrev_i32_e32 v1, 31, v1
	v_cmp_gt_i32_e64 s16, 0, v3
	v_not_b32_e32 v3, v4
	v_ashrrev_i32_e32 v2, 31, v2
	v_and_b32_e32 v0, exec_lo, v0
	v_xor_b32_e32 v1, s17, v1
	v_cmp_gt_i32_e64 s17, 0, v4
	v_not_b32_e32 v4, v5
	v_ashrrev_i32_e32 v3, 31, v3
	v_xor_b32_e32 v2, s16, v2
	v_and_b32_e32 v0, v0, v1
	v_cmp_gt_i32_e64 s16, 0, v5
	v_not_b32_e32 v1, v6
	v_ashrrev_i32_e32 v4, 31, v4
	v_xor_b32_e32 v3, s17, v3
	v_and_b32_e32 v0, v0, v2
	v_lshlrev_b32_e32 v2, 25, v39
	v_cmp_gt_i32_e64 s17, 0, v6
	v_ashrrev_i32_e32 v1, 31, v1
	v_xor_b32_e32 v4, s16, v4
	v_and_b32_e32 v0, v0, v3
	v_not_b32_e32 v5, v2
	v_lshlrev_b32_e32 v6, 24, v39
	v_bfe_u32 v3, v24, 8, 8
	v_xor_b32_e32 v1, s17, v1
	v_and_b32_e32 v0, v0, v4
	v_cmp_gt_i32_e64 s16, 0, v2
	v_ashrrev_i32_e32 v2, 31, v5
	v_not_b32_e32 v4, v6
	v_mul_u32_u24_e32 v3, 6, v3
	v_and_b32_e32 v0, v0, v1
	s_delay_alu instid0(VALU_DEP_4) | instskip(SKIP_3) | instid1(VALU_DEP_4)
	v_xor_b32_e32 v1, s16, v2
	v_cmp_gt_i32_e64 s16, 0, v6
	v_ashrrev_i32_e32 v2, 31, v4
	v_add_lshl_u32 v3, v22, v3, 2
	v_and_b32_e32 v0, v0, v1
	s_delay_alu instid0(VALU_DEP_3) | instskip(SKIP_3) | instid1(VALU_DEP_1)
	v_xor_b32_e32 v1, s16, v2
	ds_load_b32 v44, v3 offset:24
	v_add_nc_u32_e32 v46, 24, v3
	; wave barrier
	v_and_b32_e32 v0, v0, v1
	v_mbcnt_lo_u32_b32 v45, v0, 0
	v_cmp_ne_u32_e64 s17, 0, v0
	s_delay_alu instid0(VALU_DEP_2) | instskip(NEXT) | instid1(VALU_DEP_1)
	v_cmp_eq_u32_e64 s16, 0, v45
	s_and_b32 s17, s17, s16
	s_delay_alu instid0(SALU_CYCLE_1)
	s_and_saveexec_b32 s16, s17
	s_cbranch_execz .LBB69_6
; %bb.5:                                ;   in Loop: Header=BB69_2 Depth=1
	s_waitcnt lgkmcnt(0)
	v_bcnt_u32_b32 v0, v0, v44
	ds_store_b32 v46, v0
.LBB69_6:                               ;   in Loop: Header=BB69_2 Depth=1
	s_or_b32 exec_lo, exec_lo, s16
	v_bfe_u32 v0, v24, 16, 1
	v_lshrrev_b32_e32 v47, 16, v24
	; wave barrier
	s_delay_alu instid0(VALU_DEP_2) | instskip(NEXT) | instid1(VALU_DEP_1)
	v_add_co_u32 v0, s16, v0, -1
	v_cndmask_b32_e64 v1, 0, 1, s16
	s_delay_alu instid0(VALU_DEP_3)
	v_lshlrev_b32_e32 v2, 30, v47
	v_lshlrev_b32_e32 v3, 29, v47
	;; [unrolled: 1-line block ×4, first 2 shown]
	v_cmp_ne_u32_e64 s16, 0, v1
	v_not_b32_e32 v1, v2
	v_cmp_gt_i32_e64 s17, 0, v2
	v_not_b32_e32 v2, v3
	v_lshlrev_b32_e32 v6, 26, v47
	v_xor_b32_e32 v0, s16, v0
	v_ashrrev_i32_e32 v1, 31, v1
	v_cmp_gt_i32_e64 s16, 0, v3
	v_not_b32_e32 v3, v4
	v_ashrrev_i32_e32 v2, 31, v2
	v_and_b32_e32 v0, exec_lo, v0
	v_xor_b32_e32 v1, s17, v1
	v_cmp_gt_i32_e64 s17, 0, v4
	v_not_b32_e32 v4, v5
	v_ashrrev_i32_e32 v3, 31, v3
	v_xor_b32_e32 v2, s16, v2
	v_and_b32_e32 v0, v0, v1
	v_cmp_gt_i32_e64 s16, 0, v5
	v_not_b32_e32 v1, v6
	v_ashrrev_i32_e32 v4, 31, v4
	v_xor_b32_e32 v3, s17, v3
	v_and_b32_e32 v0, v0, v2
	v_lshlrev_b32_e32 v2, 25, v47
	v_cmp_gt_i32_e64 s17, 0, v6
	v_ashrrev_i32_e32 v1, 31, v1
	v_xor_b32_e32 v4, s16, v4
	v_and_b32_e32 v0, v0, v3
	v_not_b32_e32 v5, v2
	v_lshlrev_b32_e32 v6, 24, v47
	v_bfe_u32 v3, v24, 16, 8
	v_xor_b32_e32 v1, s17, v1
	v_and_b32_e32 v0, v0, v4
	v_cmp_gt_i32_e64 s16, 0, v2
	v_ashrrev_i32_e32 v2, 31, v5
	v_not_b32_e32 v4, v6
	v_mul_u32_u24_e32 v3, 6, v3
	v_and_b32_e32 v0, v0, v1
	s_delay_alu instid0(VALU_DEP_4) | instskip(SKIP_3) | instid1(VALU_DEP_4)
	v_xor_b32_e32 v1, s16, v2
	v_cmp_gt_i32_e64 s16, 0, v6
	v_ashrrev_i32_e32 v2, 31, v4
	v_add_lshl_u32 v3, v22, v3, 2
	v_and_b32_e32 v0, v0, v1
	s_delay_alu instid0(VALU_DEP_3) | instskip(SKIP_3) | instid1(VALU_DEP_1)
	v_xor_b32_e32 v1, s16, v2
	ds_load_b32 v48, v3 offset:24
	v_add_nc_u32_e32 v50, 24, v3
	; wave barrier
	v_and_b32_e32 v0, v0, v1
	v_mbcnt_lo_u32_b32 v49, v0, 0
	v_cmp_ne_u32_e64 s17, 0, v0
	s_delay_alu instid0(VALU_DEP_2) | instskip(NEXT) | instid1(VALU_DEP_1)
	v_cmp_eq_u32_e64 s16, 0, v49
	s_and_b32 s17, s17, s16
	s_delay_alu instid0(SALU_CYCLE_1)
	s_and_saveexec_b32 s16, s17
	s_cbranch_execz .LBB69_8
; %bb.7:                                ;   in Loop: Header=BB69_2 Depth=1
	s_waitcnt lgkmcnt(0)
	v_bcnt_u32_b32 v0, v0, v48
	ds_store_b32 v50, v0
.LBB69_8:                               ;   in Loop: Header=BB69_2 Depth=1
	s_or_b32 exec_lo, exec_lo, s16
	v_bfe_u32 v0, v24, 24, 1
	v_lshrrev_b32_e32 v51, 24, v24
	; wave barrier
	s_delay_alu instid0(VALU_DEP_2) | instskip(NEXT) | instid1(VALU_DEP_1)
	v_add_co_u32 v0, s16, v0, -1
	v_cndmask_b32_e64 v1, 0, 1, s16
	s_delay_alu instid0(VALU_DEP_3)
	v_lshlrev_b32_e32 v2, 30, v51
	v_lshlrev_b32_e32 v3, 29, v51
	;; [unrolled: 1-line block ×4, first 2 shown]
	v_cmp_ne_u32_e64 s16, 0, v1
	v_not_b32_e32 v1, v2
	v_cmp_gt_i32_e64 s17, 0, v2
	v_not_b32_e32 v2, v3
	v_lshlrev_b32_e32 v6, 26, v51
	v_xor_b32_e32 v0, s16, v0
	v_ashrrev_i32_e32 v1, 31, v1
	v_cmp_gt_i32_e64 s16, 0, v3
	v_not_b32_e32 v3, v4
	v_ashrrev_i32_e32 v2, 31, v2
	v_and_b32_e32 v0, exec_lo, v0
	v_xor_b32_e32 v1, s17, v1
	v_cmp_gt_i32_e64 s17, 0, v4
	v_not_b32_e32 v4, v5
	v_ashrrev_i32_e32 v3, 31, v3
	v_xor_b32_e32 v2, s16, v2
	v_and_b32_e32 v0, v0, v1
	v_lshlrev_b32_e32 v1, 25, v51
	v_cmp_gt_i32_e64 s16, 0, v5
	v_ashrrev_i32_e32 v4, 31, v4
	v_xor_b32_e32 v3, s17, v3
	v_and_b32_e32 v0, v0, v2
	v_not_b32_e32 v5, v6
	v_not_b32_e32 v7, v1
	v_xor_b32_e32 v4, s16, v4
	v_cmp_gt_i32_e64 s16, 0, v6
	v_and_b32_e32 v0, v0, v3
	v_ashrrev_i32_e32 v3, 31, v5
	v_and_b32_e32 v2, 0xff000000, v24
	v_cmp_gt_i32_e64 s17, 0, v1
	v_ashrrev_i32_e32 v1, 31, v7
	v_and_b32_e32 v0, v0, v4
	v_not_b32_e32 v4, v24
	v_xor_b32_e32 v3, s16, v3
	v_mul_u32_u24_e32 v5, 6, v51
	v_xor_b32_e32 v1, s17, v1
	v_cmp_gt_i32_e64 s16, 0, v2
	v_ashrrev_i32_e32 v2, 31, v4
	v_and_b32_e32 v0, v0, v3
	v_add_lshl_u32 v3, v22, v5, 2
	s_delay_alu instid0(VALU_DEP_3) | instskip(NEXT) | instid1(VALU_DEP_3)
	v_xor_b32_e32 v2, s16, v2
	v_and_b32_e32 v0, v0, v1
	ds_load_b32 v52, v3 offset:24
	v_add_nc_u32_e32 v54, 24, v3
	; wave barrier
	v_and_b32_e32 v0, v0, v2
	s_delay_alu instid0(VALU_DEP_1) | instskip(SKIP_1) | instid1(VALU_DEP_2)
	v_mbcnt_lo_u32_b32 v53, v0, 0
	v_cmp_ne_u32_e64 s17, 0, v0
	v_cmp_eq_u32_e64 s16, 0, v53
	s_delay_alu instid0(VALU_DEP_1) | instskip(NEXT) | instid1(SALU_CYCLE_1)
	s_and_b32 s17, s17, s16
	s_and_saveexec_b32 s16, s17
	s_cbranch_execz .LBB69_10
; %bb.9:                                ;   in Loop: Header=BB69_2 Depth=1
	s_waitcnt lgkmcnt(0)
	v_bcnt_u32_b32 v0, v0, v52
	ds_store_b32 v54, v0
.LBB69_10:                              ;   in Loop: Header=BB69_2 Depth=1
	s_or_b32 exec_lo, exec_lo, s16
	; wave barrier
	s_waitcnt lgkmcnt(0)
	s_barrier
	buffer_gl0_inv
	ds_load_2addr_b64 v[4:7], v17 offset0:3 offset1:4
	ds_load_2addr_b64 v[0:3], v18 offset0:2 offset1:3
	s_waitcnt lgkmcnt(1)
	v_add_nc_u32_e32 v55, v5, v4
	s_delay_alu instid0(VALU_DEP_1) | instskip(SKIP_1) | instid1(VALU_DEP_1)
	v_add3_u32 v55, v55, v6, v7
	s_waitcnt lgkmcnt(0)
	v_add3_u32 v55, v55, v0, v1
	s_delay_alu instid0(VALU_DEP_1) | instskip(NEXT) | instid1(VALU_DEP_1)
	v_add3_u32 v3, v55, v2, v3
	v_mov_b32_dpp v55, v3 row_shr:1 row_mask:0xf bank_mask:0xf
	s_delay_alu instid0(VALU_DEP_1) | instskip(NEXT) | instid1(VALU_DEP_1)
	v_cndmask_b32_e64 v55, v55, 0, s4
	v_add_nc_u32_e32 v3, v55, v3
	s_delay_alu instid0(VALU_DEP_1) | instskip(NEXT) | instid1(VALU_DEP_1)
	v_mov_b32_dpp v55, v3 row_shr:2 row_mask:0xf bank_mask:0xf
	v_cndmask_b32_e64 v55, 0, v55, s5
	s_delay_alu instid0(VALU_DEP_1) | instskip(NEXT) | instid1(VALU_DEP_1)
	v_add_nc_u32_e32 v3, v3, v55
	v_mov_b32_dpp v55, v3 row_shr:4 row_mask:0xf bank_mask:0xf
	s_delay_alu instid0(VALU_DEP_1) | instskip(NEXT) | instid1(VALU_DEP_1)
	v_cndmask_b32_e64 v55, 0, v55, s6
	v_add_nc_u32_e32 v3, v3, v55
	s_delay_alu instid0(VALU_DEP_1) | instskip(NEXT) | instid1(VALU_DEP_1)
	v_mov_b32_dpp v55, v3 row_shr:8 row_mask:0xf bank_mask:0xf
	v_cndmask_b32_e64 v55, 0, v55, s7
	s_delay_alu instid0(VALU_DEP_1) | instskip(SKIP_3) | instid1(VALU_DEP_1)
	v_add_nc_u32_e32 v3, v3, v55
	ds_swizzle_b32 v55, v3 offset:swizzle(BROADCAST,32,15)
	s_waitcnt lgkmcnt(0)
	v_cndmask_b32_e64 v55, v55, 0, s8
	v_add_nc_u32_e32 v3, v3, v55
	s_and_saveexec_b32 s16, s15
	s_cbranch_execz .LBB69_12
; %bb.11:                               ;   in Loop: Header=BB69_2 Depth=1
	ds_store_b32 v20, v3
.LBB69_12:                              ;   in Loop: Header=BB69_2 Depth=1
	s_or_b32 exec_lo, exec_lo, s16
	s_waitcnt lgkmcnt(0)
	s_barrier
	buffer_gl0_inv
	s_and_saveexec_b32 s16, s9
	s_cbranch_execz .LBB69_14
; %bb.13:                               ;   in Loop: Header=BB69_2 Depth=1
	ds_load_b32 v55, v23
	s_waitcnt lgkmcnt(0)
	v_mov_b32_dpp v56, v55 row_shr:1 row_mask:0xf bank_mask:0xf
	s_delay_alu instid0(VALU_DEP_1) | instskip(NEXT) | instid1(VALU_DEP_1)
	v_cndmask_b32_e64 v56, v56, 0, s12
	v_add_nc_u32_e32 v55, v56, v55
	s_delay_alu instid0(VALU_DEP_1) | instskip(NEXT) | instid1(VALU_DEP_1)
	v_mov_b32_dpp v56, v55 row_shr:2 row_mask:0xf bank_mask:0xf
	v_cndmask_b32_e64 v56, 0, v56, s13
	s_delay_alu instid0(VALU_DEP_1) | instskip(NEXT) | instid1(VALU_DEP_1)
	v_add_nc_u32_e32 v55, v55, v56
	v_mov_b32_dpp v56, v55 row_shr:4 row_mask:0xf bank_mask:0xf
	s_delay_alu instid0(VALU_DEP_1) | instskip(NEXT) | instid1(VALU_DEP_1)
	v_cndmask_b32_e64 v56, 0, v56, s14
	v_add_nc_u32_e32 v55, v55, v56
	ds_store_b32 v23, v55
.LBB69_14:                              ;   in Loop: Header=BB69_2 Depth=1
	s_or_b32 exec_lo, exec_lo, s16
	v_mov_b32_e32 v55, 0
	s_waitcnt lgkmcnt(0)
	s_barrier
	buffer_gl0_inv
	s_and_saveexec_b32 s16, s10
	s_cbranch_execz .LBB69_1
; %bb.15:                               ;   in Loop: Header=BB69_2 Depth=1
	ds_load_b32 v55, v21
	s_branch .LBB69_1
.LBB69_16:
	s_waitcnt lgkmcnt(0)
	v_lshrrev_b32_e32 v7, 8, v0
	s_add_u32 s0, s18, s20
	v_lshrrev_b32_e32 v6, 16, v0
	v_lshrrev_b32_e32 v9, 24, v0
	s_addc_u32 s1, s19, 0
	v_add_co_u32 v4, s0, s0, v8
	v_add_nc_u16 v0, v5, v0
	v_add_co_ci_u32_e64 v5, null, s1, 0, s0
	v_add_nc_u16 v1, v1, v7
	v_add_nc_u16 v3, v3, v6
	;; [unrolled: 1-line block ×3, first 2 shown]
	s_clause 0x3
	global_store_b8 v[4:5], v0, off
	global_store_b8 v[4:5], v1, off offset:192
	global_store_b8 v[4:5], v3, off offset:384
	;; [unrolled: 1-line block ×3, first 2 shown]
	s_nop 0
	s_sendmsg sendmsg(MSG_DEALLOC_VGPRS)
	s_endpgm
	.section	.rodata,"a",@progbits
	.p2align	6, 0x0
	.amdhsa_kernel _Z17sort_pairs_kernelI22helper_blocked_blockedaLj192ELj4ELj10EEvPKT0_PS1_
		.amdhsa_group_segment_fixed_size 6176
		.amdhsa_private_segment_fixed_size 0
		.amdhsa_kernarg_size 272
		.amdhsa_user_sgpr_count 15
		.amdhsa_user_sgpr_dispatch_ptr 0
		.amdhsa_user_sgpr_queue_ptr 0
		.amdhsa_user_sgpr_kernarg_segment_ptr 1
		.amdhsa_user_sgpr_dispatch_id 0
		.amdhsa_user_sgpr_private_segment_size 0
		.amdhsa_wavefront_size32 1
		.amdhsa_uses_dynamic_stack 0
		.amdhsa_enable_private_segment 0
		.amdhsa_system_sgpr_workgroup_id_x 1
		.amdhsa_system_sgpr_workgroup_id_y 0
		.amdhsa_system_sgpr_workgroup_id_z 0
		.amdhsa_system_sgpr_workgroup_info 0
		.amdhsa_system_vgpr_workitem_id 2
		.amdhsa_next_free_vgpr 57
		.amdhsa_next_free_sgpr 22
		.amdhsa_reserve_vcc 1
		.amdhsa_float_round_mode_32 0
		.amdhsa_float_round_mode_16_64 0
		.amdhsa_float_denorm_mode_32 3
		.amdhsa_float_denorm_mode_16_64 3
		.amdhsa_dx10_clamp 1
		.amdhsa_ieee_mode 1
		.amdhsa_fp16_overflow 0
		.amdhsa_workgroup_processor_mode 1
		.amdhsa_memory_ordered 1
		.amdhsa_forward_progress 0
		.amdhsa_shared_vgpr_count 0
		.amdhsa_exception_fp_ieee_invalid_op 0
		.amdhsa_exception_fp_denorm_src 0
		.amdhsa_exception_fp_ieee_div_zero 0
		.amdhsa_exception_fp_ieee_overflow 0
		.amdhsa_exception_fp_ieee_underflow 0
		.amdhsa_exception_fp_ieee_inexact 0
		.amdhsa_exception_int_div_zero 0
	.end_amdhsa_kernel
	.section	.text._Z17sort_pairs_kernelI22helper_blocked_blockedaLj192ELj4ELj10EEvPKT0_PS1_,"axG",@progbits,_Z17sort_pairs_kernelI22helper_blocked_blockedaLj192ELj4ELj10EEvPKT0_PS1_,comdat
.Lfunc_end69:
	.size	_Z17sort_pairs_kernelI22helper_blocked_blockedaLj192ELj4ELj10EEvPKT0_PS1_, .Lfunc_end69-_Z17sort_pairs_kernelI22helper_blocked_blockedaLj192ELj4ELj10EEvPKT0_PS1_
                                        ; -- End function
	.section	.AMDGPU.csdata,"",@progbits
; Kernel info:
; codeLenInByte = 4776
; NumSgprs: 24
; NumVgprs: 57
; ScratchSize: 0
; MemoryBound: 0
; FloatMode: 240
; IeeeMode: 1
; LDSByteSize: 6176 bytes/workgroup (compile time only)
; SGPRBlocks: 2
; VGPRBlocks: 7
; NumSGPRsForWavesPerEU: 24
; NumVGPRsForWavesPerEU: 57
; Occupancy: 15
; WaveLimiterHint : 1
; COMPUTE_PGM_RSRC2:SCRATCH_EN: 0
; COMPUTE_PGM_RSRC2:USER_SGPR: 15
; COMPUTE_PGM_RSRC2:TRAP_HANDLER: 0
; COMPUTE_PGM_RSRC2:TGID_X_EN: 1
; COMPUTE_PGM_RSRC2:TGID_Y_EN: 0
; COMPUTE_PGM_RSRC2:TGID_Z_EN: 0
; COMPUTE_PGM_RSRC2:TIDIG_COMP_CNT: 2
	.section	.text._Z16sort_keys_kernelI22helper_blocked_blockedaLj192ELj8ELj10EEvPKT0_PS1_,"axG",@progbits,_Z16sort_keys_kernelI22helper_blocked_blockedaLj192ELj8ELj10EEvPKT0_PS1_,comdat
	.protected	_Z16sort_keys_kernelI22helper_blocked_blockedaLj192ELj8ELj10EEvPKT0_PS1_ ; -- Begin function _Z16sort_keys_kernelI22helper_blocked_blockedaLj192ELj8ELj10EEvPKT0_PS1_
	.globl	_Z16sort_keys_kernelI22helper_blocked_blockedaLj192ELj8ELj10EEvPKT0_PS1_
	.p2align	8
	.type	_Z16sort_keys_kernelI22helper_blocked_blockedaLj192ELj8ELj10EEvPKT0_PS1_,@function
_Z16sort_keys_kernelI22helper_blocked_blockedaLj192ELj8ELj10EEvPKT0_PS1_: ; @_Z16sort_keys_kernelI22helper_blocked_blockedaLj192ELj8ELj10EEvPKT0_PS1_
; %bb.0:
	s_clause 0x1
	s_load_b128 s[16:19], s[0:1], 0x0
	s_load_b32 s11, s[0:1], 0x1c
	s_mul_i32 s14, s15, 0x600
	v_and_b32_e32 v8, 0x3ff, v0
	v_mbcnt_lo_u32_b32 v14, -1, 0
	v_bfe_u32 v21, v0, 10, 10
	v_bfe_u32 v0, v0, 20, 10
	s_mov_b32 s15, 10
	s_delay_alu instid0(VALU_DEP_3)
	v_and_b32_e32 v18, 7, v14
	v_add_nc_u32_e32 v17, -1, v14
	v_and_b32_e32 v16, 16, v14
	v_cmp_eq_u32_e32 vcc_lo, 0, v14
	v_and_b32_e32 v15, 15, v14
	v_cmp_eq_u32_e64 s8, 0, v18
	v_cmp_lt_u32_e64 s9, 1, v18
	v_cmp_lt_u32_e64 s10, 3, v18
	v_cmp_gt_i32_e64 s7, 0, v17
	v_cmp_eq_u32_e64 s4, 0, v16
	s_waitcnt lgkmcnt(0)
	s_add_u32 s0, s16, s14
	s_addc_u32 s1, s17, 0
	s_clause 0x7
	global_load_u8 v1, v8, s[0:1] offset:192
	global_load_u8 v2, v8, s[0:1] offset:576
	;; [unrolled: 1-line block ×4, first 2 shown]
	global_load_u8 v5, v8, s[0:1]
	global_load_u8 v6, v8, s[0:1] offset:384
	global_load_u8 v7, v8, s[0:1] offset:768
	;; [unrolled: 1-line block ×3, first 2 shown]
	s_mov_b32 s0, 0
	s_lshr_b32 s12, s11, 16
	s_mov_b32 s1, s0
	s_mov_b32 s2, s0
	;; [unrolled: 1-line block ×3, first 2 shown]
	v_dual_mov_b32 v10, s1 :: v_dual_mov_b32 v9, s0
	v_lshrrev_b32_e32 v23, 3, v8
	v_mad_u32_u24 v21, v0, s12, v21
	v_and_b32_e32 v22, 0xe0, v8
	s_and_b32 s11, s11, 0xffff
	v_lshlrev_b32_e32 v13, 5, v8
	v_and_b32_e32 v18, 28, v23
	v_lshlrev_b32_e32 v24, 2, v8
	v_or_b32_e32 v25, v14, v22
	v_min_u32_e32 v22, 0xa0, v22
	v_dual_mov_b32 v12, s3 :: v_dual_lshlrev_b32 v19, 3, v8
	v_cndmask_b32_e64 v16, v17, v14, s7
	v_mad_i32_i24 v17, 0xffffffe8, v8, v13
	v_sub_nc_u32_e32 v26, 0, v24
	v_mov_b32_e32 v11, s2
	v_cmp_eq_u32_e64 s0, 0, v15
	v_cmp_lt_u32_e64 s1, 1, v15
	v_cmp_lt_u32_e64 s2, 3, v15
	;; [unrolled: 1-line block ×3, first 2 shown]
	v_cmp_gt_u32_e64 s5, 6, v8
	v_cmp_lt_u32_e64 s6, 31, v8
	v_cmp_eq_u32_e64 s7, 0, v8
	v_and_or_b32 v14, 0x700, v19, v14
	v_or_b32_e32 v15, 24, v13
	v_lshlrev_b32_e32 v16, 2, v16
	v_lshlrev_b32_e32 v19, 3, v25
	s_waitcnt vmcnt(7)
	v_lshlrev_b16 v23, 8, v1
	s_waitcnt vmcnt(6)
	v_lshlrev_b16 v2, 8, v2
	;; [unrolled: 2-line block ×4, first 2 shown]
	v_mad_u64_u32 v[0:1], null, v21, s11, v[8:9]
	s_waitcnt vmcnt(3)
	v_or_b32_e32 v1, v5, v23
	s_waitcnt vmcnt(2)
	v_or_b32_e32 v2, v6, v2
	;; [unrolled: 2-line block ×4, first 2 shown]
	v_or_b32_e32 v5, 31, v22
	v_and_b32_e32 v1, 0xffff, v1
	v_lshlrev_b32_e32 v2, 16, v2
	v_and_b32_e32 v3, 0xffff, v3
	v_lshlrev_b32_e32 v4, 16, v4
	v_add_nc_u32_e32 v20, -4, v18
	v_cmp_eq_u32_e64 s11, v5, v8
	v_lshrrev_b32_e32 v21, 5, v0
	v_or_b32_e32 v23, v1, v2
	v_or_b32_e32 v24, v3, v4
	v_add_nc_u32_e32 v22, v17, v26
	s_branch .LBB70_2
.LBB70_1:                               ;   in Loop: Header=BB70_2 Depth=1
	s_or_b32 exec_lo, exec_lo, s12
	s_waitcnt lgkmcnt(0)
	v_add_nc_u32_e32 v3, v54, v3
	s_add_i32 s15, s15, -1
	s_delay_alu instid0(SALU_CYCLE_1) | instskip(SKIP_3) | instid1(VALU_DEP_1)
	s_cmp_eq_u32 s15, 0
	ds_bpermute_b32 v3, v16, v3
	s_waitcnt lgkmcnt(0)
	v_cndmask_b32_e32 v3, v3, v54, vcc_lo
	v_cndmask_b32_e64 v3, v3, 0, s7
	s_delay_alu instid0(VALU_DEP_1) | instskip(NEXT) | instid1(VALU_DEP_1)
	v_add_nc_u32_e32 v4, v3, v4
	v_add_nc_u32_e32 v5, v4, v5
	s_delay_alu instid0(VALU_DEP_1) | instskip(NEXT) | instid1(VALU_DEP_1)
	v_add_nc_u32_e32 v6, v5, v6
	v_add_nc_u32_e32 v54, v6, v7
	s_delay_alu instid0(VALU_DEP_1) | instskip(NEXT) | instid1(VALU_DEP_1)
	v_add_nc_u32_e32 v55, v54, v0
	v_add_nc_u32_e32 v0, v55, v1
	s_delay_alu instid0(VALU_DEP_1)
	v_add_nc_u32_e32 v1, v0, v2
	ds_store_2addr_b64 v13, v[3:4], v[5:6] offset0:3 offset1:4
	ds_store_2addr_b64 v15, v[54:55], v[0:1] offset0:2 offset1:3
	s_waitcnt lgkmcnt(0)
	s_barrier
	buffer_gl0_inv
	ds_load_b32 v0, v32
	ds_load_b32 v1, v35
	ds_load_b32 v2, v38
	ds_load_b32 v3, v41
	ds_load_b32 v4, v44
	ds_load_b32 v5, v47
	ds_load_b32 v6, v50
	ds_load_b32 v7, v53
	s_waitcnt lgkmcnt(0)
	s_barrier
	buffer_gl0_inv
	v_add_nc_u32_e32 v0, v0, v31
	v_add3_u32 v1, v34, v33, v1
	v_add3_u32 v2, v37, v36, v2
	;; [unrolled: 1-line block ×7, first 2 shown]
	ds_store_b8 v0, v23
	ds_store_b8 v1, v24
	;; [unrolled: 1-line block ×8, first 2 shown]
	s_waitcnt lgkmcnt(0)
	s_barrier
	buffer_gl0_inv
	ds_load_b64 v[0:1], v17
	s_waitcnt lgkmcnt(0)
	v_lshrrev_b32_e32 v2, 8, v0
	v_lshrrev_b32_e32 v3, 16, v0
	;; [unrolled: 1-line block ×6, first 2 shown]
	v_xor_b32_e32 v0, 0xffffff80, v0
	v_xor_b32_e32 v1, 0xffffff80, v1
	;; [unrolled: 1-line block ×8, first 2 shown]
	v_and_b32_e32 v23, 0xff, v0
	v_and_b32_e32 v24, 0xff, v1
	v_lshlrev_b16 v25, 8, v5
	v_lshlrev_b16 v26, 8, v7
	v_and_b32_e32 v27, 0xff, v6
	v_lshlrev_b16 v28, 8, v2
	v_lshlrev_b16 v29, 8, v4
	v_and_b32_e32 v30, 0xff, v3
	v_or_b32_e32 v23, v23, v25
	v_or_b32_e32 v25, v27, v26
	;; [unrolled: 1-line block ×3, first 2 shown]
	s_delay_alu instid0(VALU_DEP_4) | instskip(NEXT) | instid1(VALU_DEP_4)
	v_or_b32_e32 v26, v30, v29
	v_and_b32_e32 v23, 0xffff, v23
	s_delay_alu instid0(VALU_DEP_4) | instskip(NEXT) | instid1(VALU_DEP_4)
	v_lshlrev_b32_e32 v25, 16, v25
	v_and_b32_e32 v24, 0xffff, v24
	s_delay_alu instid0(VALU_DEP_4) | instskip(NEXT) | instid1(VALU_DEP_3)
	v_lshlrev_b32_e32 v26, 16, v26
	v_or_b32_e32 v23, v23, v25
	s_delay_alu instid0(VALU_DEP_2)
	v_or_b32_e32 v24, v24, v26
	s_cbranch_scc1 .LBB70_24
.LBB70_2:                               ; =>This Inner Loop Header: Depth=1
	s_delay_alu instid0(VALU_DEP_1) | instskip(NEXT) | instid1(VALU_DEP_3)
	v_lshrrev_b32_e32 v0, 16, v24
	v_lshrrev_b32_e32 v1, 16, v23
	v_xor_b32_e32 v2, 0x80, v24
	v_xor_b32_e32 v6, 0x80, v23
	v_and_b32_e32 v3, 0xffffff00, v24
	v_xor_b32_e32 v5, 0x80, v0
	v_xor_b32_e32 v7, 0x80, v1
	v_and_b32_e32 v4, 0xffffff00, v23
	v_and_b32_e32 v2, 0xff, v2
	;; [unrolled: 1-line block ×7, first 2 shown]
	v_or_b32_e32 v2, v2, v3
	v_or_b32_e32 v0, v5, v0
	;; [unrolled: 1-line block ×3, first 2 shown]
	s_delay_alu instid0(VALU_DEP_4) | instskip(NEXT) | instid1(VALU_DEP_4)
	v_or_b32_e32 v1, v7, v1
	v_add_nc_u16 v2, v2, 0x8000
	s_delay_alu instid0(VALU_DEP_4) | instskip(NEXT) | instid1(VALU_DEP_4)
	v_add_nc_u16 v0, v0, 0x8000
	v_add_nc_u16 v3, v3, 0x8000
	s_delay_alu instid0(VALU_DEP_4) | instskip(NEXT) | instid1(VALU_DEP_4)
	v_add_nc_u16 v1, v1, 0x8000
	v_and_b32_e32 v2, 0xffff, v2
	s_delay_alu instid0(VALU_DEP_4) | instskip(NEXT) | instid1(VALU_DEP_4)
	v_lshlrev_b32_e32 v0, 16, v0
	v_and_b32_e32 v3, 0xffff, v3
	s_delay_alu instid0(VALU_DEP_4) | instskip(NEXT) | instid1(VALU_DEP_3)
	v_lshlrev_b32_e32 v4, 16, v1
	v_or_b32_e32 v1, v2, v0
	s_delay_alu instid0(VALU_DEP_2)
	v_or_b32_e32 v0, v3, v4
	ds_store_b64 v19, v[0:1]
	; wave barrier
	ds_load_u8 v23, v14
	ds_load_u8 v24, v14 offset:32
	ds_load_u8 v25, v14 offset:64
	;; [unrolled: 1-line block ×7, first 2 shown]
	; wave barrier
	; wave barrier
	s_waitcnt lgkmcnt(0)
	s_barrier
	buffer_gl0_inv
	ds_store_2addr_b64 v13, v[9:10], v[11:12] offset0:3 offset1:4
	ds_store_2addr_b64 v15, v[9:10], v[11:12] offset0:2 offset1:3
	s_waitcnt lgkmcnt(0)
	s_barrier
	buffer_gl0_inv
	v_and_b32_e32 v0, 1, v23
	v_lshlrev_b32_e32 v1, 30, v23
	v_lshlrev_b32_e32 v2, 29, v23
	;; [unrolled: 1-line block ×4, first 2 shown]
	v_add_co_u32 v0, s12, v0, -1
	s_delay_alu instid0(VALU_DEP_1)
	v_cndmask_b32_e64 v4, 0, 1, s12
	v_not_b32_e32 v31, v1
	v_cmp_gt_i32_e64 s13, 0, v1
	v_not_b32_e32 v1, v2
	v_lshlrev_b32_e32 v6, 26, v23
	v_cmp_ne_u32_e64 s12, 0, v4
	v_ashrrev_i32_e32 v31, 31, v31
	v_lshlrev_b32_e32 v7, 25, v23
	v_ashrrev_i32_e32 v1, 31, v1
	v_lshlrev_b32_e32 v4, 24, v23
	v_xor_b32_e32 v0, s12, v0
	v_cmp_gt_i32_e64 s12, 0, v2
	v_not_b32_e32 v2, v3
	v_xor_b32_e32 v31, s13, v31
	v_cmp_gt_i32_e64 s13, 0, v3
	v_and_b32_e32 v0, exec_lo, v0
	v_not_b32_e32 v3, v5
	v_ashrrev_i32_e32 v2, 31, v2
	v_xor_b32_e32 v1, s12, v1
	v_cmp_gt_i32_e64 s12, 0, v5
	v_and_b32_e32 v0, v0, v31
	v_not_b32_e32 v5, v6
	v_ashrrev_i32_e32 v3, 31, v3
	v_xor_b32_e32 v2, s13, v2
	v_cmp_gt_i32_e64 s13, 0, v6
	v_and_b32_e32 v0, v0, v1
	;; [unrolled: 5-line block ×4, first 2 shown]
	v_ashrrev_i32_e32 v2, 31, v2
	v_xor_b32_e32 v1, s12, v1
	; wave barrier
	s_delay_alu instid0(VALU_DEP_3) | instskip(NEXT) | instid1(VALU_DEP_3)
	v_and_b32_e32 v0, v0, v5
	v_xor_b32_e32 v2, s13, v2
	s_delay_alu instid0(VALU_DEP_2) | instskip(SKIP_1) | instid1(VALU_DEP_2)
	v_and_b32_e32 v0, v0, v1
	v_and_b32_e32 v1, 0xff, v23
	;; [unrolled: 1-line block ×3, first 2 shown]
	s_delay_alu instid0(VALU_DEP_2) | instskip(NEXT) | instid1(VALU_DEP_2)
	v_mad_u32_u24 v1, v1, 6, v21
	v_mbcnt_lo_u32_b32 v31, v0, 0
	v_cmp_ne_u32_e64 s13, 0, v0
	s_delay_alu instid0(VALU_DEP_3) | instskip(NEXT) | instid1(VALU_DEP_3)
	v_lshl_add_u32 v32, v1, 2, 24
	v_cmp_eq_u32_e64 s12, 0, v31
	s_delay_alu instid0(VALU_DEP_1) | instskip(NEXT) | instid1(SALU_CYCLE_1)
	s_and_b32 s13, s13, s12
	s_and_saveexec_b32 s12, s13
	s_cbranch_execz .LBB70_4
; %bb.3:                                ;   in Loop: Header=BB70_2 Depth=1
	v_bcnt_u32_b32 v0, v0, 0
	ds_store_b32 v32, v0
.LBB70_4:                               ;   in Loop: Header=BB70_2 Depth=1
	s_or_b32 exec_lo, exec_lo, s12
	v_and_b32_e32 v0, 1, v24
	v_lshlrev_b32_e32 v2, 30, v24
	v_lshlrev_b32_e32 v4, 29, v24
	;; [unrolled: 1-line block ×4, first 2 shown]
	v_add_co_u32 v0, s12, v0, -1
	s_delay_alu instid0(VALU_DEP_1)
	v_cndmask_b32_e64 v3, 0, 1, s12
	v_not_b32_e32 v7, v2
	v_cmp_gt_i32_e64 s13, 0, v2
	v_not_b32_e32 v2, v4
	v_and_b32_e32 v1, 0xff, v24
	v_cmp_ne_u32_e64 s12, 0, v3
	v_ashrrev_i32_e32 v7, 31, v7
	v_lshlrev_b32_e32 v3, 26, v24
	v_ashrrev_i32_e32 v2, 31, v2
	v_mul_u32_u24_e32 v1, 6, v1
	v_xor_b32_e32 v0, s12, v0
	v_cmp_gt_i32_e64 s12, 0, v4
	v_not_b32_e32 v4, v5
	v_xor_b32_e32 v7, s13, v7
	v_cmp_gt_i32_e64 s13, 0, v5
	v_and_b32_e32 v0, exec_lo, v0
	v_not_b32_e32 v5, v6
	v_ashrrev_i32_e32 v4, 31, v4
	v_xor_b32_e32 v2, s12, v2
	v_cmp_gt_i32_e64 s12, 0, v6
	v_and_b32_e32 v0, v0, v7
	v_lshlrev_b32_e32 v7, 25, v24
	v_ashrrev_i32_e32 v5, 31, v5
	v_xor_b32_e32 v4, s13, v4
	v_not_b32_e32 v6, v3
	v_and_b32_e32 v0, v0, v2
	v_lshlrev_b32_e32 v2, 24, v24
	v_not_b32_e32 v33, v7
	v_xor_b32_e32 v5, s12, v5
	v_cmp_gt_i32_e64 s12, 0, v3
	v_and_b32_e32 v0, v0, v4
	v_ashrrev_i32_e32 v3, 31, v6
	v_cmp_gt_i32_e64 s13, 0, v7
	v_ashrrev_i32_e32 v4, 31, v33
	v_add_lshl_u32 v1, v21, v1, 2
	v_and_b32_e32 v0, v0, v5
	v_not_b32_e32 v5, v2
	v_xor_b32_e32 v3, s12, v3
	v_xor_b32_e32 v4, s13, v4
	v_cmp_gt_i32_e64 s12, 0, v2
	s_delay_alu instid0(VALU_DEP_4) | instskip(NEXT) | instid1(VALU_DEP_4)
	v_ashrrev_i32_e32 v2, 31, v5
	v_and_b32_e32 v0, v0, v3
	; wave barrier
	ds_load_b32 v33, v1 offset:24
	v_add_nc_u32_e32 v35, 24, v1
	v_xor_b32_e32 v2, s12, v2
	v_and_b32_e32 v0, v0, v4
	; wave barrier
	s_delay_alu instid0(VALU_DEP_1) | instskip(NEXT) | instid1(VALU_DEP_1)
	v_and_b32_e32 v0, v0, v2
	v_mbcnt_lo_u32_b32 v34, v0, 0
	v_cmp_ne_u32_e64 s13, 0, v0
	s_delay_alu instid0(VALU_DEP_2) | instskip(NEXT) | instid1(VALU_DEP_1)
	v_cmp_eq_u32_e64 s12, 0, v34
	s_and_b32 s13, s13, s12
	s_delay_alu instid0(SALU_CYCLE_1)
	s_and_saveexec_b32 s12, s13
	s_cbranch_execz .LBB70_6
; %bb.5:                                ;   in Loop: Header=BB70_2 Depth=1
	s_waitcnt lgkmcnt(0)
	v_bcnt_u32_b32 v0, v0, v33
	ds_store_b32 v35, v0
.LBB70_6:                               ;   in Loop: Header=BB70_2 Depth=1
	s_or_b32 exec_lo, exec_lo, s12
	v_and_b32_e32 v0, 1, v25
	v_lshlrev_b32_e32 v2, 30, v25
	v_lshlrev_b32_e32 v4, 29, v25
	v_lshlrev_b32_e32 v5, 28, v25
	v_lshlrev_b32_e32 v6, 27, v25
	v_add_co_u32 v0, s12, v0, -1
	s_delay_alu instid0(VALU_DEP_1)
	v_cndmask_b32_e64 v3, 0, 1, s12
	v_not_b32_e32 v7, v2
	v_cmp_gt_i32_e64 s13, 0, v2
	v_not_b32_e32 v2, v4
	v_and_b32_e32 v1, 0xff, v25
	v_cmp_ne_u32_e64 s12, 0, v3
	v_ashrrev_i32_e32 v7, 31, v7
	v_lshlrev_b32_e32 v3, 26, v25
	v_ashrrev_i32_e32 v2, 31, v2
	v_mul_u32_u24_e32 v1, 6, v1
	v_xor_b32_e32 v0, s12, v0
	v_cmp_gt_i32_e64 s12, 0, v4
	v_not_b32_e32 v4, v5
	v_xor_b32_e32 v7, s13, v7
	v_cmp_gt_i32_e64 s13, 0, v5
	v_and_b32_e32 v0, exec_lo, v0
	v_not_b32_e32 v5, v6
	v_ashrrev_i32_e32 v4, 31, v4
	v_xor_b32_e32 v2, s12, v2
	v_cmp_gt_i32_e64 s12, 0, v6
	v_and_b32_e32 v0, v0, v7
	v_lshlrev_b32_e32 v7, 25, v25
	v_ashrrev_i32_e32 v5, 31, v5
	v_xor_b32_e32 v4, s13, v4
	v_not_b32_e32 v6, v3
	v_and_b32_e32 v0, v0, v2
	v_lshlrev_b32_e32 v2, 24, v25
	v_not_b32_e32 v36, v7
	v_xor_b32_e32 v5, s12, v5
	v_cmp_gt_i32_e64 s12, 0, v3
	v_and_b32_e32 v0, v0, v4
	v_ashrrev_i32_e32 v3, 31, v6
	v_cmp_gt_i32_e64 s13, 0, v7
	v_ashrrev_i32_e32 v4, 31, v36
	v_add_lshl_u32 v1, v21, v1, 2
	v_and_b32_e32 v0, v0, v5
	v_not_b32_e32 v5, v2
	v_xor_b32_e32 v3, s12, v3
	v_xor_b32_e32 v4, s13, v4
	v_cmp_gt_i32_e64 s12, 0, v2
	s_delay_alu instid0(VALU_DEP_4) | instskip(NEXT) | instid1(VALU_DEP_4)
	v_ashrrev_i32_e32 v2, 31, v5
	v_and_b32_e32 v0, v0, v3
	; wave barrier
	ds_load_b32 v36, v1 offset:24
	v_add_nc_u32_e32 v38, 24, v1
	v_xor_b32_e32 v2, s12, v2
	v_and_b32_e32 v0, v0, v4
	; wave barrier
	s_delay_alu instid0(VALU_DEP_1) | instskip(NEXT) | instid1(VALU_DEP_1)
	v_and_b32_e32 v0, v0, v2
	v_mbcnt_lo_u32_b32 v37, v0, 0
	v_cmp_ne_u32_e64 s13, 0, v0
	s_delay_alu instid0(VALU_DEP_2) | instskip(NEXT) | instid1(VALU_DEP_1)
	v_cmp_eq_u32_e64 s12, 0, v37
	s_and_b32 s13, s13, s12
	s_delay_alu instid0(SALU_CYCLE_1)
	s_and_saveexec_b32 s12, s13
	s_cbranch_execz .LBB70_8
; %bb.7:                                ;   in Loop: Header=BB70_2 Depth=1
	s_waitcnt lgkmcnt(0)
	v_bcnt_u32_b32 v0, v0, v36
	ds_store_b32 v38, v0
.LBB70_8:                               ;   in Loop: Header=BB70_2 Depth=1
	s_or_b32 exec_lo, exec_lo, s12
	v_and_b32_e32 v0, 1, v26
	v_lshlrev_b32_e32 v2, 30, v26
	v_lshlrev_b32_e32 v4, 29, v26
	;; [unrolled: 1-line block ×4, first 2 shown]
	v_add_co_u32 v0, s12, v0, -1
	s_delay_alu instid0(VALU_DEP_1)
	v_cndmask_b32_e64 v3, 0, 1, s12
	v_not_b32_e32 v7, v2
	v_cmp_gt_i32_e64 s13, 0, v2
	v_not_b32_e32 v2, v4
	v_and_b32_e32 v1, 0xff, v26
	v_cmp_ne_u32_e64 s12, 0, v3
	v_ashrrev_i32_e32 v7, 31, v7
	v_lshlrev_b32_e32 v3, 26, v26
	v_ashrrev_i32_e32 v2, 31, v2
	v_mul_u32_u24_e32 v1, 6, v1
	v_xor_b32_e32 v0, s12, v0
	v_cmp_gt_i32_e64 s12, 0, v4
	v_not_b32_e32 v4, v5
	v_xor_b32_e32 v7, s13, v7
	v_cmp_gt_i32_e64 s13, 0, v5
	v_and_b32_e32 v0, exec_lo, v0
	v_not_b32_e32 v5, v6
	v_ashrrev_i32_e32 v4, 31, v4
	v_xor_b32_e32 v2, s12, v2
	v_cmp_gt_i32_e64 s12, 0, v6
	v_and_b32_e32 v0, v0, v7
	v_lshlrev_b32_e32 v7, 25, v26
	v_ashrrev_i32_e32 v5, 31, v5
	v_xor_b32_e32 v4, s13, v4
	v_not_b32_e32 v6, v3
	v_and_b32_e32 v0, v0, v2
	v_lshlrev_b32_e32 v2, 24, v26
	v_not_b32_e32 v39, v7
	v_xor_b32_e32 v5, s12, v5
	v_cmp_gt_i32_e64 s12, 0, v3
	v_and_b32_e32 v0, v0, v4
	v_ashrrev_i32_e32 v3, 31, v6
	v_cmp_gt_i32_e64 s13, 0, v7
	v_ashrrev_i32_e32 v4, 31, v39
	v_add_lshl_u32 v1, v21, v1, 2
	v_and_b32_e32 v0, v0, v5
	v_not_b32_e32 v5, v2
	v_xor_b32_e32 v3, s12, v3
	v_xor_b32_e32 v4, s13, v4
	v_cmp_gt_i32_e64 s12, 0, v2
	s_delay_alu instid0(VALU_DEP_4) | instskip(NEXT) | instid1(VALU_DEP_4)
	v_ashrrev_i32_e32 v2, 31, v5
	v_and_b32_e32 v0, v0, v3
	; wave barrier
	ds_load_b32 v39, v1 offset:24
	v_add_nc_u32_e32 v41, 24, v1
	v_xor_b32_e32 v2, s12, v2
	v_and_b32_e32 v0, v0, v4
	; wave barrier
	s_delay_alu instid0(VALU_DEP_1) | instskip(NEXT) | instid1(VALU_DEP_1)
	v_and_b32_e32 v0, v0, v2
	v_mbcnt_lo_u32_b32 v40, v0, 0
	v_cmp_ne_u32_e64 s13, 0, v0
	s_delay_alu instid0(VALU_DEP_2) | instskip(NEXT) | instid1(VALU_DEP_1)
	v_cmp_eq_u32_e64 s12, 0, v40
	s_and_b32 s13, s13, s12
	s_delay_alu instid0(SALU_CYCLE_1)
	s_and_saveexec_b32 s12, s13
	s_cbranch_execz .LBB70_10
; %bb.9:                                ;   in Loop: Header=BB70_2 Depth=1
	s_waitcnt lgkmcnt(0)
	v_bcnt_u32_b32 v0, v0, v39
	ds_store_b32 v41, v0
.LBB70_10:                              ;   in Loop: Header=BB70_2 Depth=1
	s_or_b32 exec_lo, exec_lo, s12
	v_and_b32_e32 v0, 1, v27
	v_lshlrev_b32_e32 v2, 30, v27
	v_lshlrev_b32_e32 v4, 29, v27
	v_lshlrev_b32_e32 v5, 28, v27
	v_lshlrev_b32_e32 v6, 27, v27
	v_add_co_u32 v0, s12, v0, -1
	s_delay_alu instid0(VALU_DEP_1)
	v_cndmask_b32_e64 v3, 0, 1, s12
	v_not_b32_e32 v7, v2
	v_cmp_gt_i32_e64 s13, 0, v2
	v_not_b32_e32 v2, v4
	v_and_b32_e32 v1, 0xff, v27
	v_cmp_ne_u32_e64 s12, 0, v3
	v_ashrrev_i32_e32 v7, 31, v7
	v_lshlrev_b32_e32 v3, 26, v27
	v_ashrrev_i32_e32 v2, 31, v2
	v_mul_u32_u24_e32 v1, 6, v1
	v_xor_b32_e32 v0, s12, v0
	v_cmp_gt_i32_e64 s12, 0, v4
	v_not_b32_e32 v4, v5
	v_xor_b32_e32 v7, s13, v7
	v_cmp_gt_i32_e64 s13, 0, v5
	v_and_b32_e32 v0, exec_lo, v0
	v_not_b32_e32 v5, v6
	v_ashrrev_i32_e32 v4, 31, v4
	v_xor_b32_e32 v2, s12, v2
	v_cmp_gt_i32_e64 s12, 0, v6
	v_and_b32_e32 v0, v0, v7
	v_lshlrev_b32_e32 v7, 25, v27
	v_ashrrev_i32_e32 v5, 31, v5
	v_xor_b32_e32 v4, s13, v4
	v_not_b32_e32 v6, v3
	v_and_b32_e32 v0, v0, v2
	v_lshlrev_b32_e32 v2, 24, v27
	v_not_b32_e32 v42, v7
	v_xor_b32_e32 v5, s12, v5
	v_cmp_gt_i32_e64 s12, 0, v3
	v_and_b32_e32 v0, v0, v4
	v_ashrrev_i32_e32 v3, 31, v6
	v_cmp_gt_i32_e64 s13, 0, v7
	v_ashrrev_i32_e32 v4, 31, v42
	v_add_lshl_u32 v1, v21, v1, 2
	v_and_b32_e32 v0, v0, v5
	v_not_b32_e32 v5, v2
	v_xor_b32_e32 v3, s12, v3
	v_xor_b32_e32 v4, s13, v4
	v_cmp_gt_i32_e64 s12, 0, v2
	s_delay_alu instid0(VALU_DEP_4) | instskip(NEXT) | instid1(VALU_DEP_4)
	v_ashrrev_i32_e32 v2, 31, v5
	v_and_b32_e32 v0, v0, v3
	; wave barrier
	ds_load_b32 v42, v1 offset:24
	v_add_nc_u32_e32 v44, 24, v1
	v_xor_b32_e32 v2, s12, v2
	v_and_b32_e32 v0, v0, v4
	; wave barrier
	s_delay_alu instid0(VALU_DEP_1) | instskip(NEXT) | instid1(VALU_DEP_1)
	v_and_b32_e32 v0, v0, v2
	v_mbcnt_lo_u32_b32 v43, v0, 0
	v_cmp_ne_u32_e64 s13, 0, v0
	s_delay_alu instid0(VALU_DEP_2) | instskip(NEXT) | instid1(VALU_DEP_1)
	v_cmp_eq_u32_e64 s12, 0, v43
	s_and_b32 s13, s13, s12
	s_delay_alu instid0(SALU_CYCLE_1)
	s_and_saveexec_b32 s12, s13
	s_cbranch_execz .LBB70_12
; %bb.11:                               ;   in Loop: Header=BB70_2 Depth=1
	s_waitcnt lgkmcnt(0)
	v_bcnt_u32_b32 v0, v0, v42
	ds_store_b32 v44, v0
.LBB70_12:                              ;   in Loop: Header=BB70_2 Depth=1
	s_or_b32 exec_lo, exec_lo, s12
	v_and_b32_e32 v0, 1, v28
	v_lshlrev_b32_e32 v2, 30, v28
	v_lshlrev_b32_e32 v4, 29, v28
	;; [unrolled: 1-line block ×4, first 2 shown]
	v_add_co_u32 v0, s12, v0, -1
	s_delay_alu instid0(VALU_DEP_1)
	v_cndmask_b32_e64 v3, 0, 1, s12
	v_not_b32_e32 v7, v2
	v_cmp_gt_i32_e64 s13, 0, v2
	v_not_b32_e32 v2, v4
	v_and_b32_e32 v1, 0xff, v28
	v_cmp_ne_u32_e64 s12, 0, v3
	v_ashrrev_i32_e32 v7, 31, v7
	v_lshlrev_b32_e32 v3, 26, v28
	v_ashrrev_i32_e32 v2, 31, v2
	v_mul_u32_u24_e32 v1, 6, v1
	v_xor_b32_e32 v0, s12, v0
	v_cmp_gt_i32_e64 s12, 0, v4
	v_not_b32_e32 v4, v5
	v_xor_b32_e32 v7, s13, v7
	v_cmp_gt_i32_e64 s13, 0, v5
	v_and_b32_e32 v0, exec_lo, v0
	v_not_b32_e32 v5, v6
	v_ashrrev_i32_e32 v4, 31, v4
	v_xor_b32_e32 v2, s12, v2
	v_cmp_gt_i32_e64 s12, 0, v6
	v_and_b32_e32 v0, v0, v7
	v_lshlrev_b32_e32 v7, 25, v28
	v_ashrrev_i32_e32 v5, 31, v5
	v_xor_b32_e32 v4, s13, v4
	v_not_b32_e32 v6, v3
	v_and_b32_e32 v0, v0, v2
	v_lshlrev_b32_e32 v2, 24, v28
	v_not_b32_e32 v45, v7
	v_xor_b32_e32 v5, s12, v5
	v_cmp_gt_i32_e64 s12, 0, v3
	v_and_b32_e32 v0, v0, v4
	v_ashrrev_i32_e32 v3, 31, v6
	v_cmp_gt_i32_e64 s13, 0, v7
	v_ashrrev_i32_e32 v4, 31, v45
	v_add_lshl_u32 v1, v21, v1, 2
	v_and_b32_e32 v0, v0, v5
	v_not_b32_e32 v5, v2
	v_xor_b32_e32 v3, s12, v3
	v_xor_b32_e32 v4, s13, v4
	v_cmp_gt_i32_e64 s12, 0, v2
	s_delay_alu instid0(VALU_DEP_4) | instskip(NEXT) | instid1(VALU_DEP_4)
	v_ashrrev_i32_e32 v2, 31, v5
	v_and_b32_e32 v0, v0, v3
	; wave barrier
	ds_load_b32 v45, v1 offset:24
	v_add_nc_u32_e32 v47, 24, v1
	v_xor_b32_e32 v2, s12, v2
	v_and_b32_e32 v0, v0, v4
	; wave barrier
	s_delay_alu instid0(VALU_DEP_1) | instskip(NEXT) | instid1(VALU_DEP_1)
	v_and_b32_e32 v0, v0, v2
	v_mbcnt_lo_u32_b32 v46, v0, 0
	v_cmp_ne_u32_e64 s13, 0, v0
	s_delay_alu instid0(VALU_DEP_2) | instskip(NEXT) | instid1(VALU_DEP_1)
	v_cmp_eq_u32_e64 s12, 0, v46
	s_and_b32 s13, s13, s12
	s_delay_alu instid0(SALU_CYCLE_1)
	s_and_saveexec_b32 s12, s13
	s_cbranch_execz .LBB70_14
; %bb.13:                               ;   in Loop: Header=BB70_2 Depth=1
	s_waitcnt lgkmcnt(0)
	v_bcnt_u32_b32 v0, v0, v45
	ds_store_b32 v47, v0
.LBB70_14:                              ;   in Loop: Header=BB70_2 Depth=1
	s_or_b32 exec_lo, exec_lo, s12
	v_and_b32_e32 v0, 1, v29
	v_lshlrev_b32_e32 v2, 30, v29
	v_lshlrev_b32_e32 v4, 29, v29
	;; [unrolled: 1-line block ×4, first 2 shown]
	v_add_co_u32 v0, s12, v0, -1
	s_delay_alu instid0(VALU_DEP_1)
	v_cndmask_b32_e64 v3, 0, 1, s12
	v_not_b32_e32 v7, v2
	v_cmp_gt_i32_e64 s13, 0, v2
	v_not_b32_e32 v2, v4
	v_and_b32_e32 v1, 0xff, v29
	v_cmp_ne_u32_e64 s12, 0, v3
	v_ashrrev_i32_e32 v7, 31, v7
	v_lshlrev_b32_e32 v3, 26, v29
	v_ashrrev_i32_e32 v2, 31, v2
	v_mul_u32_u24_e32 v1, 6, v1
	v_xor_b32_e32 v0, s12, v0
	v_cmp_gt_i32_e64 s12, 0, v4
	v_not_b32_e32 v4, v5
	v_xor_b32_e32 v7, s13, v7
	v_cmp_gt_i32_e64 s13, 0, v5
	v_and_b32_e32 v0, exec_lo, v0
	v_not_b32_e32 v5, v6
	v_ashrrev_i32_e32 v4, 31, v4
	v_xor_b32_e32 v2, s12, v2
	v_cmp_gt_i32_e64 s12, 0, v6
	v_and_b32_e32 v0, v0, v7
	v_lshlrev_b32_e32 v7, 25, v29
	v_ashrrev_i32_e32 v5, 31, v5
	v_xor_b32_e32 v4, s13, v4
	v_not_b32_e32 v6, v3
	v_and_b32_e32 v0, v0, v2
	v_lshlrev_b32_e32 v2, 24, v29
	v_not_b32_e32 v48, v7
	v_xor_b32_e32 v5, s12, v5
	v_cmp_gt_i32_e64 s12, 0, v3
	v_and_b32_e32 v0, v0, v4
	v_ashrrev_i32_e32 v3, 31, v6
	v_cmp_gt_i32_e64 s13, 0, v7
	v_ashrrev_i32_e32 v4, 31, v48
	v_add_lshl_u32 v1, v21, v1, 2
	v_and_b32_e32 v0, v0, v5
	v_not_b32_e32 v5, v2
	v_xor_b32_e32 v3, s12, v3
	v_xor_b32_e32 v4, s13, v4
	v_cmp_gt_i32_e64 s12, 0, v2
	s_delay_alu instid0(VALU_DEP_4) | instskip(NEXT) | instid1(VALU_DEP_4)
	v_ashrrev_i32_e32 v2, 31, v5
	v_and_b32_e32 v0, v0, v3
	; wave barrier
	ds_load_b32 v48, v1 offset:24
	v_add_nc_u32_e32 v50, 24, v1
	v_xor_b32_e32 v2, s12, v2
	v_and_b32_e32 v0, v0, v4
	; wave barrier
	s_delay_alu instid0(VALU_DEP_1) | instskip(NEXT) | instid1(VALU_DEP_1)
	v_and_b32_e32 v0, v0, v2
	v_mbcnt_lo_u32_b32 v49, v0, 0
	v_cmp_ne_u32_e64 s13, 0, v0
	s_delay_alu instid0(VALU_DEP_2) | instskip(NEXT) | instid1(VALU_DEP_1)
	v_cmp_eq_u32_e64 s12, 0, v49
	s_and_b32 s13, s13, s12
	s_delay_alu instid0(SALU_CYCLE_1)
	s_and_saveexec_b32 s12, s13
	s_cbranch_execz .LBB70_16
; %bb.15:                               ;   in Loop: Header=BB70_2 Depth=1
	s_waitcnt lgkmcnt(0)
	v_bcnt_u32_b32 v0, v0, v48
	ds_store_b32 v50, v0
.LBB70_16:                              ;   in Loop: Header=BB70_2 Depth=1
	s_or_b32 exec_lo, exec_lo, s12
	v_and_b32_e32 v0, 1, v30
	v_lshlrev_b32_e32 v2, 30, v30
	v_lshlrev_b32_e32 v4, 29, v30
	;; [unrolled: 1-line block ×4, first 2 shown]
	v_add_co_u32 v0, s12, v0, -1
	s_delay_alu instid0(VALU_DEP_1)
	v_cndmask_b32_e64 v3, 0, 1, s12
	v_not_b32_e32 v7, v2
	v_cmp_gt_i32_e64 s13, 0, v2
	v_not_b32_e32 v2, v4
	v_and_b32_e32 v1, 0xff, v30
	v_cmp_ne_u32_e64 s12, 0, v3
	v_ashrrev_i32_e32 v7, 31, v7
	v_lshlrev_b32_e32 v3, 26, v30
	v_ashrrev_i32_e32 v2, 31, v2
	v_mul_u32_u24_e32 v1, 6, v1
	v_xor_b32_e32 v0, s12, v0
	v_cmp_gt_i32_e64 s12, 0, v4
	v_not_b32_e32 v4, v5
	v_xor_b32_e32 v7, s13, v7
	v_cmp_gt_i32_e64 s13, 0, v5
	v_and_b32_e32 v0, exec_lo, v0
	v_not_b32_e32 v5, v6
	v_ashrrev_i32_e32 v4, 31, v4
	v_xor_b32_e32 v2, s12, v2
	v_cmp_gt_i32_e64 s12, 0, v6
	v_and_b32_e32 v0, v0, v7
	v_lshlrev_b32_e32 v7, 25, v30
	v_ashrrev_i32_e32 v5, 31, v5
	v_xor_b32_e32 v4, s13, v4
	v_not_b32_e32 v6, v3
	v_and_b32_e32 v0, v0, v2
	v_lshlrev_b32_e32 v2, 24, v30
	v_not_b32_e32 v51, v7
	v_xor_b32_e32 v5, s12, v5
	v_cmp_gt_i32_e64 s12, 0, v3
	v_and_b32_e32 v0, v0, v4
	v_ashrrev_i32_e32 v3, 31, v6
	v_cmp_gt_i32_e64 s13, 0, v7
	v_ashrrev_i32_e32 v4, 31, v51
	v_add_lshl_u32 v1, v21, v1, 2
	v_and_b32_e32 v0, v0, v5
	v_not_b32_e32 v5, v2
	v_xor_b32_e32 v3, s12, v3
	v_xor_b32_e32 v4, s13, v4
	v_cmp_gt_i32_e64 s12, 0, v2
	s_delay_alu instid0(VALU_DEP_4) | instskip(NEXT) | instid1(VALU_DEP_4)
	v_ashrrev_i32_e32 v2, 31, v5
	v_and_b32_e32 v0, v0, v3
	; wave barrier
	ds_load_b32 v51, v1 offset:24
	v_add_nc_u32_e32 v53, 24, v1
	v_xor_b32_e32 v2, s12, v2
	v_and_b32_e32 v0, v0, v4
	; wave barrier
	s_delay_alu instid0(VALU_DEP_1) | instskip(NEXT) | instid1(VALU_DEP_1)
	v_and_b32_e32 v0, v0, v2
	v_mbcnt_lo_u32_b32 v52, v0, 0
	v_cmp_ne_u32_e64 s13, 0, v0
	s_delay_alu instid0(VALU_DEP_2) | instskip(NEXT) | instid1(VALU_DEP_1)
	v_cmp_eq_u32_e64 s12, 0, v52
	s_and_b32 s13, s13, s12
	s_delay_alu instid0(SALU_CYCLE_1)
	s_and_saveexec_b32 s12, s13
	s_cbranch_execz .LBB70_18
; %bb.17:                               ;   in Loop: Header=BB70_2 Depth=1
	s_waitcnt lgkmcnt(0)
	v_bcnt_u32_b32 v0, v0, v51
	ds_store_b32 v53, v0
.LBB70_18:                              ;   in Loop: Header=BB70_2 Depth=1
	s_or_b32 exec_lo, exec_lo, s12
	; wave barrier
	s_waitcnt lgkmcnt(0)
	s_barrier
	buffer_gl0_inv
	ds_load_2addr_b64 v[4:7], v13 offset0:3 offset1:4
	ds_load_2addr_b64 v[0:3], v15 offset0:2 offset1:3
	s_waitcnt lgkmcnt(1)
	v_add_nc_u32_e32 v54, v5, v4
	s_delay_alu instid0(VALU_DEP_1) | instskip(SKIP_1) | instid1(VALU_DEP_1)
	v_add3_u32 v54, v54, v6, v7
	s_waitcnt lgkmcnt(0)
	v_add3_u32 v54, v54, v0, v1
	s_delay_alu instid0(VALU_DEP_1) | instskip(NEXT) | instid1(VALU_DEP_1)
	v_add3_u32 v3, v54, v2, v3
	v_mov_b32_dpp v54, v3 row_shr:1 row_mask:0xf bank_mask:0xf
	s_delay_alu instid0(VALU_DEP_1) | instskip(NEXT) | instid1(VALU_DEP_1)
	v_cndmask_b32_e64 v54, v54, 0, s0
	v_add_nc_u32_e32 v3, v54, v3
	s_delay_alu instid0(VALU_DEP_1) | instskip(NEXT) | instid1(VALU_DEP_1)
	v_mov_b32_dpp v54, v3 row_shr:2 row_mask:0xf bank_mask:0xf
	v_cndmask_b32_e64 v54, 0, v54, s1
	s_delay_alu instid0(VALU_DEP_1) | instskip(NEXT) | instid1(VALU_DEP_1)
	v_add_nc_u32_e32 v3, v3, v54
	v_mov_b32_dpp v54, v3 row_shr:4 row_mask:0xf bank_mask:0xf
	s_delay_alu instid0(VALU_DEP_1) | instskip(NEXT) | instid1(VALU_DEP_1)
	v_cndmask_b32_e64 v54, 0, v54, s2
	v_add_nc_u32_e32 v3, v3, v54
	s_delay_alu instid0(VALU_DEP_1) | instskip(NEXT) | instid1(VALU_DEP_1)
	v_mov_b32_dpp v54, v3 row_shr:8 row_mask:0xf bank_mask:0xf
	v_cndmask_b32_e64 v54, 0, v54, s3
	s_delay_alu instid0(VALU_DEP_1) | instskip(SKIP_3) | instid1(VALU_DEP_1)
	v_add_nc_u32_e32 v3, v3, v54
	ds_swizzle_b32 v54, v3 offset:swizzle(BROADCAST,32,15)
	s_waitcnt lgkmcnt(0)
	v_cndmask_b32_e64 v54, v54, 0, s4
	v_add_nc_u32_e32 v3, v3, v54
	s_and_saveexec_b32 s12, s11
	s_cbranch_execz .LBB70_20
; %bb.19:                               ;   in Loop: Header=BB70_2 Depth=1
	ds_store_b32 v18, v3
.LBB70_20:                              ;   in Loop: Header=BB70_2 Depth=1
	s_or_b32 exec_lo, exec_lo, s12
	s_waitcnt lgkmcnt(0)
	s_barrier
	buffer_gl0_inv
	s_and_saveexec_b32 s12, s5
	s_cbranch_execz .LBB70_22
; %bb.21:                               ;   in Loop: Header=BB70_2 Depth=1
	ds_load_b32 v54, v22
	s_waitcnt lgkmcnt(0)
	v_mov_b32_dpp v55, v54 row_shr:1 row_mask:0xf bank_mask:0xf
	s_delay_alu instid0(VALU_DEP_1) | instskip(NEXT) | instid1(VALU_DEP_1)
	v_cndmask_b32_e64 v55, v55, 0, s8
	v_add_nc_u32_e32 v54, v55, v54
	s_delay_alu instid0(VALU_DEP_1) | instskip(NEXT) | instid1(VALU_DEP_1)
	v_mov_b32_dpp v55, v54 row_shr:2 row_mask:0xf bank_mask:0xf
	v_cndmask_b32_e64 v55, 0, v55, s9
	s_delay_alu instid0(VALU_DEP_1) | instskip(NEXT) | instid1(VALU_DEP_1)
	v_add_nc_u32_e32 v54, v54, v55
	v_mov_b32_dpp v55, v54 row_shr:4 row_mask:0xf bank_mask:0xf
	s_delay_alu instid0(VALU_DEP_1) | instskip(NEXT) | instid1(VALU_DEP_1)
	v_cndmask_b32_e64 v55, 0, v55, s10
	v_add_nc_u32_e32 v54, v54, v55
	ds_store_b32 v22, v54
.LBB70_22:                              ;   in Loop: Header=BB70_2 Depth=1
	s_or_b32 exec_lo, exec_lo, s12
	v_mov_b32_e32 v54, 0
	s_waitcnt lgkmcnt(0)
	s_barrier
	buffer_gl0_inv
	s_and_saveexec_b32 s12, s6
	s_cbranch_execz .LBB70_1
; %bb.23:                               ;   in Loop: Header=BB70_2 Depth=1
	ds_load_b32 v54, v20
	s_branch .LBB70_1
.LBB70_24:
	s_add_u32 s0, s18, s14
	s_addc_u32 s1, s19, 0
	v_add_co_u32 v8, s0, s0, v8
	s_delay_alu instid0(VALU_DEP_1)
	v_add_co_ci_u32_e64 v9, null, s1, 0, s0
	s_clause 0x7
	global_store_b8 v[8:9], v0, off
	global_store_b8 v[8:9], v5, off offset:192
	global_store_b8 v[8:9], v6, off offset:384
	;; [unrolled: 1-line block ×7, first 2 shown]
	s_nop 0
	s_sendmsg sendmsg(MSG_DEALLOC_VGPRS)
	s_endpgm
	.section	.rodata,"a",@progbits
	.p2align	6, 0x0
	.amdhsa_kernel _Z16sort_keys_kernelI22helper_blocked_blockedaLj192ELj8ELj10EEvPKT0_PS1_
		.amdhsa_group_segment_fixed_size 6176
		.amdhsa_private_segment_fixed_size 0
		.amdhsa_kernarg_size 272
		.amdhsa_user_sgpr_count 15
		.amdhsa_user_sgpr_dispatch_ptr 0
		.amdhsa_user_sgpr_queue_ptr 0
		.amdhsa_user_sgpr_kernarg_segment_ptr 1
		.amdhsa_user_sgpr_dispatch_id 0
		.amdhsa_user_sgpr_private_segment_size 0
		.amdhsa_wavefront_size32 1
		.amdhsa_uses_dynamic_stack 0
		.amdhsa_enable_private_segment 0
		.amdhsa_system_sgpr_workgroup_id_x 1
		.amdhsa_system_sgpr_workgroup_id_y 0
		.amdhsa_system_sgpr_workgroup_id_z 0
		.amdhsa_system_sgpr_workgroup_info 0
		.amdhsa_system_vgpr_workitem_id 2
		.amdhsa_next_free_vgpr 56
		.amdhsa_next_free_sgpr 20
		.amdhsa_reserve_vcc 1
		.amdhsa_float_round_mode_32 0
		.amdhsa_float_round_mode_16_64 0
		.amdhsa_float_denorm_mode_32 3
		.amdhsa_float_denorm_mode_16_64 3
		.amdhsa_dx10_clamp 1
		.amdhsa_ieee_mode 1
		.amdhsa_fp16_overflow 0
		.amdhsa_workgroup_processor_mode 1
		.amdhsa_memory_ordered 1
		.amdhsa_forward_progress 0
		.amdhsa_shared_vgpr_count 0
		.amdhsa_exception_fp_ieee_invalid_op 0
		.amdhsa_exception_fp_denorm_src 0
		.amdhsa_exception_fp_ieee_div_zero 0
		.amdhsa_exception_fp_ieee_overflow 0
		.amdhsa_exception_fp_ieee_underflow 0
		.amdhsa_exception_fp_ieee_inexact 0
		.amdhsa_exception_int_div_zero 0
	.end_amdhsa_kernel
	.section	.text._Z16sort_keys_kernelI22helper_blocked_blockedaLj192ELj8ELj10EEvPKT0_PS1_,"axG",@progbits,_Z16sort_keys_kernelI22helper_blocked_blockedaLj192ELj8ELj10EEvPKT0_PS1_,comdat
.Lfunc_end70:
	.size	_Z16sort_keys_kernelI22helper_blocked_blockedaLj192ELj8ELj10EEvPKT0_PS1_, .Lfunc_end70-_Z16sort_keys_kernelI22helper_blocked_blockedaLj192ELj8ELj10EEvPKT0_PS1_
                                        ; -- End function
	.section	.AMDGPU.csdata,"",@progbits
; Kernel info:
; codeLenInByte = 4716
; NumSgprs: 22
; NumVgprs: 56
; ScratchSize: 0
; MemoryBound: 0
; FloatMode: 240
; IeeeMode: 1
; LDSByteSize: 6176 bytes/workgroup (compile time only)
; SGPRBlocks: 2
; VGPRBlocks: 6
; NumSGPRsForWavesPerEU: 22
; NumVGPRsForWavesPerEU: 56
; Occupancy: 15
; WaveLimiterHint : 1
; COMPUTE_PGM_RSRC2:SCRATCH_EN: 0
; COMPUTE_PGM_RSRC2:USER_SGPR: 15
; COMPUTE_PGM_RSRC2:TRAP_HANDLER: 0
; COMPUTE_PGM_RSRC2:TGID_X_EN: 1
; COMPUTE_PGM_RSRC2:TGID_Y_EN: 0
; COMPUTE_PGM_RSRC2:TGID_Z_EN: 0
; COMPUTE_PGM_RSRC2:TIDIG_COMP_CNT: 2
	.section	.text._Z17sort_pairs_kernelI22helper_blocked_blockedaLj192ELj8ELj10EEvPKT0_PS1_,"axG",@progbits,_Z17sort_pairs_kernelI22helper_blocked_blockedaLj192ELj8ELj10EEvPKT0_PS1_,comdat
	.protected	_Z17sort_pairs_kernelI22helper_blocked_blockedaLj192ELj8ELj10EEvPKT0_PS1_ ; -- Begin function _Z17sort_pairs_kernelI22helper_blocked_blockedaLj192ELj8ELj10EEvPKT0_PS1_
	.globl	_Z17sort_pairs_kernelI22helper_blocked_blockedaLj192ELj8ELj10EEvPKT0_PS1_
	.p2align	8
	.type	_Z17sort_pairs_kernelI22helper_blocked_blockedaLj192ELj8ELj10EEvPKT0_PS1_,@function
_Z17sort_pairs_kernelI22helper_blocked_blockedaLj192ELj8ELj10EEvPKT0_PS1_: ; @_Z17sort_pairs_kernelI22helper_blocked_blockedaLj192ELj8ELj10EEvPKT0_PS1_
; %bb.0:
	s_clause 0x1
	s_load_b128 s[16:19], s[0:1], 0x0
	s_load_b32 s11, s[0:1], 0x1c
	s_mul_i32 s14, s15, 0x600
	v_and_b32_e32 v8, 0x3ff, v0
	v_mbcnt_lo_u32_b32 v1, -1, 0
	v_bfe_u32 v20, v0, 10, 10
	v_bfe_u32 v0, v0, 20, 10
	s_mov_b32 s15, 10
	s_delay_alu instid0(VALU_DEP_3)
	v_add_nc_u32_e32 v16, -1, v1
	v_and_b32_e32 v14, 15, v1
	v_cmp_eq_u32_e32 vcc_lo, 0, v1
	v_and_b32_e32 v17, 7, v1
	v_and_b32_e32 v15, 16, v1
	v_cmp_gt_i32_e64 s7, 0, v16
	s_delay_alu instid0(VALU_DEP_3) | instskip(SKIP_1) | instid1(VALU_DEP_3)
	v_cmp_eq_u32_e64 s8, 0, v17
	v_cmp_lt_u32_e64 s9, 1, v17
	v_cndmask_b32_e64 v16, v16, v1, s7
	s_waitcnt lgkmcnt(0)
	s_add_u32 s0, s16, s14
	s_addc_u32 s1, s17, 0
	s_clause 0x7
	global_load_u8 v2, v8, s[0:1]
	global_load_u8 v3, v8, s[0:1] offset:384
	global_load_u8 v4, v8, s[0:1] offset:768
	;; [unrolled: 1-line block ×7, first 2 shown]
	s_mov_b32 s0, 0
	s_lshr_b32 s12, s11, 16
	s_mov_b32 s1, s0
	s_mov_b32 s2, s0
	;; [unrolled: 1-line block ×3, first 2 shown]
	v_dual_mov_b32 v10, s1 :: v_dual_mov_b32 v9, s0
	v_lshlrev_b32_e32 v18, 3, v8
	v_dual_mov_b32 v12, s3 :: v_dual_and_b32 v19, 0xe0, v8
	v_mov_b32_e32 v11, s2
	v_cmp_eq_u32_e64 s0, 0, v14
	v_cmp_lt_u32_e64 s1, 1, v14
	v_cmp_lt_u32_e64 s2, 3, v14
	;; [unrolled: 1-line block ×3, first 2 shown]
	v_lshrrev_b32_e32 v23, 3, v8
	v_lshlrev_b32_e32 v24, 2, v8
	v_or_b32_e32 v25, v1, v19
	v_and_or_b32 v14, 0x700, v18, v1
	v_min_u32_e32 v1, 0xa0, v19
	v_and_b32_e32 v18, 28, v23
	v_sub_nc_u32_e32 v23, 0, v24
	v_mad_u32_u24 v24, v0, s12, v20
	s_and_b32 s12, s11, 0xffff
	v_or_b32_e32 v1, 31, v1
	v_lshlrev_b32_e32 v19, 3, v25
	v_lshlrev_b32_e32 v13, 5, v8
	v_cmp_lt_u32_e64 s10, 3, v17
	v_cmp_eq_u32_e64 s4, 0, v15
	v_cmp_eq_u32_e64 s11, v1, v8
	v_mad_u64_u32 v[0:1], null, v24, s12, v[8:9]
	v_mad_i32_i24 v17, 0xffffffe8, v8, v13
	v_cmp_gt_u32_e64 s5, 6, v8
	v_cmp_lt_u32_e64 s6, 31, v8
	v_cmp_eq_u32_e64 s7, 0, v8
	v_or_b32_e32 v15, 24, v13
	v_lshlrev_b32_e32 v16, 2, v16
	v_add_nc_u32_e32 v20, -4, v18
	s_waitcnt vmcnt(7)
	v_add_nc_u16 v1, v2, 1
	s_waitcnt vmcnt(6)
	v_add_nc_u16 v24, v3, 1
	s_waitcnt vmcnt(5)
	v_add_nc_u16 v25, v4, 1
	s_waitcnt vmcnt(4)
	v_lshlrev_b16 v5, 8, v5
	s_waitcnt vmcnt(3)
	v_lshlrev_b16 v6, 8, v6
	;; [unrolled: 2-line block ×4, first 2 shown]
	s_waitcnt vmcnt(0)
	v_add_nc_u16 v26, v22, 1
	v_and_b32_e32 v1, 0xff, v1
	v_and_b32_e32 v24, 0xff, v24
	;; [unrolled: 1-line block ×3, first 2 shown]
	v_or_b32_e32 v2, v2, v5
	v_and_b32_e32 v26, 0xff, v26
	v_or_b32_e32 v3, v3, v6
	v_or_b32_e32 v4, v4, v7
	;; [unrolled: 1-line block ×7, first 2 shown]
	v_add_nc_u16 v1, v1, 0x100
	v_add_nc_u16 v5, v5, 0x100
	v_add_nc_u16 v6, v6, 0x100
	v_add_nc_u16 v7, v7, 0x100
	v_and_b32_e32 v2, 0xffff, v2
	v_lshlrev_b32_e32 v3, 16, v3
	v_and_b32_e32 v4, 0xffff, v4
	v_lshlrev_b32_e32 v22, 16, v22
	;; [unrolled: 2-line block ×4, first 2 shown]
	v_lshrrev_b32_e32 v21, 5, v0
	v_or_b32_e32 v25, v2, v3
	v_or_b32_e32 v26, v4, v22
	;; [unrolled: 1-line block ×4, first 2 shown]
	v_add_nc_u32_e32 v22, v17, v23
	s_branch .LBB71_2
.LBB71_1:                               ;   in Loop: Header=BB71_2 Depth=1
	s_or_b32 exec_lo, exec_lo, s12
	s_waitcnt lgkmcnt(0)
	v_add_nc_u32_e32 v3, v62, v3
	s_add_i32 s15, s15, -1
	s_delay_alu instid0(SALU_CYCLE_1) | instskip(SKIP_3) | instid1(VALU_DEP_1)
	s_cmp_eq_u32 s15, 0
	ds_bpermute_b32 v3, v16, v3
	s_waitcnt lgkmcnt(0)
	v_cndmask_b32_e32 v3, v3, v62, vcc_lo
	v_cndmask_b32_e64 v3, v3, 0, s7
	s_delay_alu instid0(VALU_DEP_1) | instskip(NEXT) | instid1(VALU_DEP_1)
	v_add_nc_u32_e32 v4, v3, v4
	v_add_nc_u32_e32 v5, v4, v5
	s_delay_alu instid0(VALU_DEP_1) | instskip(NEXT) | instid1(VALU_DEP_1)
	v_add_nc_u32_e32 v6, v5, v6
	v_add_nc_u32_e32 v62, v6, v7
	;; [unrolled: 3-line block ×3, first 2 shown]
	s_delay_alu instid0(VALU_DEP_1)
	v_add_nc_u32_e32 v1, v0, v2
	ds_store_2addr_b64 v13, v[3:4], v[5:6] offset0:3 offset1:4
	ds_store_2addr_b64 v15, v[62:63], v[0:1] offset0:2 offset1:3
	s_waitcnt lgkmcnt(0)
	s_barrier
	buffer_gl0_inv
	ds_load_b32 v0, v40
	ds_load_b32 v1, v43
	;; [unrolled: 1-line block ×8, first 2 shown]
	s_waitcnt lgkmcnt(0)
	s_barrier
	buffer_gl0_inv
	v_add_nc_u32_e32 v39, v0, v39
	v_add3_u32 v40, v42, v41, v1
	v_add3_u32 v2, v45, v44, v2
	;; [unrolled: 1-line block ×7, first 2 shown]
	ds_store_b8 v39, v23
	ds_store_b8 v40, v24
	;; [unrolled: 1-line block ×8, first 2 shown]
	s_waitcnt lgkmcnt(0)
	s_barrier
	buffer_gl0_inv
	ds_load_b64 v[0:1], v17
	s_waitcnt lgkmcnt(0)
	s_barrier
	buffer_gl0_inv
	ds_store_b8 v39, v31
	ds_store_b8 v40, v32
	;; [unrolled: 1-line block ×8, first 2 shown]
	s_waitcnt lgkmcnt(0)
	s_barrier
	buffer_gl0_inv
	v_lshrrev_b32_e32 v3, 8, v0
	v_lshrrev_b32_e32 v4, 16, v0
	;; [unrolled: 1-line block ×6, first 2 shown]
	v_xor_b32_e32 v6, 0xffffff80, v0
	v_xor_b32_e32 v2, 0xffffff80, v1
	v_xor_b32_e32 v7, 0xffffff80, v3
	v_xor_b32_e32 v23, 0xffffff80, v4
	v_xor_b32_e32 v24, 0xffffff80, v5
	v_xor_b32_e32 v3, 0xffffff80, v25
	v_xor_b32_e32 v4, 0xffffff80, v26
	v_xor_b32_e32 v5, 0xffffff80, v27
	v_and_b32_e32 v25, 0xff, v6
	v_and_b32_e32 v26, 0xff, v2
	v_lshlrev_b16 v27, 8, v7
	v_lshlrev_b16 v28, 8, v24
	v_and_b32_e32 v29, 0xff, v23
	v_lshlrev_b16 v30, 8, v3
	v_lshlrev_b16 v31, 8, v5
	v_and_b32_e32 v32, 0xff, v4
	ds_load_b64 v[0:1], v17
	v_or_b32_e32 v25, v25, v27
	v_or_b32_e32 v27, v29, v28
	;; [unrolled: 1-line block ×4, first 2 shown]
	s_delay_alu instid0(VALU_DEP_4) | instskip(NEXT) | instid1(VALU_DEP_4)
	v_and_b32_e32 v25, 0xffff, v25
	v_lshlrev_b32_e32 v27, 16, v27
	s_delay_alu instid0(VALU_DEP_4) | instskip(NEXT) | instid1(VALU_DEP_4)
	v_and_b32_e32 v26, 0xffff, v26
	v_lshlrev_b32_e32 v28, 16, v28
	s_delay_alu instid0(VALU_DEP_3) | instskip(NEXT) | instid1(VALU_DEP_2)
	v_or_b32_e32 v25, v25, v27
	v_or_b32_e32 v26, v26, v28
	s_cbranch_scc1 .LBB71_24
.LBB71_2:                               ; =>This Inner Loop Header: Depth=1
	s_delay_alu instid0(VALU_DEP_1) | instskip(NEXT) | instid1(VALU_DEP_3)
	v_lshrrev_b32_e32 v2, 16, v26
	v_lshrrev_b32_e32 v3, 16, v25
	v_xor_b32_e32 v4, 0x80, v26
	v_xor_b32_e32 v23, 0x80, v25
	v_and_b32_e32 v5, 0xffffff00, v26
	v_xor_b32_e32 v7, 0x80, v2
	v_xor_b32_e32 v24, 0x80, v3
	v_and_b32_e32 v6, 0xffffff00, v25
	v_and_b32_e32 v4, 0xff, v4
	;; [unrolled: 1-line block ×7, first 2 shown]
	v_or_b32_e32 v4, v4, v5
	v_or_b32_e32 v2, v7, v2
	;; [unrolled: 1-line block ×3, first 2 shown]
	s_delay_alu instid0(VALU_DEP_4) | instskip(NEXT) | instid1(VALU_DEP_4)
	v_or_b32_e32 v3, v24, v3
	v_add_nc_u16 v4, v4, 0x8000
	s_delay_alu instid0(VALU_DEP_4) | instskip(NEXT) | instid1(VALU_DEP_4)
	v_add_nc_u16 v2, v2, 0x8000
	v_add_nc_u16 v5, v5, 0x8000
	s_delay_alu instid0(VALU_DEP_4) | instskip(NEXT) | instid1(VALU_DEP_4)
	v_add_nc_u16 v3, v3, 0x8000
	v_and_b32_e32 v4, 0xffff, v4
	s_delay_alu instid0(VALU_DEP_4) | instskip(NEXT) | instid1(VALU_DEP_4)
	v_lshlrev_b32_e32 v2, 16, v2
	v_and_b32_e32 v5, 0xffff, v5
	s_delay_alu instid0(VALU_DEP_4) | instskip(NEXT) | instid1(VALU_DEP_3)
	v_lshlrev_b32_e32 v6, 16, v3
	v_or_b32_e32 v3, v4, v2
	s_delay_alu instid0(VALU_DEP_2)
	v_or_b32_e32 v2, v5, v6
	ds_store_b64 v19, v[2:3]
	; wave barrier
	ds_load_u8 v23, v14
	ds_load_u8 v24, v14 offset:32
	ds_load_u8 v25, v14 offset:64
	;; [unrolled: 1-line block ×7, first 2 shown]
	; wave barrier
	s_waitcnt lgkmcnt(9)
	ds_store_b64 v19, v[0:1]
	; wave barrier
	s_waitcnt lgkmcnt(8)
	v_and_b32_e32 v2, 1, v23
	v_lshlrev_b32_e32 v3, 30, v23
	v_lshlrev_b32_e32 v4, 29, v23
	;; [unrolled: 1-line block ×4, first 2 shown]
	v_add_co_u32 v2, s12, v2, -1
	s_delay_alu instid0(VALU_DEP_1)
	v_cndmask_b32_e64 v6, 0, 1, s12
	v_not_b32_e32 v33, v3
	v_cmp_gt_i32_e64 s13, 0, v3
	v_not_b32_e32 v3, v4
	v_lshlrev_b32_e32 v31, 26, v23
	v_cmp_ne_u32_e64 s12, 0, v6
	v_ashrrev_i32_e32 v33, 31, v33
	v_lshlrev_b32_e32 v32, 25, v23
	v_ashrrev_i32_e32 v3, 31, v3
	v_lshlrev_b32_e32 v6, 24, v23
	v_xor_b32_e32 v2, s12, v2
	v_cmp_gt_i32_e64 s12, 0, v4
	v_not_b32_e32 v4, v5
	v_xor_b32_e32 v33, s13, v33
	v_cmp_gt_i32_e64 s13, 0, v5
	v_and_b32_e32 v2, exec_lo, v2
	v_not_b32_e32 v5, v7
	v_ashrrev_i32_e32 v4, 31, v4
	v_xor_b32_e32 v3, s12, v3
	v_cmp_gt_i32_e64 s12, 0, v7
	v_and_b32_e32 v2, v2, v33
	v_not_b32_e32 v7, v31
	v_ashrrev_i32_e32 v5, 31, v5
	v_xor_b32_e32 v4, s13, v4
	v_cmp_gt_i32_e64 s13, 0, v31
	v_and_b32_e32 v2, v2, v3
	;; [unrolled: 5-line block ×4, first 2 shown]
	v_ashrrev_i32_e32 v4, 31, v4
	v_xor_b32_e32 v3, s12, v3
	ds_load_u8 v31, v14
	ds_load_u8 v32, v14 offset:32
	ds_load_u8 v33, v14 offset:64
	;; [unrolled: 1-line block ×7, first 2 shown]
	s_waitcnt lgkmcnt(0)
	v_and_b32_e32 v2, v2, v7
	v_xor_b32_e32 v0, s13, v4
	s_barrier
	buffer_gl0_inv
	ds_store_2addr_b64 v13, v[9:10], v[11:12] offset0:3 offset1:4
	ds_store_2addr_b64 v15, v[9:10], v[11:12] offset0:2 offset1:3
	v_and_b32_e32 v1, v2, v3
	s_waitcnt lgkmcnt(0)
	s_barrier
	buffer_gl0_inv
	v_and_b32_e32 v0, v1, v0
	v_and_b32_e32 v1, 0xff, v23
	; wave barrier
	s_delay_alu instid0(VALU_DEP_2) | instskip(NEXT) | instid1(VALU_DEP_2)
	v_mbcnt_lo_u32_b32 v39, v0, 0
	v_mad_u32_u24 v1, v1, 6, v21
	v_cmp_ne_u32_e64 s13, 0, v0
	s_delay_alu instid0(VALU_DEP_3) | instskip(NEXT) | instid1(VALU_DEP_3)
	v_cmp_eq_u32_e64 s12, 0, v39
	v_lshl_add_u32 v40, v1, 2, 24
	s_delay_alu instid0(VALU_DEP_2) | instskip(NEXT) | instid1(SALU_CYCLE_1)
	s_and_b32 s13, s13, s12
	s_and_saveexec_b32 s12, s13
	s_cbranch_execz .LBB71_4
; %bb.3:                                ;   in Loop: Header=BB71_2 Depth=1
	v_bcnt_u32_b32 v0, v0, 0
	ds_store_b32 v40, v0
.LBB71_4:                               ;   in Loop: Header=BB71_2 Depth=1
	s_or_b32 exec_lo, exec_lo, s12
	v_and_b32_e32 v0, 1, v24
	v_lshlrev_b32_e32 v2, 30, v24
	v_lshlrev_b32_e32 v4, 29, v24
	;; [unrolled: 1-line block ×4, first 2 shown]
	v_add_co_u32 v0, s12, v0, -1
	s_delay_alu instid0(VALU_DEP_1)
	v_cndmask_b32_e64 v3, 0, 1, s12
	v_not_b32_e32 v7, v2
	v_cmp_gt_i32_e64 s13, 0, v2
	v_not_b32_e32 v2, v4
	v_and_b32_e32 v1, 0xff, v24
	v_cmp_ne_u32_e64 s12, 0, v3
	v_ashrrev_i32_e32 v7, 31, v7
	v_lshlrev_b32_e32 v3, 26, v24
	v_ashrrev_i32_e32 v2, 31, v2
	v_mul_u32_u24_e32 v1, 6, v1
	v_xor_b32_e32 v0, s12, v0
	v_cmp_gt_i32_e64 s12, 0, v4
	v_not_b32_e32 v4, v5
	v_xor_b32_e32 v7, s13, v7
	v_cmp_gt_i32_e64 s13, 0, v5
	v_and_b32_e32 v0, exec_lo, v0
	v_not_b32_e32 v5, v6
	v_ashrrev_i32_e32 v4, 31, v4
	v_xor_b32_e32 v2, s12, v2
	v_cmp_gt_i32_e64 s12, 0, v6
	v_and_b32_e32 v0, v0, v7
	v_lshlrev_b32_e32 v7, 25, v24
	v_ashrrev_i32_e32 v5, 31, v5
	v_xor_b32_e32 v4, s13, v4
	v_not_b32_e32 v6, v3
	v_and_b32_e32 v0, v0, v2
	v_lshlrev_b32_e32 v2, 24, v24
	v_not_b32_e32 v41, v7
	v_xor_b32_e32 v5, s12, v5
	v_cmp_gt_i32_e64 s12, 0, v3
	v_and_b32_e32 v0, v0, v4
	v_ashrrev_i32_e32 v3, 31, v6
	v_cmp_gt_i32_e64 s13, 0, v7
	v_ashrrev_i32_e32 v4, 31, v41
	v_add_lshl_u32 v1, v21, v1, 2
	v_and_b32_e32 v0, v0, v5
	v_not_b32_e32 v5, v2
	v_xor_b32_e32 v3, s12, v3
	v_xor_b32_e32 v4, s13, v4
	v_cmp_gt_i32_e64 s12, 0, v2
	s_delay_alu instid0(VALU_DEP_4) | instskip(NEXT) | instid1(VALU_DEP_4)
	v_ashrrev_i32_e32 v2, 31, v5
	v_and_b32_e32 v0, v0, v3
	; wave barrier
	ds_load_b32 v41, v1 offset:24
	v_add_nc_u32_e32 v43, 24, v1
	v_xor_b32_e32 v2, s12, v2
	v_and_b32_e32 v0, v0, v4
	; wave barrier
	s_delay_alu instid0(VALU_DEP_1) | instskip(NEXT) | instid1(VALU_DEP_1)
	v_and_b32_e32 v0, v0, v2
	v_mbcnt_lo_u32_b32 v42, v0, 0
	v_cmp_ne_u32_e64 s13, 0, v0
	s_delay_alu instid0(VALU_DEP_2) | instskip(NEXT) | instid1(VALU_DEP_1)
	v_cmp_eq_u32_e64 s12, 0, v42
	s_and_b32 s13, s13, s12
	s_delay_alu instid0(SALU_CYCLE_1)
	s_and_saveexec_b32 s12, s13
	s_cbranch_execz .LBB71_6
; %bb.5:                                ;   in Loop: Header=BB71_2 Depth=1
	s_waitcnt lgkmcnt(0)
	v_bcnt_u32_b32 v0, v0, v41
	ds_store_b32 v43, v0
.LBB71_6:                               ;   in Loop: Header=BB71_2 Depth=1
	s_or_b32 exec_lo, exec_lo, s12
	v_and_b32_e32 v0, 1, v25
	v_lshlrev_b32_e32 v2, 30, v25
	v_lshlrev_b32_e32 v4, 29, v25
	v_lshlrev_b32_e32 v5, 28, v25
	v_lshlrev_b32_e32 v6, 27, v25
	v_add_co_u32 v0, s12, v0, -1
	s_delay_alu instid0(VALU_DEP_1)
	v_cndmask_b32_e64 v3, 0, 1, s12
	v_not_b32_e32 v7, v2
	v_cmp_gt_i32_e64 s13, 0, v2
	v_not_b32_e32 v2, v4
	v_and_b32_e32 v1, 0xff, v25
	v_cmp_ne_u32_e64 s12, 0, v3
	v_ashrrev_i32_e32 v7, 31, v7
	v_lshlrev_b32_e32 v3, 26, v25
	v_ashrrev_i32_e32 v2, 31, v2
	v_mul_u32_u24_e32 v1, 6, v1
	v_xor_b32_e32 v0, s12, v0
	v_cmp_gt_i32_e64 s12, 0, v4
	v_not_b32_e32 v4, v5
	v_xor_b32_e32 v7, s13, v7
	v_cmp_gt_i32_e64 s13, 0, v5
	v_and_b32_e32 v0, exec_lo, v0
	v_not_b32_e32 v5, v6
	v_ashrrev_i32_e32 v4, 31, v4
	v_xor_b32_e32 v2, s12, v2
	v_cmp_gt_i32_e64 s12, 0, v6
	v_and_b32_e32 v0, v0, v7
	v_lshlrev_b32_e32 v7, 25, v25
	v_ashrrev_i32_e32 v5, 31, v5
	v_xor_b32_e32 v4, s13, v4
	v_not_b32_e32 v6, v3
	v_and_b32_e32 v0, v0, v2
	v_lshlrev_b32_e32 v2, 24, v25
	v_not_b32_e32 v44, v7
	v_xor_b32_e32 v5, s12, v5
	v_cmp_gt_i32_e64 s12, 0, v3
	v_and_b32_e32 v0, v0, v4
	v_ashrrev_i32_e32 v3, 31, v6
	v_cmp_gt_i32_e64 s13, 0, v7
	v_ashrrev_i32_e32 v4, 31, v44
	v_add_lshl_u32 v1, v21, v1, 2
	v_and_b32_e32 v0, v0, v5
	v_not_b32_e32 v5, v2
	v_xor_b32_e32 v3, s12, v3
	v_xor_b32_e32 v4, s13, v4
	v_cmp_gt_i32_e64 s12, 0, v2
	s_delay_alu instid0(VALU_DEP_4) | instskip(NEXT) | instid1(VALU_DEP_4)
	v_ashrrev_i32_e32 v2, 31, v5
	v_and_b32_e32 v0, v0, v3
	; wave barrier
	ds_load_b32 v44, v1 offset:24
	v_add_nc_u32_e32 v46, 24, v1
	v_xor_b32_e32 v2, s12, v2
	v_and_b32_e32 v0, v0, v4
	; wave barrier
	s_delay_alu instid0(VALU_DEP_1) | instskip(NEXT) | instid1(VALU_DEP_1)
	v_and_b32_e32 v0, v0, v2
	v_mbcnt_lo_u32_b32 v45, v0, 0
	v_cmp_ne_u32_e64 s13, 0, v0
	s_delay_alu instid0(VALU_DEP_2) | instskip(NEXT) | instid1(VALU_DEP_1)
	v_cmp_eq_u32_e64 s12, 0, v45
	s_and_b32 s13, s13, s12
	s_delay_alu instid0(SALU_CYCLE_1)
	s_and_saveexec_b32 s12, s13
	s_cbranch_execz .LBB71_8
; %bb.7:                                ;   in Loop: Header=BB71_2 Depth=1
	s_waitcnt lgkmcnt(0)
	v_bcnt_u32_b32 v0, v0, v44
	ds_store_b32 v46, v0
.LBB71_8:                               ;   in Loop: Header=BB71_2 Depth=1
	s_or_b32 exec_lo, exec_lo, s12
	v_and_b32_e32 v0, 1, v26
	v_lshlrev_b32_e32 v2, 30, v26
	v_lshlrev_b32_e32 v4, 29, v26
	;; [unrolled: 1-line block ×4, first 2 shown]
	v_add_co_u32 v0, s12, v0, -1
	s_delay_alu instid0(VALU_DEP_1)
	v_cndmask_b32_e64 v3, 0, 1, s12
	v_not_b32_e32 v7, v2
	v_cmp_gt_i32_e64 s13, 0, v2
	v_not_b32_e32 v2, v4
	v_and_b32_e32 v1, 0xff, v26
	v_cmp_ne_u32_e64 s12, 0, v3
	v_ashrrev_i32_e32 v7, 31, v7
	v_lshlrev_b32_e32 v3, 26, v26
	v_ashrrev_i32_e32 v2, 31, v2
	v_mul_u32_u24_e32 v1, 6, v1
	v_xor_b32_e32 v0, s12, v0
	v_cmp_gt_i32_e64 s12, 0, v4
	v_not_b32_e32 v4, v5
	v_xor_b32_e32 v7, s13, v7
	v_cmp_gt_i32_e64 s13, 0, v5
	v_and_b32_e32 v0, exec_lo, v0
	v_not_b32_e32 v5, v6
	v_ashrrev_i32_e32 v4, 31, v4
	v_xor_b32_e32 v2, s12, v2
	v_cmp_gt_i32_e64 s12, 0, v6
	v_and_b32_e32 v0, v0, v7
	v_lshlrev_b32_e32 v7, 25, v26
	v_ashrrev_i32_e32 v5, 31, v5
	v_xor_b32_e32 v4, s13, v4
	v_not_b32_e32 v6, v3
	v_and_b32_e32 v0, v0, v2
	v_lshlrev_b32_e32 v2, 24, v26
	v_not_b32_e32 v47, v7
	v_xor_b32_e32 v5, s12, v5
	v_cmp_gt_i32_e64 s12, 0, v3
	v_and_b32_e32 v0, v0, v4
	v_ashrrev_i32_e32 v3, 31, v6
	v_cmp_gt_i32_e64 s13, 0, v7
	v_ashrrev_i32_e32 v4, 31, v47
	v_add_lshl_u32 v1, v21, v1, 2
	v_and_b32_e32 v0, v0, v5
	v_not_b32_e32 v5, v2
	v_xor_b32_e32 v3, s12, v3
	v_xor_b32_e32 v4, s13, v4
	v_cmp_gt_i32_e64 s12, 0, v2
	s_delay_alu instid0(VALU_DEP_4) | instskip(NEXT) | instid1(VALU_DEP_4)
	v_ashrrev_i32_e32 v2, 31, v5
	v_and_b32_e32 v0, v0, v3
	; wave barrier
	ds_load_b32 v47, v1 offset:24
	v_add_nc_u32_e32 v49, 24, v1
	v_xor_b32_e32 v2, s12, v2
	v_and_b32_e32 v0, v0, v4
	; wave barrier
	s_delay_alu instid0(VALU_DEP_1) | instskip(NEXT) | instid1(VALU_DEP_1)
	v_and_b32_e32 v0, v0, v2
	v_mbcnt_lo_u32_b32 v48, v0, 0
	v_cmp_ne_u32_e64 s13, 0, v0
	s_delay_alu instid0(VALU_DEP_2) | instskip(NEXT) | instid1(VALU_DEP_1)
	v_cmp_eq_u32_e64 s12, 0, v48
	s_and_b32 s13, s13, s12
	s_delay_alu instid0(SALU_CYCLE_1)
	s_and_saveexec_b32 s12, s13
	s_cbranch_execz .LBB71_10
; %bb.9:                                ;   in Loop: Header=BB71_2 Depth=1
	s_waitcnt lgkmcnt(0)
	v_bcnt_u32_b32 v0, v0, v47
	ds_store_b32 v49, v0
.LBB71_10:                              ;   in Loop: Header=BB71_2 Depth=1
	s_or_b32 exec_lo, exec_lo, s12
	v_and_b32_e32 v0, 1, v27
	v_lshlrev_b32_e32 v2, 30, v27
	v_lshlrev_b32_e32 v4, 29, v27
	;; [unrolled: 1-line block ×4, first 2 shown]
	v_add_co_u32 v0, s12, v0, -1
	s_delay_alu instid0(VALU_DEP_1)
	v_cndmask_b32_e64 v3, 0, 1, s12
	v_not_b32_e32 v7, v2
	v_cmp_gt_i32_e64 s13, 0, v2
	v_not_b32_e32 v2, v4
	v_and_b32_e32 v1, 0xff, v27
	v_cmp_ne_u32_e64 s12, 0, v3
	v_ashrrev_i32_e32 v7, 31, v7
	v_lshlrev_b32_e32 v3, 26, v27
	v_ashrrev_i32_e32 v2, 31, v2
	v_mul_u32_u24_e32 v1, 6, v1
	v_xor_b32_e32 v0, s12, v0
	v_cmp_gt_i32_e64 s12, 0, v4
	v_not_b32_e32 v4, v5
	v_xor_b32_e32 v7, s13, v7
	v_cmp_gt_i32_e64 s13, 0, v5
	v_and_b32_e32 v0, exec_lo, v0
	v_not_b32_e32 v5, v6
	v_ashrrev_i32_e32 v4, 31, v4
	v_xor_b32_e32 v2, s12, v2
	v_cmp_gt_i32_e64 s12, 0, v6
	v_and_b32_e32 v0, v0, v7
	v_lshlrev_b32_e32 v7, 25, v27
	v_ashrrev_i32_e32 v5, 31, v5
	v_xor_b32_e32 v4, s13, v4
	v_not_b32_e32 v6, v3
	v_and_b32_e32 v0, v0, v2
	v_lshlrev_b32_e32 v2, 24, v27
	v_not_b32_e32 v50, v7
	v_xor_b32_e32 v5, s12, v5
	v_cmp_gt_i32_e64 s12, 0, v3
	v_and_b32_e32 v0, v0, v4
	v_ashrrev_i32_e32 v3, 31, v6
	v_cmp_gt_i32_e64 s13, 0, v7
	v_ashrrev_i32_e32 v4, 31, v50
	v_add_lshl_u32 v1, v21, v1, 2
	v_and_b32_e32 v0, v0, v5
	v_not_b32_e32 v5, v2
	v_xor_b32_e32 v3, s12, v3
	v_xor_b32_e32 v4, s13, v4
	v_cmp_gt_i32_e64 s12, 0, v2
	s_delay_alu instid0(VALU_DEP_4) | instskip(NEXT) | instid1(VALU_DEP_4)
	v_ashrrev_i32_e32 v2, 31, v5
	v_and_b32_e32 v0, v0, v3
	; wave barrier
	ds_load_b32 v50, v1 offset:24
	v_add_nc_u32_e32 v52, 24, v1
	v_xor_b32_e32 v2, s12, v2
	v_and_b32_e32 v0, v0, v4
	; wave barrier
	s_delay_alu instid0(VALU_DEP_1) | instskip(NEXT) | instid1(VALU_DEP_1)
	v_and_b32_e32 v0, v0, v2
	v_mbcnt_lo_u32_b32 v51, v0, 0
	v_cmp_ne_u32_e64 s13, 0, v0
	s_delay_alu instid0(VALU_DEP_2) | instskip(NEXT) | instid1(VALU_DEP_1)
	v_cmp_eq_u32_e64 s12, 0, v51
	s_and_b32 s13, s13, s12
	s_delay_alu instid0(SALU_CYCLE_1)
	s_and_saveexec_b32 s12, s13
	s_cbranch_execz .LBB71_12
; %bb.11:                               ;   in Loop: Header=BB71_2 Depth=1
	s_waitcnt lgkmcnt(0)
	v_bcnt_u32_b32 v0, v0, v50
	ds_store_b32 v52, v0
.LBB71_12:                              ;   in Loop: Header=BB71_2 Depth=1
	s_or_b32 exec_lo, exec_lo, s12
	v_and_b32_e32 v0, 1, v28
	v_lshlrev_b32_e32 v2, 30, v28
	v_lshlrev_b32_e32 v4, 29, v28
	;; [unrolled: 1-line block ×4, first 2 shown]
	v_add_co_u32 v0, s12, v0, -1
	s_delay_alu instid0(VALU_DEP_1)
	v_cndmask_b32_e64 v3, 0, 1, s12
	v_not_b32_e32 v7, v2
	v_cmp_gt_i32_e64 s13, 0, v2
	v_not_b32_e32 v2, v4
	v_and_b32_e32 v1, 0xff, v28
	v_cmp_ne_u32_e64 s12, 0, v3
	v_ashrrev_i32_e32 v7, 31, v7
	v_lshlrev_b32_e32 v3, 26, v28
	v_ashrrev_i32_e32 v2, 31, v2
	v_mul_u32_u24_e32 v1, 6, v1
	v_xor_b32_e32 v0, s12, v0
	v_cmp_gt_i32_e64 s12, 0, v4
	v_not_b32_e32 v4, v5
	v_xor_b32_e32 v7, s13, v7
	v_cmp_gt_i32_e64 s13, 0, v5
	v_and_b32_e32 v0, exec_lo, v0
	v_not_b32_e32 v5, v6
	v_ashrrev_i32_e32 v4, 31, v4
	v_xor_b32_e32 v2, s12, v2
	v_cmp_gt_i32_e64 s12, 0, v6
	v_and_b32_e32 v0, v0, v7
	v_lshlrev_b32_e32 v7, 25, v28
	v_ashrrev_i32_e32 v5, 31, v5
	v_xor_b32_e32 v4, s13, v4
	v_not_b32_e32 v6, v3
	v_and_b32_e32 v0, v0, v2
	v_lshlrev_b32_e32 v2, 24, v28
	v_not_b32_e32 v53, v7
	v_xor_b32_e32 v5, s12, v5
	v_cmp_gt_i32_e64 s12, 0, v3
	v_and_b32_e32 v0, v0, v4
	v_ashrrev_i32_e32 v3, 31, v6
	v_cmp_gt_i32_e64 s13, 0, v7
	v_ashrrev_i32_e32 v4, 31, v53
	v_add_lshl_u32 v1, v21, v1, 2
	v_and_b32_e32 v0, v0, v5
	v_not_b32_e32 v5, v2
	v_xor_b32_e32 v3, s12, v3
	v_xor_b32_e32 v4, s13, v4
	v_cmp_gt_i32_e64 s12, 0, v2
	s_delay_alu instid0(VALU_DEP_4) | instskip(NEXT) | instid1(VALU_DEP_4)
	v_ashrrev_i32_e32 v2, 31, v5
	v_and_b32_e32 v0, v0, v3
	; wave barrier
	ds_load_b32 v53, v1 offset:24
	v_add_nc_u32_e32 v55, 24, v1
	v_xor_b32_e32 v2, s12, v2
	v_and_b32_e32 v0, v0, v4
	; wave barrier
	s_delay_alu instid0(VALU_DEP_1) | instskip(NEXT) | instid1(VALU_DEP_1)
	v_and_b32_e32 v0, v0, v2
	v_mbcnt_lo_u32_b32 v54, v0, 0
	v_cmp_ne_u32_e64 s13, 0, v0
	s_delay_alu instid0(VALU_DEP_2) | instskip(NEXT) | instid1(VALU_DEP_1)
	v_cmp_eq_u32_e64 s12, 0, v54
	s_and_b32 s13, s13, s12
	s_delay_alu instid0(SALU_CYCLE_1)
	s_and_saveexec_b32 s12, s13
	s_cbranch_execz .LBB71_14
; %bb.13:                               ;   in Loop: Header=BB71_2 Depth=1
	s_waitcnt lgkmcnt(0)
	v_bcnt_u32_b32 v0, v0, v53
	ds_store_b32 v55, v0
.LBB71_14:                              ;   in Loop: Header=BB71_2 Depth=1
	s_or_b32 exec_lo, exec_lo, s12
	v_and_b32_e32 v0, 1, v29
	v_lshlrev_b32_e32 v2, 30, v29
	v_lshlrev_b32_e32 v4, 29, v29
	;; [unrolled: 1-line block ×4, first 2 shown]
	v_add_co_u32 v0, s12, v0, -1
	s_delay_alu instid0(VALU_DEP_1)
	v_cndmask_b32_e64 v3, 0, 1, s12
	v_not_b32_e32 v7, v2
	v_cmp_gt_i32_e64 s13, 0, v2
	v_not_b32_e32 v2, v4
	v_and_b32_e32 v1, 0xff, v29
	v_cmp_ne_u32_e64 s12, 0, v3
	v_ashrrev_i32_e32 v7, 31, v7
	v_lshlrev_b32_e32 v3, 26, v29
	v_ashrrev_i32_e32 v2, 31, v2
	v_mul_u32_u24_e32 v1, 6, v1
	v_xor_b32_e32 v0, s12, v0
	v_cmp_gt_i32_e64 s12, 0, v4
	v_not_b32_e32 v4, v5
	v_xor_b32_e32 v7, s13, v7
	v_cmp_gt_i32_e64 s13, 0, v5
	v_and_b32_e32 v0, exec_lo, v0
	v_not_b32_e32 v5, v6
	v_ashrrev_i32_e32 v4, 31, v4
	v_xor_b32_e32 v2, s12, v2
	v_cmp_gt_i32_e64 s12, 0, v6
	v_and_b32_e32 v0, v0, v7
	v_lshlrev_b32_e32 v7, 25, v29
	v_ashrrev_i32_e32 v5, 31, v5
	v_xor_b32_e32 v4, s13, v4
	v_not_b32_e32 v6, v3
	v_and_b32_e32 v0, v0, v2
	v_lshlrev_b32_e32 v2, 24, v29
	v_not_b32_e32 v56, v7
	v_xor_b32_e32 v5, s12, v5
	v_cmp_gt_i32_e64 s12, 0, v3
	v_and_b32_e32 v0, v0, v4
	v_ashrrev_i32_e32 v3, 31, v6
	v_cmp_gt_i32_e64 s13, 0, v7
	v_ashrrev_i32_e32 v4, 31, v56
	v_add_lshl_u32 v1, v21, v1, 2
	v_and_b32_e32 v0, v0, v5
	v_not_b32_e32 v5, v2
	v_xor_b32_e32 v3, s12, v3
	v_xor_b32_e32 v4, s13, v4
	v_cmp_gt_i32_e64 s12, 0, v2
	s_delay_alu instid0(VALU_DEP_4) | instskip(NEXT) | instid1(VALU_DEP_4)
	v_ashrrev_i32_e32 v2, 31, v5
	v_and_b32_e32 v0, v0, v3
	; wave barrier
	ds_load_b32 v56, v1 offset:24
	v_add_nc_u32_e32 v58, 24, v1
	v_xor_b32_e32 v2, s12, v2
	v_and_b32_e32 v0, v0, v4
	; wave barrier
	s_delay_alu instid0(VALU_DEP_1) | instskip(NEXT) | instid1(VALU_DEP_1)
	v_and_b32_e32 v0, v0, v2
	v_mbcnt_lo_u32_b32 v57, v0, 0
	v_cmp_ne_u32_e64 s13, 0, v0
	s_delay_alu instid0(VALU_DEP_2) | instskip(NEXT) | instid1(VALU_DEP_1)
	v_cmp_eq_u32_e64 s12, 0, v57
	s_and_b32 s13, s13, s12
	s_delay_alu instid0(SALU_CYCLE_1)
	s_and_saveexec_b32 s12, s13
	s_cbranch_execz .LBB71_16
; %bb.15:                               ;   in Loop: Header=BB71_2 Depth=1
	s_waitcnt lgkmcnt(0)
	v_bcnt_u32_b32 v0, v0, v56
	ds_store_b32 v58, v0
.LBB71_16:                              ;   in Loop: Header=BB71_2 Depth=1
	s_or_b32 exec_lo, exec_lo, s12
	v_and_b32_e32 v0, 1, v30
	v_lshlrev_b32_e32 v2, 30, v30
	v_lshlrev_b32_e32 v4, 29, v30
	;; [unrolled: 1-line block ×4, first 2 shown]
	v_add_co_u32 v0, s12, v0, -1
	s_delay_alu instid0(VALU_DEP_1)
	v_cndmask_b32_e64 v3, 0, 1, s12
	v_not_b32_e32 v7, v2
	v_cmp_gt_i32_e64 s13, 0, v2
	v_not_b32_e32 v2, v4
	v_and_b32_e32 v1, 0xff, v30
	v_cmp_ne_u32_e64 s12, 0, v3
	v_ashrrev_i32_e32 v7, 31, v7
	v_lshlrev_b32_e32 v3, 26, v30
	v_ashrrev_i32_e32 v2, 31, v2
	v_mul_u32_u24_e32 v1, 6, v1
	v_xor_b32_e32 v0, s12, v0
	v_cmp_gt_i32_e64 s12, 0, v4
	v_not_b32_e32 v4, v5
	v_xor_b32_e32 v7, s13, v7
	v_cmp_gt_i32_e64 s13, 0, v5
	v_and_b32_e32 v0, exec_lo, v0
	v_not_b32_e32 v5, v6
	v_ashrrev_i32_e32 v4, 31, v4
	v_xor_b32_e32 v2, s12, v2
	v_cmp_gt_i32_e64 s12, 0, v6
	v_and_b32_e32 v0, v0, v7
	v_lshlrev_b32_e32 v7, 25, v30
	v_ashrrev_i32_e32 v5, 31, v5
	v_xor_b32_e32 v4, s13, v4
	v_not_b32_e32 v6, v3
	v_and_b32_e32 v0, v0, v2
	v_lshlrev_b32_e32 v2, 24, v30
	v_not_b32_e32 v59, v7
	v_xor_b32_e32 v5, s12, v5
	v_cmp_gt_i32_e64 s12, 0, v3
	v_and_b32_e32 v0, v0, v4
	v_ashrrev_i32_e32 v3, 31, v6
	v_cmp_gt_i32_e64 s13, 0, v7
	v_ashrrev_i32_e32 v4, 31, v59
	v_add_lshl_u32 v1, v21, v1, 2
	v_and_b32_e32 v0, v0, v5
	v_not_b32_e32 v5, v2
	v_xor_b32_e32 v3, s12, v3
	v_xor_b32_e32 v4, s13, v4
	v_cmp_gt_i32_e64 s12, 0, v2
	s_delay_alu instid0(VALU_DEP_4) | instskip(NEXT) | instid1(VALU_DEP_4)
	v_ashrrev_i32_e32 v2, 31, v5
	v_and_b32_e32 v0, v0, v3
	; wave barrier
	ds_load_b32 v59, v1 offset:24
	v_add_nc_u32_e32 v61, 24, v1
	v_xor_b32_e32 v2, s12, v2
	v_and_b32_e32 v0, v0, v4
	; wave barrier
	s_delay_alu instid0(VALU_DEP_1) | instskip(NEXT) | instid1(VALU_DEP_1)
	v_and_b32_e32 v0, v0, v2
	v_mbcnt_lo_u32_b32 v60, v0, 0
	v_cmp_ne_u32_e64 s13, 0, v0
	s_delay_alu instid0(VALU_DEP_2) | instskip(NEXT) | instid1(VALU_DEP_1)
	v_cmp_eq_u32_e64 s12, 0, v60
	s_and_b32 s13, s13, s12
	s_delay_alu instid0(SALU_CYCLE_1)
	s_and_saveexec_b32 s12, s13
	s_cbranch_execz .LBB71_18
; %bb.17:                               ;   in Loop: Header=BB71_2 Depth=1
	s_waitcnt lgkmcnt(0)
	v_bcnt_u32_b32 v0, v0, v59
	ds_store_b32 v61, v0
.LBB71_18:                              ;   in Loop: Header=BB71_2 Depth=1
	s_or_b32 exec_lo, exec_lo, s12
	; wave barrier
	s_waitcnt lgkmcnt(0)
	s_barrier
	buffer_gl0_inv
	ds_load_2addr_b64 v[4:7], v13 offset0:3 offset1:4
	ds_load_2addr_b64 v[0:3], v15 offset0:2 offset1:3
	s_waitcnt lgkmcnt(1)
	v_add_nc_u32_e32 v62, v5, v4
	s_delay_alu instid0(VALU_DEP_1) | instskip(SKIP_1) | instid1(VALU_DEP_1)
	v_add3_u32 v62, v62, v6, v7
	s_waitcnt lgkmcnt(0)
	v_add3_u32 v62, v62, v0, v1
	s_delay_alu instid0(VALU_DEP_1) | instskip(NEXT) | instid1(VALU_DEP_1)
	v_add3_u32 v3, v62, v2, v3
	v_mov_b32_dpp v62, v3 row_shr:1 row_mask:0xf bank_mask:0xf
	s_delay_alu instid0(VALU_DEP_1) | instskip(NEXT) | instid1(VALU_DEP_1)
	v_cndmask_b32_e64 v62, v62, 0, s0
	v_add_nc_u32_e32 v3, v62, v3
	s_delay_alu instid0(VALU_DEP_1) | instskip(NEXT) | instid1(VALU_DEP_1)
	v_mov_b32_dpp v62, v3 row_shr:2 row_mask:0xf bank_mask:0xf
	v_cndmask_b32_e64 v62, 0, v62, s1
	s_delay_alu instid0(VALU_DEP_1) | instskip(NEXT) | instid1(VALU_DEP_1)
	v_add_nc_u32_e32 v3, v3, v62
	v_mov_b32_dpp v62, v3 row_shr:4 row_mask:0xf bank_mask:0xf
	s_delay_alu instid0(VALU_DEP_1) | instskip(NEXT) | instid1(VALU_DEP_1)
	v_cndmask_b32_e64 v62, 0, v62, s2
	v_add_nc_u32_e32 v3, v3, v62
	s_delay_alu instid0(VALU_DEP_1) | instskip(NEXT) | instid1(VALU_DEP_1)
	v_mov_b32_dpp v62, v3 row_shr:8 row_mask:0xf bank_mask:0xf
	v_cndmask_b32_e64 v62, 0, v62, s3
	s_delay_alu instid0(VALU_DEP_1) | instskip(SKIP_3) | instid1(VALU_DEP_1)
	v_add_nc_u32_e32 v3, v3, v62
	ds_swizzle_b32 v62, v3 offset:swizzle(BROADCAST,32,15)
	s_waitcnt lgkmcnt(0)
	v_cndmask_b32_e64 v62, v62, 0, s4
	v_add_nc_u32_e32 v3, v3, v62
	s_and_saveexec_b32 s12, s11
	s_cbranch_execz .LBB71_20
; %bb.19:                               ;   in Loop: Header=BB71_2 Depth=1
	ds_store_b32 v18, v3
.LBB71_20:                              ;   in Loop: Header=BB71_2 Depth=1
	s_or_b32 exec_lo, exec_lo, s12
	s_waitcnt lgkmcnt(0)
	s_barrier
	buffer_gl0_inv
	s_and_saveexec_b32 s12, s5
	s_cbranch_execz .LBB71_22
; %bb.21:                               ;   in Loop: Header=BB71_2 Depth=1
	ds_load_b32 v62, v22
	s_waitcnt lgkmcnt(0)
	v_mov_b32_dpp v63, v62 row_shr:1 row_mask:0xf bank_mask:0xf
	s_delay_alu instid0(VALU_DEP_1) | instskip(NEXT) | instid1(VALU_DEP_1)
	v_cndmask_b32_e64 v63, v63, 0, s8
	v_add_nc_u32_e32 v62, v63, v62
	s_delay_alu instid0(VALU_DEP_1) | instskip(NEXT) | instid1(VALU_DEP_1)
	v_mov_b32_dpp v63, v62 row_shr:2 row_mask:0xf bank_mask:0xf
	v_cndmask_b32_e64 v63, 0, v63, s9
	s_delay_alu instid0(VALU_DEP_1) | instskip(NEXT) | instid1(VALU_DEP_1)
	v_add_nc_u32_e32 v62, v62, v63
	v_mov_b32_dpp v63, v62 row_shr:4 row_mask:0xf bank_mask:0xf
	s_delay_alu instid0(VALU_DEP_1) | instskip(NEXT) | instid1(VALU_DEP_1)
	v_cndmask_b32_e64 v63, 0, v63, s10
	v_add_nc_u32_e32 v62, v62, v63
	ds_store_b32 v22, v62
.LBB71_22:                              ;   in Loop: Header=BB71_2 Depth=1
	s_or_b32 exec_lo, exec_lo, s12
	v_mov_b32_e32 v62, 0
	s_waitcnt lgkmcnt(0)
	s_barrier
	buffer_gl0_inv
	s_and_saveexec_b32 s12, s6
	s_cbranch_execz .LBB71_1
; %bb.23:                               ;   in Loop: Header=BB71_2 Depth=1
	ds_load_b32 v62, v20
	s_branch .LBB71_1
.LBB71_24:
	s_waitcnt lgkmcnt(0)
	v_lshrrev_b32_e32 v9, 8, v0
	s_add_u32 s0, s18, s14
	v_lshrrev_b32_e32 v10, 16, v0
	v_lshrrev_b32_e32 v11, 24, v0
	v_add_nc_u16 v0, v6, v0
	s_addc_u32 s1, s19, 0
	v_add_co_u32 v6, s0, s0, v8
	v_lshrrev_b32_e32 v12, 8, v1
	v_lshrrev_b32_e32 v13, 16, v1
	;; [unrolled: 1-line block ×3, first 2 shown]
	v_add_nc_u16 v9, v7, v9
	v_add_co_ci_u32_e64 v7, null, s1, 0, s0
	v_add_nc_u16 v10, v23, v10
	v_add_nc_u16 v11, v24, v11
	;; [unrolled: 1-line block ×6, first 2 shown]
	s_clause 0x7
	global_store_b8 v[6:7], v0, off
	global_store_b8 v[6:7], v9, off offset:192
	global_store_b8 v[6:7], v10, off offset:384
	;; [unrolled: 1-line block ×7, first 2 shown]
	s_nop 0
	s_sendmsg sendmsg(MSG_DEALLOC_VGPRS)
	s_endpgm
	.section	.rodata,"a",@progbits
	.p2align	6, 0x0
	.amdhsa_kernel _Z17sort_pairs_kernelI22helper_blocked_blockedaLj192ELj8ELj10EEvPKT0_PS1_
		.amdhsa_group_segment_fixed_size 6176
		.amdhsa_private_segment_fixed_size 0
		.amdhsa_kernarg_size 272
		.amdhsa_user_sgpr_count 15
		.amdhsa_user_sgpr_dispatch_ptr 0
		.amdhsa_user_sgpr_queue_ptr 0
		.amdhsa_user_sgpr_kernarg_segment_ptr 1
		.amdhsa_user_sgpr_dispatch_id 0
		.amdhsa_user_sgpr_private_segment_size 0
		.amdhsa_wavefront_size32 1
		.amdhsa_uses_dynamic_stack 0
		.amdhsa_enable_private_segment 0
		.amdhsa_system_sgpr_workgroup_id_x 1
		.amdhsa_system_sgpr_workgroup_id_y 0
		.amdhsa_system_sgpr_workgroup_id_z 0
		.amdhsa_system_sgpr_workgroup_info 0
		.amdhsa_system_vgpr_workitem_id 2
		.amdhsa_next_free_vgpr 64
		.amdhsa_next_free_sgpr 20
		.amdhsa_reserve_vcc 1
		.amdhsa_float_round_mode_32 0
		.amdhsa_float_round_mode_16_64 0
		.amdhsa_float_denorm_mode_32 3
		.amdhsa_float_denorm_mode_16_64 3
		.amdhsa_dx10_clamp 1
		.amdhsa_ieee_mode 1
		.amdhsa_fp16_overflow 0
		.amdhsa_workgroup_processor_mode 1
		.amdhsa_memory_ordered 1
		.amdhsa_forward_progress 0
		.amdhsa_shared_vgpr_count 0
		.amdhsa_exception_fp_ieee_invalid_op 0
		.amdhsa_exception_fp_denorm_src 0
		.amdhsa_exception_fp_ieee_div_zero 0
		.amdhsa_exception_fp_ieee_overflow 0
		.amdhsa_exception_fp_ieee_underflow 0
		.amdhsa_exception_fp_ieee_inexact 0
		.amdhsa_exception_int_div_zero 0
	.end_amdhsa_kernel
	.section	.text._Z17sort_pairs_kernelI22helper_blocked_blockedaLj192ELj8ELj10EEvPKT0_PS1_,"axG",@progbits,_Z17sort_pairs_kernelI22helper_blocked_blockedaLj192ELj8ELj10EEvPKT0_PS1_,comdat
.Lfunc_end71:
	.size	_Z17sort_pairs_kernelI22helper_blocked_blockedaLj192ELj8ELj10EEvPKT0_PS1_, .Lfunc_end71-_Z17sort_pairs_kernelI22helper_blocked_blockedaLj192ELj8ELj10EEvPKT0_PS1_
                                        ; -- End function
	.section	.AMDGPU.csdata,"",@progbits
; Kernel info:
; codeLenInByte = 5136
; NumSgprs: 22
; NumVgprs: 64
; ScratchSize: 0
; MemoryBound: 0
; FloatMode: 240
; IeeeMode: 1
; LDSByteSize: 6176 bytes/workgroup (compile time only)
; SGPRBlocks: 2
; VGPRBlocks: 7
; NumSGPRsForWavesPerEU: 22
; NumVGPRsForWavesPerEU: 64
; Occupancy: 15
; WaveLimiterHint : 1
; COMPUTE_PGM_RSRC2:SCRATCH_EN: 0
; COMPUTE_PGM_RSRC2:USER_SGPR: 15
; COMPUTE_PGM_RSRC2:TRAP_HANDLER: 0
; COMPUTE_PGM_RSRC2:TGID_X_EN: 1
; COMPUTE_PGM_RSRC2:TGID_Y_EN: 0
; COMPUTE_PGM_RSRC2:TGID_Z_EN: 0
; COMPUTE_PGM_RSRC2:TIDIG_COMP_CNT: 2
	.section	.text._Z16sort_keys_kernelI22helper_blocked_blockedaLj256ELj1ELj10EEvPKT0_PS1_,"axG",@progbits,_Z16sort_keys_kernelI22helper_blocked_blockedaLj256ELj1ELj10EEvPKT0_PS1_,comdat
	.protected	_Z16sort_keys_kernelI22helper_blocked_blockedaLj256ELj1ELj10EEvPKT0_PS1_ ; -- Begin function _Z16sort_keys_kernelI22helper_blocked_blockedaLj256ELj1ELj10EEvPKT0_PS1_
	.globl	_Z16sort_keys_kernelI22helper_blocked_blockedaLj256ELj1ELj10EEvPKT0_PS1_
	.p2align	8
	.type	_Z16sort_keys_kernelI22helper_blocked_blockedaLj256ELj1ELj10EEvPKT0_PS1_,@function
_Z16sort_keys_kernelI22helper_blocked_blockedaLj256ELj1ELj10EEvPKT0_PS1_: ; @_Z16sort_keys_kernelI22helper_blocked_blockedaLj256ELj1ELj10EEvPKT0_PS1_
; %bb.0:
	s_clause 0x1
	s_load_b128 s[16:19], s[0:1], 0x0
	s_load_b32 s9, s[0:1], 0x1c
	s_lshl_b32 s15, s15, 8
	v_and_b32_e32 v8, 0x3ff, v0
	v_mbcnt_lo_u32_b32 v1, -1, 0
	v_bfe_u32 v3, v0, 10, 10
	v_bfe_u32 v0, v0, 20, 10
	s_delay_alu instid0(VALU_DEP_3)
	v_add_nc_u32_e32 v6, -1, v1
	v_and_b32_e32 v4, 15, v1
	v_cmp_eq_u32_e32 vcc_lo, 0, v1
	v_and_b32_e32 v7, 7, v1
	v_and_b32_e32 v5, 16, v1
	v_cmp_gt_i32_e64 s7, 0, v6
	s_delay_alu instid0(VALU_DEP_3) | instskip(NEXT) | instid1(VALU_DEP_3)
	v_cmp_lt_u32_e64 s10, 3, v7
	v_cmp_eq_u32_e64 s4, 0, v5
	s_delay_alu instid0(VALU_DEP_3)
	v_cndmask_b32_e64 v5, v6, v1, s7
	s_waitcnt lgkmcnt(0)
	s_add_u32 s0, s16, s15
	s_addc_u32 s1, s17, 0
	s_lshr_b32 s8, s9, 16
	global_load_u8 v2, v8, s[0:1]
	s_mov_b32 s0, 0
	v_mad_u32_u24 v3, v0, s8, v3
	s_mov_b32 s3, s0
	s_mov_b32 s1, s0
	;; [unrolled: 1-line block ×3, first 2 shown]
	v_mov_b32_e32 v12, s3
	v_dual_mov_b32 v10, s1 :: v_dual_mov_b32 v11, s2
	v_mov_b32_e32 v9, s0
	v_lshrrev_b32_e32 v6, 3, v8
	s_and_b32 s9, s9, 0xffff
	v_lshlrev_b32_e32 v13, 5, v8
	v_cmp_eq_u32_e64 s0, 0, v4
	v_mad_u64_u32 v[0:1], null, v3, s9, v[8:9]
	v_cmp_lt_u32_e64 s1, 1, v4
	v_cmp_lt_u32_e64 s2, 3, v4
	;; [unrolled: 1-line block ×3, first 2 shown]
	v_or_b32_e32 v4, 31, v8
	v_mul_u32_u24_e32 v19, 3, v8
	v_and_b32_e32 v14, 28, v6
	v_cmp_gt_u32_e64 s5, 8, v8
	v_cmp_lt_u32_e64 s6, 31, v8
	v_cmp_eq_u32_e64 s7, 0, v8
	v_cmp_eq_u32_e64 s8, 0, v7
	v_cmp_lt_u32_e64 s9, 1, v7
	v_add_nc_u32_e32 v15, 32, v13
	v_cmp_eq_u32_e64 s11, v4, v8
	v_lshlrev_b32_e32 v16, 2, v5
	v_add_nc_u32_e32 v17, -4, v14
	v_lshrrev_b32_e32 v18, 5, v0
	v_add_nc_u32_e32 v19, v8, v19
	s_mov_b32 s16, 10
	s_waitcnt vmcnt(0)
	v_xor_b32_e32 v20, 0xffffff80, v2
	s_branch .LBB72_2
.LBB72_1:                               ;   in Loop: Header=BB72_2 Depth=1
	s_or_b32 exec_lo, exec_lo, s12
	s_waitcnt lgkmcnt(0)
	v_add_nc_u32_e32 v3, v23, v3
	s_add_i32 s16, s16, -1
	s_delay_alu instid0(SALU_CYCLE_1) | instskip(SKIP_3) | instid1(VALU_DEP_1)
	s_cmp_eq_u32 s16, 0
	ds_bpermute_b32 v3, v16, v3
	s_waitcnt lgkmcnt(0)
	v_cndmask_b32_e32 v3, v3, v23, vcc_lo
	v_cndmask_b32_e64 v3, v3, 0, s7
	s_delay_alu instid0(VALU_DEP_1) | instskip(NEXT) | instid1(VALU_DEP_1)
	v_add_nc_u32_e32 v4, v3, v4
	v_add_nc_u32_e32 v5, v4, v5
	s_delay_alu instid0(VALU_DEP_1) | instskip(NEXT) | instid1(VALU_DEP_1)
	v_add_nc_u32_e32 v6, v5, v6
	v_add_nc_u32_e32 v23, v6, v7
	;; [unrolled: 3-line block ×3, first 2 shown]
	s_delay_alu instid0(VALU_DEP_1)
	v_add_nc_u32_e32 v1, v0, v2
	ds_store_2addr_b64 v13, v[3:4], v[5:6] offset0:4 offset1:5
	ds_store_2addr_b64 v15, v[23:24], v[0:1] offset0:2 offset1:3
	s_waitcnt lgkmcnt(0)
	s_barrier
	buffer_gl0_inv
	ds_load_b32 v0, v22
	s_waitcnt lgkmcnt(0)
	s_barrier
	buffer_gl0_inv
	v_add_nc_u32_e32 v0, v0, v21
	ds_store_b8 v0, v20
	s_waitcnt lgkmcnt(0)
	s_barrier
	buffer_gl0_inv
	ds_load_u8 v20, v8
	s_cbranch_scc1 .LBB72_10
.LBB72_2:                               ; =>This Inner Loop Header: Depth=1
	s_waitcnt lgkmcnt(0)
	s_delay_alu instid0(VALU_DEP_1)
	v_and_b32_e32 v0, 1, v20
	v_lshlrev_b32_e32 v1, 30, v20
	v_lshlrev_b32_e32 v2, 29, v20
	;; [unrolled: 1-line block ×4, first 2 shown]
	v_add_co_u32 v0, s12, v0, -1
	s_delay_alu instid0(VALU_DEP_1)
	v_cndmask_b32_e64 v3, 0, 1, s12
	v_not_b32_e32 v7, v1
	v_cmp_gt_i32_e64 s13, 0, v1
	v_not_b32_e32 v1, v2
	v_lshlrev_b32_e32 v6, 26, v20
	v_cmp_ne_u32_e64 s12, 0, v3
	v_ashrrev_i32_e32 v7, 31, v7
	v_lshlrev_b32_e32 v3, 25, v20
	v_ashrrev_i32_e32 v1, 31, v1
	v_cmp_gt_i32_e64 s14, 0, v5
	v_xor_b32_e32 v0, s12, v0
	v_cmp_gt_i32_e64 s12, 0, v2
	v_not_b32_e32 v2, v4
	v_xor_b32_e32 v7, s13, v7
	v_cmp_gt_i32_e64 s13, 0, v4
	v_and_b32_e32 v0, exec_lo, v0
	v_xor_b32_e32 v1, s12, v1
	v_ashrrev_i32_e32 v2, 31, v2
	v_not_b32_e32 v4, v5
	v_not_b32_e32 v5, v6
	v_and_b32_e32 v0, v0, v7
	v_cmp_gt_i32_e64 s12, 0, v6
	v_xor_b32_e32 v2, s13, v2
	v_not_b32_e32 v6, v3
	ds_store_2addr_b64 v13, v[9:10], v[11:12] offset0:4 offset1:5
	ds_store_2addr_b64 v15, v[9:10], v[11:12] offset0:2 offset1:3
	v_and_b32_e32 v0, v0, v1
	v_ashrrev_i32_e32 v1, 31, v4
	v_ashrrev_i32_e32 v4, 31, v5
	v_lshlrev_b32_e32 v5, 24, v20
	s_waitcnt lgkmcnt(0)
	v_and_b32_e32 v0, v0, v2
	v_xor_b32_e32 v1, s14, v1
	v_xor_b32_e32 v2, s12, v4
	v_cmp_gt_i32_e64 s12, 0, v3
	v_not_b32_e32 v3, v5
	v_ashrrev_i32_e32 v4, 31, v6
	v_and_b32_e32 v0, v0, v1
	v_cmp_gt_i32_e64 s13, 0, v5
	s_barrier
	v_ashrrev_i32_e32 v1, 31, v3
	v_xor_b32_e32 v3, s12, v4
	v_and_b32_e32 v0, v0, v2
	buffer_gl0_inv
	v_xor_b32_e32 v1, s13, v1
	; wave barrier
	v_and_b32_e32 v0, v0, v3
	s_delay_alu instid0(VALU_DEP_1) | instskip(SKIP_1) | instid1(VALU_DEP_2)
	v_and_b32_e32 v0, v0, v1
	v_and_b32_e32 v1, 0xff, v20
	v_mbcnt_lo_u32_b32 v21, v0, 0
	s_delay_alu instid0(VALU_DEP_2) | instskip(SKIP_1) | instid1(VALU_DEP_3)
	v_lshl_add_u32 v1, v1, 3, v18
	v_cmp_ne_u32_e64 s13, 0, v0
	v_cmp_eq_u32_e64 s12, 0, v21
	s_delay_alu instid0(VALU_DEP_3) | instskip(NEXT) | instid1(VALU_DEP_2)
	v_lshl_add_u32 v22, v1, 2, 32
	s_and_b32 s13, s13, s12
	s_delay_alu instid0(SALU_CYCLE_1)
	s_and_saveexec_b32 s12, s13
	s_cbranch_execz .LBB72_4
; %bb.3:                                ;   in Loop: Header=BB72_2 Depth=1
	v_bcnt_u32_b32 v0, v0, 0
	ds_store_b32 v22, v0
.LBB72_4:                               ;   in Loop: Header=BB72_2 Depth=1
	s_or_b32 exec_lo, exec_lo, s12
	; wave barrier
	s_waitcnt lgkmcnt(0)
	s_barrier
	buffer_gl0_inv
	ds_load_2addr_b64 v[4:7], v13 offset0:4 offset1:5
	ds_load_2addr_b64 v[0:3], v15 offset0:2 offset1:3
	s_waitcnt lgkmcnt(1)
	v_add_nc_u32_e32 v23, v5, v4
	s_delay_alu instid0(VALU_DEP_1) | instskip(SKIP_1) | instid1(VALU_DEP_1)
	v_add3_u32 v23, v23, v6, v7
	s_waitcnt lgkmcnt(0)
	v_add3_u32 v23, v23, v0, v1
	s_delay_alu instid0(VALU_DEP_1) | instskip(NEXT) | instid1(VALU_DEP_1)
	v_add3_u32 v3, v23, v2, v3
	v_mov_b32_dpp v23, v3 row_shr:1 row_mask:0xf bank_mask:0xf
	s_delay_alu instid0(VALU_DEP_1) | instskip(NEXT) | instid1(VALU_DEP_1)
	v_cndmask_b32_e64 v23, v23, 0, s0
	v_add_nc_u32_e32 v3, v23, v3
	s_delay_alu instid0(VALU_DEP_1) | instskip(NEXT) | instid1(VALU_DEP_1)
	v_mov_b32_dpp v23, v3 row_shr:2 row_mask:0xf bank_mask:0xf
	v_cndmask_b32_e64 v23, 0, v23, s1
	s_delay_alu instid0(VALU_DEP_1) | instskip(NEXT) | instid1(VALU_DEP_1)
	v_add_nc_u32_e32 v3, v3, v23
	v_mov_b32_dpp v23, v3 row_shr:4 row_mask:0xf bank_mask:0xf
	s_delay_alu instid0(VALU_DEP_1) | instskip(NEXT) | instid1(VALU_DEP_1)
	v_cndmask_b32_e64 v23, 0, v23, s2
	v_add_nc_u32_e32 v3, v3, v23
	s_delay_alu instid0(VALU_DEP_1) | instskip(NEXT) | instid1(VALU_DEP_1)
	v_mov_b32_dpp v23, v3 row_shr:8 row_mask:0xf bank_mask:0xf
	v_cndmask_b32_e64 v23, 0, v23, s3
	s_delay_alu instid0(VALU_DEP_1) | instskip(SKIP_3) | instid1(VALU_DEP_1)
	v_add_nc_u32_e32 v3, v3, v23
	ds_swizzle_b32 v23, v3 offset:swizzle(BROADCAST,32,15)
	s_waitcnt lgkmcnt(0)
	v_cndmask_b32_e64 v23, v23, 0, s4
	v_add_nc_u32_e32 v3, v3, v23
	s_and_saveexec_b32 s12, s11
	s_cbranch_execz .LBB72_6
; %bb.5:                                ;   in Loop: Header=BB72_2 Depth=1
	ds_store_b32 v14, v3
.LBB72_6:                               ;   in Loop: Header=BB72_2 Depth=1
	s_or_b32 exec_lo, exec_lo, s12
	s_waitcnt lgkmcnt(0)
	s_barrier
	buffer_gl0_inv
	s_and_saveexec_b32 s12, s5
	s_cbranch_execz .LBB72_8
; %bb.7:                                ;   in Loop: Header=BB72_2 Depth=1
	ds_load_b32 v23, v19
	s_waitcnt lgkmcnt(0)
	v_mov_b32_dpp v24, v23 row_shr:1 row_mask:0xf bank_mask:0xf
	s_delay_alu instid0(VALU_DEP_1) | instskip(NEXT) | instid1(VALU_DEP_1)
	v_cndmask_b32_e64 v24, v24, 0, s8
	v_add_nc_u32_e32 v23, v24, v23
	s_delay_alu instid0(VALU_DEP_1) | instskip(NEXT) | instid1(VALU_DEP_1)
	v_mov_b32_dpp v24, v23 row_shr:2 row_mask:0xf bank_mask:0xf
	v_cndmask_b32_e64 v24, 0, v24, s9
	s_delay_alu instid0(VALU_DEP_1) | instskip(NEXT) | instid1(VALU_DEP_1)
	v_add_nc_u32_e32 v23, v23, v24
	v_mov_b32_dpp v24, v23 row_shr:4 row_mask:0xf bank_mask:0xf
	s_delay_alu instid0(VALU_DEP_1) | instskip(NEXT) | instid1(VALU_DEP_1)
	v_cndmask_b32_e64 v24, 0, v24, s10
	v_add_nc_u32_e32 v23, v23, v24
	ds_store_b32 v19, v23
.LBB72_8:                               ;   in Loop: Header=BB72_2 Depth=1
	s_or_b32 exec_lo, exec_lo, s12
	v_mov_b32_e32 v23, 0
	s_waitcnt lgkmcnt(0)
	s_barrier
	buffer_gl0_inv
	s_and_saveexec_b32 s12, s6
	s_cbranch_execz .LBB72_1
; %bb.9:                                ;   in Loop: Header=BB72_2 Depth=1
	ds_load_b32 v23, v17
	s_branch .LBB72_1
.LBB72_10:
	s_add_u32 s0, s18, s15
	s_addc_u32 s1, s19, 0
	v_add_co_u32 v0, s0, s0, v8
	s_waitcnt lgkmcnt(0)
	v_xor_b32_e32 v2, 0x80, v20
	v_add_co_ci_u32_e64 v1, null, s1, 0, s0
	global_store_b8 v[0:1], v2, off
	s_nop 0
	s_sendmsg sendmsg(MSG_DEALLOC_VGPRS)
	s_endpgm
	.section	.rodata,"a",@progbits
	.p2align	6, 0x0
	.amdhsa_kernel _Z16sort_keys_kernelI22helper_blocked_blockedaLj256ELj1ELj10EEvPKT0_PS1_
		.amdhsa_group_segment_fixed_size 8224
		.amdhsa_private_segment_fixed_size 0
		.amdhsa_kernarg_size 272
		.amdhsa_user_sgpr_count 15
		.amdhsa_user_sgpr_dispatch_ptr 0
		.amdhsa_user_sgpr_queue_ptr 0
		.amdhsa_user_sgpr_kernarg_segment_ptr 1
		.amdhsa_user_sgpr_dispatch_id 0
		.amdhsa_user_sgpr_private_segment_size 0
		.amdhsa_wavefront_size32 1
		.amdhsa_uses_dynamic_stack 0
		.amdhsa_enable_private_segment 0
		.amdhsa_system_sgpr_workgroup_id_x 1
		.amdhsa_system_sgpr_workgroup_id_y 0
		.amdhsa_system_sgpr_workgroup_id_z 0
		.amdhsa_system_sgpr_workgroup_info 0
		.amdhsa_system_vgpr_workitem_id 2
		.amdhsa_next_free_vgpr 25
		.amdhsa_next_free_sgpr 20
		.amdhsa_reserve_vcc 1
		.amdhsa_float_round_mode_32 0
		.amdhsa_float_round_mode_16_64 0
		.amdhsa_float_denorm_mode_32 3
		.amdhsa_float_denorm_mode_16_64 3
		.amdhsa_dx10_clamp 1
		.amdhsa_ieee_mode 1
		.amdhsa_fp16_overflow 0
		.amdhsa_workgroup_processor_mode 1
		.amdhsa_memory_ordered 1
		.amdhsa_forward_progress 0
		.amdhsa_shared_vgpr_count 0
		.amdhsa_exception_fp_ieee_invalid_op 0
		.amdhsa_exception_fp_denorm_src 0
		.amdhsa_exception_fp_ieee_div_zero 0
		.amdhsa_exception_fp_ieee_overflow 0
		.amdhsa_exception_fp_ieee_underflow 0
		.amdhsa_exception_fp_ieee_inexact 0
		.amdhsa_exception_int_div_zero 0
	.end_amdhsa_kernel
	.section	.text._Z16sort_keys_kernelI22helper_blocked_blockedaLj256ELj1ELj10EEvPKT0_PS1_,"axG",@progbits,_Z16sort_keys_kernelI22helper_blocked_blockedaLj256ELj1ELj10EEvPKT0_PS1_,comdat
.Lfunc_end72:
	.size	_Z16sort_keys_kernelI22helper_blocked_blockedaLj256ELj1ELj10EEvPKT0_PS1_, .Lfunc_end72-_Z16sort_keys_kernelI22helper_blocked_blockedaLj256ELj1ELj10EEvPKT0_PS1_
                                        ; -- End function
	.section	.AMDGPU.csdata,"",@progbits
; Kernel info:
; codeLenInByte = 1344
; NumSgprs: 22
; NumVgprs: 25
; ScratchSize: 0
; MemoryBound: 0
; FloatMode: 240
; IeeeMode: 1
; LDSByteSize: 8224 bytes/workgroup (compile time only)
; SGPRBlocks: 2
; VGPRBlocks: 3
; NumSGPRsForWavesPerEU: 22
; NumVGPRsForWavesPerEU: 25
; Occupancy: 16
; WaveLimiterHint : 0
; COMPUTE_PGM_RSRC2:SCRATCH_EN: 0
; COMPUTE_PGM_RSRC2:USER_SGPR: 15
; COMPUTE_PGM_RSRC2:TRAP_HANDLER: 0
; COMPUTE_PGM_RSRC2:TGID_X_EN: 1
; COMPUTE_PGM_RSRC2:TGID_Y_EN: 0
; COMPUTE_PGM_RSRC2:TGID_Z_EN: 0
; COMPUTE_PGM_RSRC2:TIDIG_COMP_CNT: 2
	.section	.text._Z17sort_pairs_kernelI22helper_blocked_blockedaLj256ELj1ELj10EEvPKT0_PS1_,"axG",@progbits,_Z17sort_pairs_kernelI22helper_blocked_blockedaLj256ELj1ELj10EEvPKT0_PS1_,comdat
	.protected	_Z17sort_pairs_kernelI22helper_blocked_blockedaLj256ELj1ELj10EEvPKT0_PS1_ ; -- Begin function _Z17sort_pairs_kernelI22helper_blocked_blockedaLj256ELj1ELj10EEvPKT0_PS1_
	.globl	_Z17sort_pairs_kernelI22helper_blocked_blockedaLj256ELj1ELj10EEvPKT0_PS1_
	.p2align	8
	.type	_Z17sort_pairs_kernelI22helper_blocked_blockedaLj256ELj1ELj10EEvPKT0_PS1_,@function
_Z17sort_pairs_kernelI22helper_blocked_blockedaLj256ELj1ELj10EEvPKT0_PS1_: ; @_Z17sort_pairs_kernelI22helper_blocked_blockedaLj256ELj1ELj10EEvPKT0_PS1_
; %bb.0:
	s_clause 0x1
	s_load_b128 s[16:19], s[0:1], 0x0
	s_load_b32 s9, s[0:1], 0x1c
	s_lshl_b32 s15, s15, 8
	v_and_b32_e32 v8, 0x3ff, v0
	v_mbcnt_lo_u32_b32 v1, -1, 0
	v_bfe_u32 v3, v0, 10, 10
	v_bfe_u32 v0, v0, 20, 10
	s_delay_alu instid0(VALU_DEP_3)
	v_add_nc_u32_e32 v6, -1, v1
	v_and_b32_e32 v4, 15, v1
	v_cmp_eq_u32_e32 vcc_lo, 0, v1
	v_and_b32_e32 v7, 7, v1
	v_and_b32_e32 v5, 16, v1
	v_cmp_gt_i32_e64 s7, 0, v6
	s_delay_alu instid0(VALU_DEP_3) | instskip(NEXT) | instid1(VALU_DEP_3)
	v_cmp_lt_u32_e64 s10, 3, v7
	v_cmp_eq_u32_e64 s4, 0, v5
	s_delay_alu instid0(VALU_DEP_3)
	v_cndmask_b32_e64 v5, v6, v1, s7
	s_waitcnt lgkmcnt(0)
	s_add_u32 s0, s16, s15
	s_addc_u32 s1, s17, 0
	s_lshr_b32 s8, s9, 16
	global_load_u8 v2, v8, s[0:1]
	s_mov_b32 s0, 0
	v_mad_u32_u24 v3, v0, s8, v3
	s_mov_b32 s3, s0
	s_mov_b32 s1, s0
	;; [unrolled: 1-line block ×3, first 2 shown]
	v_mov_b32_e32 v12, s3
	v_dual_mov_b32 v10, s1 :: v_dual_mov_b32 v11, s2
	v_mov_b32_e32 v9, s0
	v_lshrrev_b32_e32 v6, 3, v8
	s_and_b32 s9, s9, 0xffff
	v_lshlrev_b32_e32 v13, 5, v8
	v_cmp_eq_u32_e64 s0, 0, v4
	v_mad_u64_u32 v[0:1], null, v3, s9, v[8:9]
	v_cmp_lt_u32_e64 s1, 1, v4
	v_cmp_lt_u32_e64 s2, 3, v4
	;; [unrolled: 1-line block ×3, first 2 shown]
	v_or_b32_e32 v4, 31, v8
	v_mul_u32_u24_e32 v19, 3, v8
	v_and_b32_e32 v14, 28, v6
	v_cmp_gt_u32_e64 s5, 8, v8
	v_cmp_lt_u32_e64 s6, 31, v8
	v_cmp_eq_u32_e64 s7, 0, v8
	v_cmp_eq_u32_e64 s8, 0, v7
	v_cmp_lt_u32_e64 s9, 1, v7
	v_add_nc_u32_e32 v15, 32, v13
	v_cmp_eq_u32_e64 s11, v4, v8
	v_lshlrev_b32_e32 v16, 2, v5
	v_add_nc_u32_e32 v17, -4, v14
	v_lshrrev_b32_e32 v18, 5, v0
	v_add_nc_u32_e32 v19, v8, v19
	s_mov_b32 s16, 10
	s_waitcnt vmcnt(0)
	v_add_nc_u16 v20, v2, 1
	v_xor_b32_e32 v21, 0xffffff80, v2
	s_branch .LBB73_2
.LBB73_1:                               ;   in Loop: Header=BB73_2 Depth=1
	s_or_b32 exec_lo, exec_lo, s12
	s_waitcnt lgkmcnt(0)
	v_add_nc_u32_e32 v3, v24, v3
	s_add_i32 s16, s16, -1
	s_delay_alu instid0(SALU_CYCLE_1) | instskip(SKIP_3) | instid1(VALU_DEP_1)
	s_cmp_lg_u32 s16, 0
	ds_bpermute_b32 v3, v16, v3
	s_waitcnt lgkmcnt(0)
	v_cndmask_b32_e32 v3, v3, v24, vcc_lo
	v_cndmask_b32_e64 v3, v3, 0, s7
	s_delay_alu instid0(VALU_DEP_1) | instskip(NEXT) | instid1(VALU_DEP_1)
	v_add_nc_u32_e32 v4, v3, v4
	v_add_nc_u32_e32 v5, v4, v5
	s_delay_alu instid0(VALU_DEP_1) | instskip(NEXT) | instid1(VALU_DEP_1)
	v_add_nc_u32_e32 v6, v5, v6
	v_add_nc_u32_e32 v24, v6, v7
	;; [unrolled: 3-line block ×3, first 2 shown]
	s_delay_alu instid0(VALU_DEP_1)
	v_add_nc_u32_e32 v1, v0, v2
	ds_store_2addr_b64 v13, v[3:4], v[5:6] offset0:4 offset1:5
	ds_store_2addr_b64 v15, v[24:25], v[0:1] offset0:2 offset1:3
	s_waitcnt lgkmcnt(0)
	s_barrier
	buffer_gl0_inv
	ds_load_b32 v0, v23
	s_waitcnt lgkmcnt(0)
	s_barrier
	buffer_gl0_inv
	v_add_nc_u32_e32 v0, v0, v22
	ds_store_b8 v0, v21
	s_waitcnt lgkmcnt(0)
	s_barrier
	buffer_gl0_inv
	ds_load_u8 v21, v8
	s_waitcnt lgkmcnt(0)
	s_barrier
	buffer_gl0_inv
	ds_store_b8 v0, v20
	s_waitcnt lgkmcnt(0)
	s_barrier
	buffer_gl0_inv
	ds_load_u8 v20, v8
	s_cbranch_scc0 .LBB73_10
.LBB73_2:                               ; =>This Inner Loop Header: Depth=1
	s_delay_alu instid0(VALU_DEP_1)
	v_and_b32_e32 v0, 1, v21
	v_lshlrev_b32_e32 v1, 30, v21
	v_lshlrev_b32_e32 v2, 29, v21
	;; [unrolled: 1-line block ×4, first 2 shown]
	v_add_co_u32 v0, s12, v0, -1
	s_delay_alu instid0(VALU_DEP_1)
	v_cndmask_b32_e64 v3, 0, 1, s12
	v_not_b32_e32 v7, v1
	v_cmp_gt_i32_e64 s13, 0, v1
	v_not_b32_e32 v1, v2
	v_lshlrev_b32_e32 v6, 26, v21
	v_cmp_ne_u32_e64 s12, 0, v3
	v_ashrrev_i32_e32 v7, 31, v7
	v_lshlrev_b32_e32 v3, 25, v21
	v_ashrrev_i32_e32 v1, 31, v1
	v_cmp_gt_i32_e64 s14, 0, v5
	v_xor_b32_e32 v0, s12, v0
	v_cmp_gt_i32_e64 s12, 0, v2
	v_not_b32_e32 v2, v4
	v_xor_b32_e32 v7, s13, v7
	v_cmp_gt_i32_e64 s13, 0, v4
	v_and_b32_e32 v0, exec_lo, v0
	v_xor_b32_e32 v1, s12, v1
	v_ashrrev_i32_e32 v2, 31, v2
	v_not_b32_e32 v4, v5
	v_not_b32_e32 v5, v6
	v_and_b32_e32 v0, v0, v7
	v_cmp_gt_i32_e64 s12, 0, v6
	v_xor_b32_e32 v2, s13, v2
	v_not_b32_e32 v6, v3
	ds_store_2addr_b64 v13, v[9:10], v[11:12] offset0:4 offset1:5
	ds_store_2addr_b64 v15, v[9:10], v[11:12] offset0:2 offset1:3
	v_and_b32_e32 v0, v0, v1
	v_ashrrev_i32_e32 v1, 31, v4
	v_ashrrev_i32_e32 v4, 31, v5
	v_lshlrev_b32_e32 v5, 24, v21
	s_waitcnt lgkmcnt(0)
	v_and_b32_e32 v0, v0, v2
	v_xor_b32_e32 v1, s14, v1
	v_xor_b32_e32 v2, s12, v4
	v_cmp_gt_i32_e64 s12, 0, v3
	v_not_b32_e32 v3, v5
	v_ashrrev_i32_e32 v4, 31, v6
	v_and_b32_e32 v0, v0, v1
	v_cmp_gt_i32_e64 s13, 0, v5
	s_barrier
	v_ashrrev_i32_e32 v1, 31, v3
	v_xor_b32_e32 v3, s12, v4
	v_and_b32_e32 v0, v0, v2
	buffer_gl0_inv
	v_xor_b32_e32 v1, s13, v1
	; wave barrier
	v_and_b32_e32 v0, v0, v3
	s_delay_alu instid0(VALU_DEP_1) | instskip(SKIP_1) | instid1(VALU_DEP_2)
	v_and_b32_e32 v0, v0, v1
	v_and_b32_e32 v1, 0xff, v21
	v_mbcnt_lo_u32_b32 v22, v0, 0
	s_delay_alu instid0(VALU_DEP_2) | instskip(SKIP_1) | instid1(VALU_DEP_3)
	v_lshl_add_u32 v1, v1, 3, v18
	v_cmp_ne_u32_e64 s13, 0, v0
	v_cmp_eq_u32_e64 s12, 0, v22
	s_delay_alu instid0(VALU_DEP_3) | instskip(NEXT) | instid1(VALU_DEP_2)
	v_lshl_add_u32 v23, v1, 2, 32
	s_and_b32 s13, s13, s12
	s_delay_alu instid0(SALU_CYCLE_1)
	s_and_saveexec_b32 s12, s13
	s_cbranch_execz .LBB73_4
; %bb.3:                                ;   in Loop: Header=BB73_2 Depth=1
	v_bcnt_u32_b32 v0, v0, 0
	ds_store_b32 v23, v0
.LBB73_4:                               ;   in Loop: Header=BB73_2 Depth=1
	s_or_b32 exec_lo, exec_lo, s12
	; wave barrier
	s_waitcnt lgkmcnt(0)
	s_barrier
	buffer_gl0_inv
	ds_load_2addr_b64 v[4:7], v13 offset0:4 offset1:5
	ds_load_2addr_b64 v[0:3], v15 offset0:2 offset1:3
	s_waitcnt lgkmcnt(1)
	v_add_nc_u32_e32 v24, v5, v4
	s_delay_alu instid0(VALU_DEP_1) | instskip(SKIP_1) | instid1(VALU_DEP_1)
	v_add3_u32 v24, v24, v6, v7
	s_waitcnt lgkmcnt(0)
	v_add3_u32 v24, v24, v0, v1
	s_delay_alu instid0(VALU_DEP_1) | instskip(NEXT) | instid1(VALU_DEP_1)
	v_add3_u32 v3, v24, v2, v3
	v_mov_b32_dpp v24, v3 row_shr:1 row_mask:0xf bank_mask:0xf
	s_delay_alu instid0(VALU_DEP_1) | instskip(NEXT) | instid1(VALU_DEP_1)
	v_cndmask_b32_e64 v24, v24, 0, s0
	v_add_nc_u32_e32 v3, v24, v3
	s_delay_alu instid0(VALU_DEP_1) | instskip(NEXT) | instid1(VALU_DEP_1)
	v_mov_b32_dpp v24, v3 row_shr:2 row_mask:0xf bank_mask:0xf
	v_cndmask_b32_e64 v24, 0, v24, s1
	s_delay_alu instid0(VALU_DEP_1) | instskip(NEXT) | instid1(VALU_DEP_1)
	v_add_nc_u32_e32 v3, v3, v24
	v_mov_b32_dpp v24, v3 row_shr:4 row_mask:0xf bank_mask:0xf
	s_delay_alu instid0(VALU_DEP_1) | instskip(NEXT) | instid1(VALU_DEP_1)
	v_cndmask_b32_e64 v24, 0, v24, s2
	v_add_nc_u32_e32 v3, v3, v24
	s_delay_alu instid0(VALU_DEP_1) | instskip(NEXT) | instid1(VALU_DEP_1)
	v_mov_b32_dpp v24, v3 row_shr:8 row_mask:0xf bank_mask:0xf
	v_cndmask_b32_e64 v24, 0, v24, s3
	s_delay_alu instid0(VALU_DEP_1) | instskip(SKIP_3) | instid1(VALU_DEP_1)
	v_add_nc_u32_e32 v3, v3, v24
	ds_swizzle_b32 v24, v3 offset:swizzle(BROADCAST,32,15)
	s_waitcnt lgkmcnt(0)
	v_cndmask_b32_e64 v24, v24, 0, s4
	v_add_nc_u32_e32 v3, v3, v24
	s_and_saveexec_b32 s12, s11
	s_cbranch_execz .LBB73_6
; %bb.5:                                ;   in Loop: Header=BB73_2 Depth=1
	ds_store_b32 v14, v3
.LBB73_6:                               ;   in Loop: Header=BB73_2 Depth=1
	s_or_b32 exec_lo, exec_lo, s12
	s_waitcnt lgkmcnt(0)
	s_barrier
	buffer_gl0_inv
	s_and_saveexec_b32 s12, s5
	s_cbranch_execz .LBB73_8
; %bb.7:                                ;   in Loop: Header=BB73_2 Depth=1
	ds_load_b32 v24, v19
	s_waitcnt lgkmcnt(0)
	v_mov_b32_dpp v25, v24 row_shr:1 row_mask:0xf bank_mask:0xf
	s_delay_alu instid0(VALU_DEP_1) | instskip(NEXT) | instid1(VALU_DEP_1)
	v_cndmask_b32_e64 v25, v25, 0, s8
	v_add_nc_u32_e32 v24, v25, v24
	s_delay_alu instid0(VALU_DEP_1) | instskip(NEXT) | instid1(VALU_DEP_1)
	v_mov_b32_dpp v25, v24 row_shr:2 row_mask:0xf bank_mask:0xf
	v_cndmask_b32_e64 v25, 0, v25, s9
	s_delay_alu instid0(VALU_DEP_1) | instskip(NEXT) | instid1(VALU_DEP_1)
	v_add_nc_u32_e32 v24, v24, v25
	v_mov_b32_dpp v25, v24 row_shr:4 row_mask:0xf bank_mask:0xf
	s_delay_alu instid0(VALU_DEP_1) | instskip(NEXT) | instid1(VALU_DEP_1)
	v_cndmask_b32_e64 v25, 0, v25, s10
	v_add_nc_u32_e32 v24, v24, v25
	ds_store_b32 v19, v24
.LBB73_8:                               ;   in Loop: Header=BB73_2 Depth=1
	s_or_b32 exec_lo, exec_lo, s12
	v_mov_b32_e32 v24, 0
	s_waitcnt lgkmcnt(0)
	s_barrier
	buffer_gl0_inv
	s_and_saveexec_b32 s12, s6
	s_cbranch_execz .LBB73_1
; %bb.9:                                ;   in Loop: Header=BB73_2 Depth=1
	ds_load_b32 v24, v17
	s_branch .LBB73_1
.LBB73_10:
	s_waitcnt lgkmcnt(0)
	v_add_nc_u16 v0, v20, v21
	s_add_u32 s0, s18, s15
	s_addc_u32 s1, s19, 0
	s_delay_alu instid0(VALU_DEP_1) | instskip(SKIP_1) | instid1(VALU_DEP_1)
	v_add_nc_u16 v2, v0, 0xff80
	v_add_co_u32 v0, s0, s0, v8
	v_add_co_ci_u32_e64 v1, null, s1, 0, s0
	global_store_b8 v[0:1], v2, off
	s_nop 0
	s_sendmsg sendmsg(MSG_DEALLOC_VGPRS)
	s_endpgm
	.section	.rodata,"a",@progbits
	.p2align	6, 0x0
	.amdhsa_kernel _Z17sort_pairs_kernelI22helper_blocked_blockedaLj256ELj1ELj10EEvPKT0_PS1_
		.amdhsa_group_segment_fixed_size 8224
		.amdhsa_private_segment_fixed_size 0
		.amdhsa_kernarg_size 272
		.amdhsa_user_sgpr_count 15
		.amdhsa_user_sgpr_dispatch_ptr 0
		.amdhsa_user_sgpr_queue_ptr 0
		.amdhsa_user_sgpr_kernarg_segment_ptr 1
		.amdhsa_user_sgpr_dispatch_id 0
		.amdhsa_user_sgpr_private_segment_size 0
		.amdhsa_wavefront_size32 1
		.amdhsa_uses_dynamic_stack 0
		.amdhsa_enable_private_segment 0
		.amdhsa_system_sgpr_workgroup_id_x 1
		.amdhsa_system_sgpr_workgroup_id_y 0
		.amdhsa_system_sgpr_workgroup_id_z 0
		.amdhsa_system_sgpr_workgroup_info 0
		.amdhsa_system_vgpr_workitem_id 2
		.amdhsa_next_free_vgpr 26
		.amdhsa_next_free_sgpr 20
		.amdhsa_reserve_vcc 1
		.amdhsa_float_round_mode_32 0
		.amdhsa_float_round_mode_16_64 0
		.amdhsa_float_denorm_mode_32 3
		.amdhsa_float_denorm_mode_16_64 3
		.amdhsa_dx10_clamp 1
		.amdhsa_ieee_mode 1
		.amdhsa_fp16_overflow 0
		.amdhsa_workgroup_processor_mode 1
		.amdhsa_memory_ordered 1
		.amdhsa_forward_progress 0
		.amdhsa_shared_vgpr_count 0
		.amdhsa_exception_fp_ieee_invalid_op 0
		.amdhsa_exception_fp_denorm_src 0
		.amdhsa_exception_fp_ieee_div_zero 0
		.amdhsa_exception_fp_ieee_overflow 0
		.amdhsa_exception_fp_ieee_underflow 0
		.amdhsa_exception_fp_ieee_inexact 0
		.amdhsa_exception_int_div_zero 0
	.end_amdhsa_kernel
	.section	.text._Z17sort_pairs_kernelI22helper_blocked_blockedaLj256ELj1ELj10EEvPKT0_PS1_,"axG",@progbits,_Z17sort_pairs_kernelI22helper_blocked_blockedaLj256ELj1ELj10EEvPKT0_PS1_,comdat
.Lfunc_end73:
	.size	_Z17sort_pairs_kernelI22helper_blocked_blockedaLj256ELj1ELj10EEvPKT0_PS1_, .Lfunc_end73-_Z17sort_pairs_kernelI22helper_blocked_blockedaLj256ELj1ELj10EEvPKT0_PS1_
                                        ; -- End function
	.section	.AMDGPU.csdata,"",@progbits
; Kernel info:
; codeLenInByte = 1412
; NumSgprs: 22
; NumVgprs: 26
; ScratchSize: 0
; MemoryBound: 0
; FloatMode: 240
; IeeeMode: 1
; LDSByteSize: 8224 bytes/workgroup (compile time only)
; SGPRBlocks: 2
; VGPRBlocks: 3
; NumSGPRsForWavesPerEU: 22
; NumVGPRsForWavesPerEU: 26
; Occupancy: 16
; WaveLimiterHint : 0
; COMPUTE_PGM_RSRC2:SCRATCH_EN: 0
; COMPUTE_PGM_RSRC2:USER_SGPR: 15
; COMPUTE_PGM_RSRC2:TRAP_HANDLER: 0
; COMPUTE_PGM_RSRC2:TGID_X_EN: 1
; COMPUTE_PGM_RSRC2:TGID_Y_EN: 0
; COMPUTE_PGM_RSRC2:TGID_Z_EN: 0
; COMPUTE_PGM_RSRC2:TIDIG_COMP_CNT: 2
	.section	.text._Z16sort_keys_kernelI22helper_blocked_blockedaLj256ELj3ELj10EEvPKT0_PS1_,"axG",@progbits,_Z16sort_keys_kernelI22helper_blocked_blockedaLj256ELj3ELj10EEvPKT0_PS1_,comdat
	.protected	_Z16sort_keys_kernelI22helper_blocked_blockedaLj256ELj3ELj10EEvPKT0_PS1_ ; -- Begin function _Z16sort_keys_kernelI22helper_blocked_blockedaLj256ELj3ELj10EEvPKT0_PS1_
	.globl	_Z16sort_keys_kernelI22helper_blocked_blockedaLj256ELj3ELj10EEvPKT0_PS1_
	.p2align	8
	.type	_Z16sort_keys_kernelI22helper_blocked_blockedaLj256ELj3ELj10EEvPKT0_PS1_,@function
_Z16sort_keys_kernelI22helper_blocked_blockedaLj256ELj3ELj10EEvPKT0_PS1_: ; @_Z16sort_keys_kernelI22helper_blocked_blockedaLj256ELj3ELj10EEvPKT0_PS1_
; %bb.0:
	s_clause 0x1
	s_load_b128 s[16:19], s[0:1], 0x0
	s_load_b32 s12, s[0:1], 0x1c
	s_mul_i32 s14, s15, 0x300
	v_and_b32_e32 v8, 0x3ff, v0
	v_mbcnt_lo_u32_b32 v4, -1, 0
	v_bfe_u32 v6, v0, 10, 10
	v_bfe_u32 v0, v0, 20, 10
	s_mov_b32 s15, 10
	s_delay_alu instid0(VALU_DEP_3)
	v_add_nc_u32_e32 v15, -1, v4
	v_mul_u32_u24_e32 v5, 3, v4
	v_and_b32_e32 v14, 16, v4
	v_and_b32_e32 v16, 7, v4
	v_cmp_eq_u32_e32 vcc_lo, 0, v4
	v_cmp_gt_i32_e64 s7, 0, v15
	v_and_b32_e32 v7, 15, v4
	v_cmp_eq_u32_e64 s4, 0, v14
	v_cmp_eq_u32_e64 s8, 0, v16
	v_cmp_lt_u32_e64 s9, 1, v16
	v_cndmask_b32_e64 v18, v15, v4, s7
	s_waitcnt lgkmcnt(0)
	s_add_u32 s0, s16, s14
	s_addc_u32 s1, s17, 0
	s_clause 0x2
	global_load_u8 v1, v8, s[0:1] offset:256
	global_load_u8 v2, v8, s[0:1]
	global_load_u8 v3, v8, s[0:1] offset:512
	s_mov_b32 s0, 0
	s_lshr_b32 s11, s12, 16
	s_mov_b32 s1, s0
	s_mov_b32 s2, s0
	;; [unrolled: 1-line block ×3, first 2 shown]
	v_dual_mov_b32 v10, s1 :: v_dual_mov_b32 v9, s0
	v_mad_u32_u24 v6, v0, s11, v6
	v_mov_b32_e32 v12, s3
	v_lshrrev_b32_e32 v17, 5, v8
	v_lshlrev_b32_e32 v13, 5, v8
	s_and_b32 s12, s12, 0xffff
	v_mov_b32_e32 v11, s2
	v_cmp_eq_u32_e64 s0, 0, v7
	v_cmp_lt_u32_e64 s1, 1, v7
	v_cmp_lt_u32_e64 s2, 3, v7
	;; [unrolled: 1-line block ×3, first 2 shown]
	v_or_b32_e32 v7, 31, v8
	v_mul_u32_u24_e32 v20, 0x60, v17
	v_lshlrev_b32_e32 v15, 2, v17
	v_mad_i32_i24 v17, 0xffffffe3, v8, v13
	v_cmp_gt_u32_e64 s5, 8, v8
	v_cmp_lt_u32_e64 s6, 31, v8
	v_cmp_eq_u32_e64 s7, 0, v8
	v_cmp_lt_u32_e64 s10, 3, v16
	v_add_nc_u32_e32 v14, 32, v13
	v_cmp_eq_u32_e64 s11, v7, v8
	v_lshlrev_b32_e32 v16, 2, v18
	v_or_b32_e32 v18, v4, v20
	v_add_nc_u32_e32 v19, -4, v15
	v_add_nc_u32_e32 v20, v5, v20
	v_add_nc_u32_e32 v22, v17, v8
	s_waitcnt vmcnt(2)
	v_lshlrev_b16 v1, 8, v1
	s_waitcnt vmcnt(1)
	s_delay_alu instid0(VALU_DEP_1) | instskip(SKIP_1) | instid1(VALU_DEP_2)
	v_or_b32_e32 v2, v2, v1
	v_mad_u64_u32 v[0:1], null, v6, s12, v[8:9]
	v_and_b32_e32 v1, 0xffff, v2
	s_delay_alu instid0(VALU_DEP_2) | instskip(SKIP_1) | instid1(VALU_DEP_2)
	v_lshrrev_b32_e32 v21, 5, v0
	s_waitcnt vmcnt(0)
	v_lshl_or_b32 v3, v3, 16, v1
	s_branch .LBB74_2
.LBB74_1:                               ;   in Loop: Header=BB74_2 Depth=1
	s_or_b32 exec_lo, exec_lo, s12
	s_waitcnt lgkmcnt(0)
	v_add_nc_u32_e32 v3, v34, v3
	s_add_i32 s15, s15, -1
	s_delay_alu instid0(SALU_CYCLE_1) | instskip(SKIP_3) | instid1(VALU_DEP_1)
	s_cmp_eq_u32 s15, 0
	ds_bpermute_b32 v3, v16, v3
	s_waitcnt lgkmcnt(0)
	v_cndmask_b32_e32 v3, v3, v34, vcc_lo
	v_cndmask_b32_e64 v3, v3, 0, s7
	s_delay_alu instid0(VALU_DEP_1) | instskip(NEXT) | instid1(VALU_DEP_1)
	v_add_nc_u32_e32 v4, v3, v4
	v_add_nc_u32_e32 v5, v4, v5
	s_delay_alu instid0(VALU_DEP_1) | instskip(NEXT) | instid1(VALU_DEP_1)
	v_add_nc_u32_e32 v6, v5, v6
	v_add_nc_u32_e32 v34, v6, v7
	s_delay_alu instid0(VALU_DEP_1) | instskip(NEXT) | instid1(VALU_DEP_1)
	v_add_nc_u32_e32 v35, v34, v0
	v_add_nc_u32_e32 v0, v35, v1
	s_delay_alu instid0(VALU_DEP_1)
	v_add_nc_u32_e32 v1, v0, v2
	ds_store_2addr_b64 v13, v[3:4], v[5:6] offset0:4 offset1:5
	ds_store_2addr_b64 v14, v[34:35], v[0:1] offset0:2 offset1:3
	s_waitcnt lgkmcnt(0)
	s_barrier
	buffer_gl0_inv
	ds_load_b32 v0, v27
	ds_load_b32 v1, v30
	;; [unrolled: 1-line block ×3, first 2 shown]
	s_waitcnt lgkmcnt(0)
	s_barrier
	buffer_gl0_inv
	v_add_nc_u32_e32 v0, v0, v26
	v_add3_u32 v1, v29, v28, v1
	v_add3_u32 v2, v32, v31, v2
	ds_store_b8 v0, v23
	ds_store_b8 v1, v24
	;; [unrolled: 1-line block ×3, first 2 shown]
	s_waitcnt lgkmcnt(0)
	s_barrier
	buffer_gl0_inv
	ds_load_u8 v0, v17 offset:1
	ds_load_u8 v1, v17
	ds_load_u8 v3, v17 offset:2
	s_waitcnt lgkmcnt(2)
	v_xor_b32_e32 v0, 0xffffff80, v0
	s_waitcnt lgkmcnt(1)
	v_xor_b32_e32 v2, 0xffffff80, v1
	s_waitcnt lgkmcnt(0)
	v_xor_b32_e32 v1, 0xffffff80, v3
	v_lshlrev_b16 v3, 8, v0
	s_delay_alu instid0(VALU_DEP_3) | instskip(NEXT) | instid1(VALU_DEP_3)
	v_and_b32_e32 v4, 0xff, v2
	v_and_b32_e32 v5, 0xff, v1
	s_delay_alu instid0(VALU_DEP_2) | instskip(NEXT) | instid1(VALU_DEP_2)
	v_or_b32_e32 v3, v4, v3
	v_lshlrev_b32_e32 v4, 16, v5
	s_delay_alu instid0(VALU_DEP_2) | instskip(NEXT) | instid1(VALU_DEP_1)
	v_and_b32_e32 v3, 0xffff, v3
	v_or_b32_e32 v3, v3, v4
	s_cbranch_scc1 .LBB74_14
.LBB74_2:                               ; =>This Inner Loop Header: Depth=1
	s_delay_alu instid0(VALU_DEP_1) | instskip(SKIP_2) | instid1(VALU_DEP_3)
	v_lshrrev_b32_e32 v0, 8, v3
	v_lshrrev_b32_e32 v1, 16, v3
	v_xor_b32_e32 v2, 0x80, v3
	v_xor_b32_e32 v0, 0x80, v0
	s_delay_alu instid0(VALU_DEP_3)
	v_xor_b32_e32 v1, 0x80, v1
	ds_store_b8 v20, v2
	ds_store_b8 v20, v0 offset:1
	ds_store_b8 v20, v1 offset:2
	; wave barrier
	ds_load_u8 v23, v18
	ds_load_u8 v24, v18 offset:32
	ds_load_u8 v25, v18 offset:64
	; wave barrier
	; wave barrier
	s_waitcnt lgkmcnt(0)
	s_barrier
	buffer_gl0_inv
	ds_store_2addr_b64 v13, v[9:10], v[11:12] offset0:4 offset1:5
	ds_store_2addr_b64 v14, v[9:10], v[11:12] offset0:2 offset1:3
	s_waitcnt lgkmcnt(0)
	s_barrier
	buffer_gl0_inv
	; wave barrier
	v_and_b32_e32 v0, 1, v23
	v_lshlrev_b32_e32 v1, 30, v23
	v_lshlrev_b32_e32 v2, 29, v23
	;; [unrolled: 1-line block ×4, first 2 shown]
	v_add_co_u32 v0, s12, v0, -1
	s_delay_alu instid0(VALU_DEP_1)
	v_cndmask_b32_e64 v4, 0, 1, s12
	v_not_b32_e32 v26, v1
	v_cmp_gt_i32_e64 s13, 0, v1
	v_not_b32_e32 v1, v2
	v_lshlrev_b32_e32 v6, 26, v23
	v_cmp_ne_u32_e64 s12, 0, v4
	v_ashrrev_i32_e32 v26, 31, v26
	v_lshlrev_b32_e32 v7, 25, v23
	v_ashrrev_i32_e32 v1, 31, v1
	v_lshlrev_b32_e32 v4, 24, v23
	v_xor_b32_e32 v0, s12, v0
	v_cmp_gt_i32_e64 s12, 0, v2
	v_not_b32_e32 v2, v3
	v_xor_b32_e32 v26, s13, v26
	v_cmp_gt_i32_e64 s13, 0, v3
	v_and_b32_e32 v0, exec_lo, v0
	v_not_b32_e32 v3, v5
	v_ashrrev_i32_e32 v2, 31, v2
	v_xor_b32_e32 v1, s12, v1
	v_cmp_gt_i32_e64 s12, 0, v5
	v_and_b32_e32 v0, v0, v26
	v_not_b32_e32 v5, v6
	v_ashrrev_i32_e32 v3, 31, v3
	v_xor_b32_e32 v2, s13, v2
	v_cmp_gt_i32_e64 s13, 0, v6
	v_and_b32_e32 v0, v0, v1
	;; [unrolled: 5-line block ×4, first 2 shown]
	v_ashrrev_i32_e32 v2, 31, v2
	v_xor_b32_e32 v1, s12, v1
	s_delay_alu instid0(VALU_DEP_3) | instskip(NEXT) | instid1(VALU_DEP_3)
	v_and_b32_e32 v0, v0, v5
	v_xor_b32_e32 v2, s13, v2
	s_delay_alu instid0(VALU_DEP_2) | instskip(SKIP_1) | instid1(VALU_DEP_2)
	v_and_b32_e32 v0, v0, v1
	v_and_b32_e32 v1, 0xff, v23
	;; [unrolled: 1-line block ×3, first 2 shown]
	s_delay_alu instid0(VALU_DEP_2) | instskip(NEXT) | instid1(VALU_DEP_2)
	v_lshl_add_u32 v1, v1, 3, v21
	v_mbcnt_lo_u32_b32 v26, v0, 0
	v_cmp_ne_u32_e64 s13, 0, v0
	s_delay_alu instid0(VALU_DEP_3) | instskip(NEXT) | instid1(VALU_DEP_3)
	v_lshl_add_u32 v27, v1, 2, 32
	v_cmp_eq_u32_e64 s12, 0, v26
	s_delay_alu instid0(VALU_DEP_1) | instskip(NEXT) | instid1(SALU_CYCLE_1)
	s_and_b32 s13, s13, s12
	s_and_saveexec_b32 s12, s13
	s_cbranch_execz .LBB74_4
; %bb.3:                                ;   in Loop: Header=BB74_2 Depth=1
	v_bcnt_u32_b32 v0, v0, 0
	ds_store_b32 v27, v0
.LBB74_4:                               ;   in Loop: Header=BB74_2 Depth=1
	s_or_b32 exec_lo, exec_lo, s12
	v_and_b32_e32 v0, 1, v24
	v_lshlrev_b32_e32 v2, 30, v24
	v_lshlrev_b32_e32 v4, 29, v24
	;; [unrolled: 1-line block ×4, first 2 shown]
	v_add_co_u32 v0, s12, v0, -1
	s_delay_alu instid0(VALU_DEP_1)
	v_cndmask_b32_e64 v3, 0, 1, s12
	v_not_b32_e32 v7, v2
	v_cmp_gt_i32_e64 s13, 0, v2
	v_not_b32_e32 v2, v4
	v_and_b32_e32 v1, 0xff, v24
	v_cmp_ne_u32_e64 s12, 0, v3
	v_ashrrev_i32_e32 v7, 31, v7
	v_lshlrev_b32_e32 v3, 26, v24
	v_ashrrev_i32_e32 v2, 31, v2
	v_lshlrev_b32_e32 v1, 3, v1
	v_xor_b32_e32 v0, s12, v0
	v_cmp_gt_i32_e64 s12, 0, v4
	v_not_b32_e32 v4, v5
	v_xor_b32_e32 v7, s13, v7
	v_cmp_gt_i32_e64 s13, 0, v5
	v_and_b32_e32 v0, exec_lo, v0
	v_not_b32_e32 v5, v6
	v_ashrrev_i32_e32 v4, 31, v4
	v_xor_b32_e32 v2, s12, v2
	v_cmp_gt_i32_e64 s12, 0, v6
	v_and_b32_e32 v0, v0, v7
	v_lshlrev_b32_e32 v7, 25, v24
	v_ashrrev_i32_e32 v5, 31, v5
	v_xor_b32_e32 v4, s13, v4
	v_not_b32_e32 v6, v3
	v_and_b32_e32 v0, v0, v2
	v_lshlrev_b32_e32 v2, 24, v24
	v_not_b32_e32 v28, v7
	v_xor_b32_e32 v5, s12, v5
	v_cmp_gt_i32_e64 s12, 0, v3
	v_and_b32_e32 v0, v0, v4
	v_ashrrev_i32_e32 v3, 31, v6
	v_cmp_gt_i32_e64 s13, 0, v7
	v_ashrrev_i32_e32 v4, 31, v28
	v_add_lshl_u32 v1, v21, v1, 2
	v_and_b32_e32 v0, v0, v5
	v_not_b32_e32 v5, v2
	v_xor_b32_e32 v3, s12, v3
	v_xor_b32_e32 v4, s13, v4
	v_cmp_gt_i32_e64 s12, 0, v2
	s_delay_alu instid0(VALU_DEP_4) | instskip(NEXT) | instid1(VALU_DEP_4)
	v_ashrrev_i32_e32 v2, 31, v5
	v_and_b32_e32 v0, v0, v3
	; wave barrier
	ds_load_b32 v28, v1 offset:32
	v_add_nc_u32_e32 v30, 32, v1
	v_xor_b32_e32 v2, s12, v2
	v_and_b32_e32 v0, v0, v4
	; wave barrier
	s_delay_alu instid0(VALU_DEP_1) | instskip(NEXT) | instid1(VALU_DEP_1)
	v_and_b32_e32 v0, v0, v2
	v_mbcnt_lo_u32_b32 v29, v0, 0
	v_cmp_ne_u32_e64 s13, 0, v0
	s_delay_alu instid0(VALU_DEP_2) | instskip(NEXT) | instid1(VALU_DEP_1)
	v_cmp_eq_u32_e64 s12, 0, v29
	s_and_b32 s13, s13, s12
	s_delay_alu instid0(SALU_CYCLE_1)
	s_and_saveexec_b32 s12, s13
	s_cbranch_execz .LBB74_6
; %bb.5:                                ;   in Loop: Header=BB74_2 Depth=1
	s_waitcnt lgkmcnt(0)
	v_bcnt_u32_b32 v0, v0, v28
	ds_store_b32 v30, v0
.LBB74_6:                               ;   in Loop: Header=BB74_2 Depth=1
	s_or_b32 exec_lo, exec_lo, s12
	v_and_b32_e32 v0, 1, v25
	v_lshlrev_b32_e32 v2, 30, v25
	v_lshlrev_b32_e32 v4, 29, v25
	;; [unrolled: 1-line block ×4, first 2 shown]
	v_add_co_u32 v0, s12, v0, -1
	s_delay_alu instid0(VALU_DEP_1)
	v_cndmask_b32_e64 v3, 0, 1, s12
	v_not_b32_e32 v7, v2
	v_cmp_gt_i32_e64 s13, 0, v2
	v_not_b32_e32 v2, v4
	v_and_b32_e32 v1, 0xff, v25
	v_cmp_ne_u32_e64 s12, 0, v3
	v_ashrrev_i32_e32 v7, 31, v7
	v_lshlrev_b32_e32 v3, 26, v25
	v_ashrrev_i32_e32 v2, 31, v2
	v_lshlrev_b32_e32 v1, 3, v1
	v_xor_b32_e32 v0, s12, v0
	v_cmp_gt_i32_e64 s12, 0, v4
	v_not_b32_e32 v4, v5
	v_xor_b32_e32 v7, s13, v7
	v_cmp_gt_i32_e64 s13, 0, v5
	v_and_b32_e32 v0, exec_lo, v0
	v_not_b32_e32 v5, v6
	v_ashrrev_i32_e32 v4, 31, v4
	v_xor_b32_e32 v2, s12, v2
	v_cmp_gt_i32_e64 s12, 0, v6
	v_and_b32_e32 v0, v0, v7
	v_lshlrev_b32_e32 v7, 25, v25
	v_ashrrev_i32_e32 v5, 31, v5
	v_xor_b32_e32 v4, s13, v4
	v_not_b32_e32 v6, v3
	v_and_b32_e32 v0, v0, v2
	v_lshlrev_b32_e32 v2, 24, v25
	v_not_b32_e32 v31, v7
	v_xor_b32_e32 v5, s12, v5
	v_cmp_gt_i32_e64 s12, 0, v3
	v_and_b32_e32 v0, v0, v4
	v_ashrrev_i32_e32 v3, 31, v6
	v_cmp_gt_i32_e64 s13, 0, v7
	v_ashrrev_i32_e32 v4, 31, v31
	v_add_lshl_u32 v1, v21, v1, 2
	v_and_b32_e32 v0, v0, v5
	v_not_b32_e32 v5, v2
	v_xor_b32_e32 v3, s12, v3
	v_xor_b32_e32 v4, s13, v4
	v_cmp_gt_i32_e64 s12, 0, v2
	s_delay_alu instid0(VALU_DEP_4) | instskip(NEXT) | instid1(VALU_DEP_4)
	v_ashrrev_i32_e32 v2, 31, v5
	v_and_b32_e32 v0, v0, v3
	; wave barrier
	ds_load_b32 v31, v1 offset:32
	v_add_nc_u32_e32 v33, 32, v1
	v_xor_b32_e32 v2, s12, v2
	v_and_b32_e32 v0, v0, v4
	; wave barrier
	s_delay_alu instid0(VALU_DEP_1) | instskip(NEXT) | instid1(VALU_DEP_1)
	v_and_b32_e32 v0, v0, v2
	v_mbcnt_lo_u32_b32 v32, v0, 0
	v_cmp_ne_u32_e64 s13, 0, v0
	s_delay_alu instid0(VALU_DEP_2) | instskip(NEXT) | instid1(VALU_DEP_1)
	v_cmp_eq_u32_e64 s12, 0, v32
	s_and_b32 s13, s13, s12
	s_delay_alu instid0(SALU_CYCLE_1)
	s_and_saveexec_b32 s12, s13
	s_cbranch_execz .LBB74_8
; %bb.7:                                ;   in Loop: Header=BB74_2 Depth=1
	s_waitcnt lgkmcnt(0)
	v_bcnt_u32_b32 v0, v0, v31
	ds_store_b32 v33, v0
.LBB74_8:                               ;   in Loop: Header=BB74_2 Depth=1
	s_or_b32 exec_lo, exec_lo, s12
	; wave barrier
	s_waitcnt lgkmcnt(0)
	s_barrier
	buffer_gl0_inv
	ds_load_2addr_b64 v[4:7], v13 offset0:4 offset1:5
	ds_load_2addr_b64 v[0:3], v14 offset0:2 offset1:3
	s_waitcnt lgkmcnt(1)
	v_add_nc_u32_e32 v34, v5, v4
	s_delay_alu instid0(VALU_DEP_1) | instskip(SKIP_1) | instid1(VALU_DEP_1)
	v_add3_u32 v34, v34, v6, v7
	s_waitcnt lgkmcnt(0)
	v_add3_u32 v34, v34, v0, v1
	s_delay_alu instid0(VALU_DEP_1) | instskip(NEXT) | instid1(VALU_DEP_1)
	v_add3_u32 v3, v34, v2, v3
	v_mov_b32_dpp v34, v3 row_shr:1 row_mask:0xf bank_mask:0xf
	s_delay_alu instid0(VALU_DEP_1) | instskip(NEXT) | instid1(VALU_DEP_1)
	v_cndmask_b32_e64 v34, v34, 0, s0
	v_add_nc_u32_e32 v3, v34, v3
	s_delay_alu instid0(VALU_DEP_1) | instskip(NEXT) | instid1(VALU_DEP_1)
	v_mov_b32_dpp v34, v3 row_shr:2 row_mask:0xf bank_mask:0xf
	v_cndmask_b32_e64 v34, 0, v34, s1
	s_delay_alu instid0(VALU_DEP_1) | instskip(NEXT) | instid1(VALU_DEP_1)
	v_add_nc_u32_e32 v3, v3, v34
	v_mov_b32_dpp v34, v3 row_shr:4 row_mask:0xf bank_mask:0xf
	s_delay_alu instid0(VALU_DEP_1) | instskip(NEXT) | instid1(VALU_DEP_1)
	v_cndmask_b32_e64 v34, 0, v34, s2
	v_add_nc_u32_e32 v3, v3, v34
	s_delay_alu instid0(VALU_DEP_1) | instskip(NEXT) | instid1(VALU_DEP_1)
	v_mov_b32_dpp v34, v3 row_shr:8 row_mask:0xf bank_mask:0xf
	v_cndmask_b32_e64 v34, 0, v34, s3
	s_delay_alu instid0(VALU_DEP_1) | instskip(SKIP_3) | instid1(VALU_DEP_1)
	v_add_nc_u32_e32 v3, v3, v34
	ds_swizzle_b32 v34, v3 offset:swizzle(BROADCAST,32,15)
	s_waitcnt lgkmcnt(0)
	v_cndmask_b32_e64 v34, v34, 0, s4
	v_add_nc_u32_e32 v3, v3, v34
	s_and_saveexec_b32 s12, s11
	s_cbranch_execz .LBB74_10
; %bb.9:                                ;   in Loop: Header=BB74_2 Depth=1
	ds_store_b32 v15, v3
.LBB74_10:                              ;   in Loop: Header=BB74_2 Depth=1
	s_or_b32 exec_lo, exec_lo, s12
	s_waitcnt lgkmcnt(0)
	s_barrier
	buffer_gl0_inv
	s_and_saveexec_b32 s12, s5
	s_cbranch_execz .LBB74_12
; %bb.11:                               ;   in Loop: Header=BB74_2 Depth=1
	ds_load_b32 v34, v22
	s_waitcnt lgkmcnt(0)
	v_mov_b32_dpp v35, v34 row_shr:1 row_mask:0xf bank_mask:0xf
	s_delay_alu instid0(VALU_DEP_1) | instskip(NEXT) | instid1(VALU_DEP_1)
	v_cndmask_b32_e64 v35, v35, 0, s8
	v_add_nc_u32_e32 v34, v35, v34
	s_delay_alu instid0(VALU_DEP_1) | instskip(NEXT) | instid1(VALU_DEP_1)
	v_mov_b32_dpp v35, v34 row_shr:2 row_mask:0xf bank_mask:0xf
	v_cndmask_b32_e64 v35, 0, v35, s9
	s_delay_alu instid0(VALU_DEP_1) | instskip(NEXT) | instid1(VALU_DEP_1)
	v_add_nc_u32_e32 v34, v34, v35
	v_mov_b32_dpp v35, v34 row_shr:4 row_mask:0xf bank_mask:0xf
	s_delay_alu instid0(VALU_DEP_1) | instskip(NEXT) | instid1(VALU_DEP_1)
	v_cndmask_b32_e64 v35, 0, v35, s10
	v_add_nc_u32_e32 v34, v34, v35
	ds_store_b32 v22, v34
.LBB74_12:                              ;   in Loop: Header=BB74_2 Depth=1
	s_or_b32 exec_lo, exec_lo, s12
	v_mov_b32_e32 v34, 0
	s_waitcnt lgkmcnt(0)
	s_barrier
	buffer_gl0_inv
	s_and_saveexec_b32 s12, s6
	s_cbranch_execz .LBB74_1
; %bb.13:                               ;   in Loop: Header=BB74_2 Depth=1
	ds_load_b32 v34, v19
	s_branch .LBB74_1
.LBB74_14:
	s_add_u32 s0, s18, s14
	s_addc_u32 s1, s19, 0
	v_add_co_u32 v3, s0, s0, v8
	s_delay_alu instid0(VALU_DEP_1)
	v_add_co_ci_u32_e64 v4, null, s1, 0, s0
	s_clause 0x2
	global_store_b8 v[3:4], v2, off
	global_store_b8 v[3:4], v0, off offset:256
	global_store_b8 v[3:4], v1, off offset:512
	s_nop 0
	s_sendmsg sendmsg(MSG_DEALLOC_VGPRS)
	s_endpgm
	.section	.rodata,"a",@progbits
	.p2align	6, 0x0
	.amdhsa_kernel _Z16sort_keys_kernelI22helper_blocked_blockedaLj256ELj3ELj10EEvPKT0_PS1_
		.amdhsa_group_segment_fixed_size 8224
		.amdhsa_private_segment_fixed_size 0
		.amdhsa_kernarg_size 272
		.amdhsa_user_sgpr_count 15
		.amdhsa_user_sgpr_dispatch_ptr 0
		.amdhsa_user_sgpr_queue_ptr 0
		.amdhsa_user_sgpr_kernarg_segment_ptr 1
		.amdhsa_user_sgpr_dispatch_id 0
		.amdhsa_user_sgpr_private_segment_size 0
		.amdhsa_wavefront_size32 1
		.amdhsa_uses_dynamic_stack 0
		.amdhsa_enable_private_segment 0
		.amdhsa_system_sgpr_workgroup_id_x 1
		.amdhsa_system_sgpr_workgroup_id_y 0
		.amdhsa_system_sgpr_workgroup_id_z 0
		.amdhsa_system_sgpr_workgroup_info 0
		.amdhsa_system_vgpr_workitem_id 2
		.amdhsa_next_free_vgpr 36
		.amdhsa_next_free_sgpr 20
		.amdhsa_reserve_vcc 1
		.amdhsa_float_round_mode_32 0
		.amdhsa_float_round_mode_16_64 0
		.amdhsa_float_denorm_mode_32 3
		.amdhsa_float_denorm_mode_16_64 3
		.amdhsa_dx10_clamp 1
		.amdhsa_ieee_mode 1
		.amdhsa_fp16_overflow 0
		.amdhsa_workgroup_processor_mode 1
		.amdhsa_memory_ordered 1
		.amdhsa_forward_progress 0
		.amdhsa_shared_vgpr_count 0
		.amdhsa_exception_fp_ieee_invalid_op 0
		.amdhsa_exception_fp_denorm_src 0
		.amdhsa_exception_fp_ieee_div_zero 0
		.amdhsa_exception_fp_ieee_overflow 0
		.amdhsa_exception_fp_ieee_underflow 0
		.amdhsa_exception_fp_ieee_inexact 0
		.amdhsa_exception_int_div_zero 0
	.end_amdhsa_kernel
	.section	.text._Z16sort_keys_kernelI22helper_blocked_blockedaLj256ELj3ELj10EEvPKT0_PS1_,"axG",@progbits,_Z16sort_keys_kernelI22helper_blocked_blockedaLj256ELj3ELj10EEvPKT0_PS1_,comdat
.Lfunc_end74:
	.size	_Z16sort_keys_kernelI22helper_blocked_blockedaLj256ELj3ELj10EEvPKT0_PS1_, .Lfunc_end74-_Z16sort_keys_kernelI22helper_blocked_blockedaLj256ELj3ELj10EEvPKT0_PS1_
                                        ; -- End function
	.section	.AMDGPU.csdata,"",@progbits
; Kernel info:
; codeLenInByte = 2380
; NumSgprs: 22
; NumVgprs: 36
; ScratchSize: 0
; MemoryBound: 0
; FloatMode: 240
; IeeeMode: 1
; LDSByteSize: 8224 bytes/workgroup (compile time only)
; SGPRBlocks: 2
; VGPRBlocks: 4
; NumSGPRsForWavesPerEU: 22
; NumVGPRsForWavesPerEU: 36
; Occupancy: 16
; WaveLimiterHint : 1
; COMPUTE_PGM_RSRC2:SCRATCH_EN: 0
; COMPUTE_PGM_RSRC2:USER_SGPR: 15
; COMPUTE_PGM_RSRC2:TRAP_HANDLER: 0
; COMPUTE_PGM_RSRC2:TGID_X_EN: 1
; COMPUTE_PGM_RSRC2:TGID_Y_EN: 0
; COMPUTE_PGM_RSRC2:TGID_Z_EN: 0
; COMPUTE_PGM_RSRC2:TIDIG_COMP_CNT: 2
	.section	.text._Z17sort_pairs_kernelI22helper_blocked_blockedaLj256ELj3ELj10EEvPKT0_PS1_,"axG",@progbits,_Z17sort_pairs_kernelI22helper_blocked_blockedaLj256ELj3ELj10EEvPKT0_PS1_,comdat
	.protected	_Z17sort_pairs_kernelI22helper_blocked_blockedaLj256ELj3ELj10EEvPKT0_PS1_ ; -- Begin function _Z17sort_pairs_kernelI22helper_blocked_blockedaLj256ELj3ELj10EEvPKT0_PS1_
	.globl	_Z17sort_pairs_kernelI22helper_blocked_blockedaLj256ELj3ELj10EEvPKT0_PS1_
	.p2align	8
	.type	_Z17sort_pairs_kernelI22helper_blocked_blockedaLj256ELj3ELj10EEvPKT0_PS1_,@function
_Z17sort_pairs_kernelI22helper_blocked_blockedaLj256ELj3ELj10EEvPKT0_PS1_: ; @_Z17sort_pairs_kernelI22helper_blocked_blockedaLj256ELj3ELj10EEvPKT0_PS1_
; %bb.0:
	s_clause 0x1
	s_load_b128 s[16:19], s[0:1], 0x0
	s_load_b32 s12, s[0:1], 0x1c
	s_mul_i32 s14, s15, 0x300
	v_and_b32_e32 v8, 0x3ff, v0
	v_mbcnt_lo_u32_b32 v4, -1, 0
	v_bfe_u32 v6, v0, 10, 10
	v_bfe_u32 v0, v0, 20, 10
	s_mov_b32 s15, 10
	s_delay_alu instid0(VALU_DEP_3)
	v_add_nc_u32_e32 v15, -1, v4
	v_and_b32_e32 v16, 7, v4
	v_mul_u32_u24_e32 v5, 3, v4
	v_and_b32_e32 v14, 16, v4
	v_cmp_eq_u32_e32 vcc_lo, 0, v4
	v_cmp_gt_i32_e64 s7, 0, v15
	v_cmp_eq_u32_e64 s8, 0, v16
	v_cmp_lt_u32_e64 s9, 1, v16
	v_cmp_lt_u32_e64 s10, 3, v16
	v_cmp_eq_u32_e64 s4, 0, v14
	v_cndmask_b32_e64 v15, v15, v4, s7
	s_waitcnt lgkmcnt(0)
	s_add_u32 s0, s16, s14
	s_addc_u32 s1, s17, 0
	s_lshr_b32 s13, s12, 16
	s_clause 0x2
	global_load_u8 v2, v8, s[0:1]
	global_load_u8 v1, v8, s[0:1] offset:256
	global_load_u8 v3, v8, s[0:1] offset:512
	s_mov_b32 s0, 0
	v_mad_u32_u24 v6, v0, s13, v6
	s_mov_b32 s3, s0
	s_mov_b32 s2, s0
	v_dual_mov_b32 v12, s3 :: v_dual_and_b32 v7, 15, v4
	s_mov_b32 s1, s0
	s_delay_alu instid0(SALU_CYCLE_1) | instskip(SKIP_1) | instid1(VALU_DEP_3)
	v_dual_mov_b32 v11, s2 :: v_dual_mov_b32 v10, s1
	v_mov_b32_e32 v9, s0
	v_cmp_eq_u32_e64 s0, 0, v7
	v_cmp_lt_u32_e64 s1, 1, v7
	v_cmp_lt_u32_e64 s2, 3, v7
	;; [unrolled: 1-line block ×3, first 2 shown]
	v_or_b32_e32 v7, 31, v8
	v_lshrrev_b32_e32 v17, 5, v8
	s_and_b32 s12, s12, 0xffff
	v_lshlrev_b32_e32 v13, 5, v8
	v_cmp_gt_u32_e64 s5, 8, v8
	v_cmp_eq_u32_e64 s11, v7, v8
	v_mul_u32_u24_e32 v20, 0x60, v17
	v_lshlrev_b32_e32 v17, 2, v17
	v_mad_i32_i24 v16, 0xffffffe3, v8, v13
	v_cmp_lt_u32_e64 s6, 31, v8
	v_cmp_eq_u32_e64 s7, 0, v8
	v_add_nc_u32_e32 v14, 32, v13
	v_lshlrev_b32_e32 v15, 2, v15
	v_add_nc_u32_e32 v22, v16, v8
	s_waitcnt vmcnt(2)
	v_add_nc_u16 v7, v2, 1
	s_waitcnt vmcnt(1)
	v_lshlrev_b16 v18, 8, v1
	s_delay_alu instid0(VALU_DEP_2) | instskip(SKIP_3) | instid1(VALU_DEP_3)
	v_and_b32_e32 v1, 0xff, v7
	s_waitcnt vmcnt(0)
	v_add_nc_u16 v7, v3, 1
	v_lshlrev_b32_e32 v3, 16, v3
	v_or_b32_e32 v19, v18, v1
	v_mad_u64_u32 v[0:1], null, v6, s12, v[8:9]
	v_or_b32_e32 v1, v2, v18
	v_and_b32_e32 v2, 0xff, v7
	s_delay_alu instid0(VALU_DEP_4)
	v_add_nc_u16 v6, v19, 0x100
	v_or_b32_e32 v18, v4, v20
	v_add_nc_u32_e32 v19, -4, v17
	v_and_b32_e32 v1, 0xffff, v1
	v_lshlrev_b32_e32 v2, 16, v2
	v_and_b32_e32 v4, 0xffff, v6
	v_add_nc_u32_e32 v20, v5, v20
	v_lshrrev_b32_e32 v21, 5, v0
	v_or_b32_e32 v7, v1, v3
	s_delay_alu instid0(VALU_DEP_4)
	v_or_b32_e32 v0, v4, v2
	s_branch .LBB75_2
.LBB75_1:                               ;   in Loop: Header=BB75_2 Depth=1
	s_or_b32 exec_lo, exec_lo, s12
	s_waitcnt lgkmcnt(0)
	v_add_nc_u32_e32 v3, v37, v3
	s_add_i32 s15, s15, -1
	s_delay_alu instid0(SALU_CYCLE_1) | instskip(SKIP_3) | instid1(VALU_DEP_1)
	s_cmp_eq_u32 s15, 0
	ds_bpermute_b32 v3, v15, v3
	s_waitcnt lgkmcnt(0)
	v_cndmask_b32_e32 v3, v3, v37, vcc_lo
	v_cndmask_b32_e64 v3, v3, 0, s7
	s_delay_alu instid0(VALU_DEP_1) | instskip(NEXT) | instid1(VALU_DEP_1)
	v_add_nc_u32_e32 v4, v3, v4
	v_add_nc_u32_e32 v5, v4, v5
	s_delay_alu instid0(VALU_DEP_1) | instskip(NEXT) | instid1(VALU_DEP_1)
	v_add_nc_u32_e32 v6, v5, v6
	v_add_nc_u32_e32 v37, v6, v7
	;; [unrolled: 3-line block ×3, first 2 shown]
	s_delay_alu instid0(VALU_DEP_1)
	v_add_nc_u32_e32 v1, v0, v2
	ds_store_2addr_b64 v13, v[3:4], v[5:6] offset0:4 offset1:5
	ds_store_2addr_b64 v14, v[37:38], v[0:1] offset0:2 offset1:3
	s_waitcnt lgkmcnt(0)
	s_barrier
	buffer_gl0_inv
	ds_load_b32 v0, v30
	ds_load_b32 v1, v33
	;; [unrolled: 1-line block ×3, first 2 shown]
	s_waitcnt lgkmcnt(0)
	s_barrier
	buffer_gl0_inv
	v_add_nc_u32_e32 v0, v0, v29
	v_add3_u32 v1, v32, v31, v1
	v_add3_u32 v2, v35, v34, v2
	ds_store_b8 v0, v23
	ds_store_b8 v1, v24
	;; [unrolled: 1-line block ×3, first 2 shown]
	s_waitcnt lgkmcnt(0)
	s_barrier
	buffer_gl0_inv
	ds_load_u8 v5, v16
	ds_load_u8 v4, v16 offset:1
	ds_load_u8 v7, v16 offset:2
	s_waitcnt lgkmcnt(0)
	s_barrier
	buffer_gl0_inv
	ds_store_b8 v0, v26
	ds_store_b8 v1, v27
	;; [unrolled: 1-line block ×3, first 2 shown]
	s_waitcnt lgkmcnt(0)
	s_barrier
	buffer_gl0_inv
	ds_load_u8 v1, v16 offset:1
	ds_load_u8 v3, v16
	ds_load_u8 v2, v16 offset:2
	v_xor_b32_e32 v6, 0xffffff80, v5
	v_xor_b32_e32 v4, 0xffffff80, v4
	v_xor_b32_e32 v5, 0xffffff80, v7
	s_delay_alu instid0(VALU_DEP_3) | instskip(NEXT) | instid1(VALU_DEP_3)
	v_and_b32_e32 v23, 0xff, v6
	v_lshlrev_b16 v7, 8, v4
	s_delay_alu instid0(VALU_DEP_3) | instskip(SKIP_2) | instid1(VALU_DEP_3)
	v_and_b32_e32 v24, 0xff, v5
	s_waitcnt lgkmcnt(2)
	v_lshlrev_b16 v0, 8, v1
	v_or_b32_e32 v7, v23, v7
	s_waitcnt lgkmcnt(0)
	v_lshlrev_b32_e32 v23, 16, v2
	s_delay_alu instid0(VALU_DEP_3) | instskip(SKIP_2) | instid1(VALU_DEP_3)
	v_or_b32_e32 v0, v3, v0
	v_lshlrev_b32_e32 v24, 16, v24
	v_and_b32_e32 v7, 0xffff, v7
	v_and_b32_e32 v0, 0xffff, v0
	s_delay_alu instid0(VALU_DEP_2) | instskip(NEXT) | instid1(VALU_DEP_2)
	v_or_b32_e32 v7, v7, v24
	v_or_b32_e32 v0, v0, v23
	s_cbranch_scc1 .LBB75_14
.LBB75_2:                               ; =>This Inner Loop Header: Depth=1
	s_delay_alu instid0(VALU_DEP_2) | instskip(SKIP_2) | instid1(VALU_DEP_3)
	v_lshrrev_b32_e32 v1, 8, v7
	v_lshrrev_b32_e32 v2, 16, v7
	v_xor_b32_e32 v3, 0x80, v7
	v_xor_b32_e32 v1, 0x80, v1
	s_delay_alu instid0(VALU_DEP_3)
	v_xor_b32_e32 v2, 0x80, v2
	ds_store_b8 v20, v3
	ds_store_b8 v20, v1 offset:1
	ds_store_b8 v20, v2 offset:2
	; wave barrier
	ds_load_u8 v23, v18
	v_lshrrev_b32_e32 v1, 8, v0
	ds_load_u8 v24, v18 offset:32
	ds_load_u8 v25, v18 offset:64
	; wave barrier
	ds_store_b8 v20, v0
	ds_store_b8 v20, v1 offset:1
	ds_store_b8_d16_hi v20, v0 offset:2
	; wave barrier
	s_waitcnt lgkmcnt(5)
	v_and_b32_e32 v2, 1, v23
	v_lshlrev_b32_e32 v3, 30, v23
	v_lshlrev_b32_e32 v4, 29, v23
	;; [unrolled: 1-line block ×4, first 2 shown]
	v_add_co_u32 v2, s12, v2, -1
	s_delay_alu instid0(VALU_DEP_1)
	v_cndmask_b32_e64 v6, 0, 1, s12
	v_not_b32_e32 v28, v3
	v_cmp_gt_i32_e64 s13, 0, v3
	v_not_b32_e32 v3, v4
	v_lshlrev_b32_e32 v26, 26, v23
	v_cmp_ne_u32_e64 s12, 0, v6
	v_ashrrev_i32_e32 v28, 31, v28
	v_lshlrev_b32_e32 v27, 25, v23
	v_ashrrev_i32_e32 v3, 31, v3
	v_lshlrev_b32_e32 v6, 24, v23
	v_xor_b32_e32 v2, s12, v2
	v_cmp_gt_i32_e64 s12, 0, v4
	v_not_b32_e32 v4, v5
	v_xor_b32_e32 v28, s13, v28
	v_cmp_gt_i32_e64 s13, 0, v5
	v_and_b32_e32 v2, exec_lo, v2
	v_not_b32_e32 v5, v7
	v_ashrrev_i32_e32 v4, 31, v4
	v_xor_b32_e32 v3, s12, v3
	v_cmp_gt_i32_e64 s12, 0, v7
	v_and_b32_e32 v2, v2, v28
	v_not_b32_e32 v7, v26
	v_ashrrev_i32_e32 v5, 31, v5
	v_xor_b32_e32 v4, s13, v4
	v_cmp_gt_i32_e64 s13, 0, v26
	v_and_b32_e32 v2, v2, v3
	;; [unrolled: 5-line block ×4, first 2 shown]
	v_ashrrev_i32_e32 v4, 31, v4
	v_xor_b32_e32 v3, s12, v3
	ds_load_u8 v26, v18
	ds_load_u8 v27, v18 offset:32
	ds_load_u8 v28, v18 offset:64
	s_waitcnt lgkmcnt(0)
	v_and_b32_e32 v2, v2, v7
	v_xor_b32_e32 v0, s13, v4
	s_barrier
	buffer_gl0_inv
	ds_store_2addr_b64 v13, v[9:10], v[11:12] offset0:4 offset1:5
	ds_store_2addr_b64 v14, v[9:10], v[11:12] offset0:2 offset1:3
	v_and_b32_e32 v1, v2, v3
	s_waitcnt lgkmcnt(0)
	s_barrier
	buffer_gl0_inv
	v_and_b32_e32 v0, v1, v0
	v_and_b32_e32 v1, 0xff, v23
	; wave barrier
	s_delay_alu instid0(VALU_DEP_2) | instskip(NEXT) | instid1(VALU_DEP_2)
	v_mbcnt_lo_u32_b32 v29, v0, 0
	v_lshl_add_u32 v1, v1, 3, v21
	v_cmp_ne_u32_e64 s13, 0, v0
	s_delay_alu instid0(VALU_DEP_3) | instskip(NEXT) | instid1(VALU_DEP_3)
	v_cmp_eq_u32_e64 s12, 0, v29
	v_lshl_add_u32 v30, v1, 2, 32
	s_delay_alu instid0(VALU_DEP_2) | instskip(NEXT) | instid1(SALU_CYCLE_1)
	s_and_b32 s13, s13, s12
	s_and_saveexec_b32 s12, s13
	s_cbranch_execz .LBB75_4
; %bb.3:                                ;   in Loop: Header=BB75_2 Depth=1
	v_bcnt_u32_b32 v0, v0, 0
	ds_store_b32 v30, v0
.LBB75_4:                               ;   in Loop: Header=BB75_2 Depth=1
	s_or_b32 exec_lo, exec_lo, s12
	v_and_b32_e32 v0, 1, v24
	v_lshlrev_b32_e32 v2, 30, v24
	v_lshlrev_b32_e32 v4, 29, v24
	;; [unrolled: 1-line block ×4, first 2 shown]
	v_add_co_u32 v0, s12, v0, -1
	s_delay_alu instid0(VALU_DEP_1)
	v_cndmask_b32_e64 v3, 0, 1, s12
	v_not_b32_e32 v7, v2
	v_cmp_gt_i32_e64 s13, 0, v2
	v_not_b32_e32 v2, v4
	v_and_b32_e32 v1, 0xff, v24
	v_cmp_ne_u32_e64 s12, 0, v3
	v_ashrrev_i32_e32 v7, 31, v7
	v_lshlrev_b32_e32 v3, 26, v24
	v_ashrrev_i32_e32 v2, 31, v2
	v_lshlrev_b32_e32 v1, 3, v1
	v_xor_b32_e32 v0, s12, v0
	v_cmp_gt_i32_e64 s12, 0, v4
	v_not_b32_e32 v4, v5
	v_xor_b32_e32 v7, s13, v7
	v_cmp_gt_i32_e64 s13, 0, v5
	v_and_b32_e32 v0, exec_lo, v0
	v_not_b32_e32 v5, v6
	v_ashrrev_i32_e32 v4, 31, v4
	v_xor_b32_e32 v2, s12, v2
	v_cmp_gt_i32_e64 s12, 0, v6
	v_and_b32_e32 v0, v0, v7
	v_lshlrev_b32_e32 v7, 25, v24
	v_ashrrev_i32_e32 v5, 31, v5
	v_xor_b32_e32 v4, s13, v4
	v_not_b32_e32 v6, v3
	v_and_b32_e32 v0, v0, v2
	v_lshlrev_b32_e32 v2, 24, v24
	v_not_b32_e32 v31, v7
	v_xor_b32_e32 v5, s12, v5
	v_cmp_gt_i32_e64 s12, 0, v3
	v_and_b32_e32 v0, v0, v4
	v_ashrrev_i32_e32 v3, 31, v6
	v_cmp_gt_i32_e64 s13, 0, v7
	v_ashrrev_i32_e32 v4, 31, v31
	v_add_lshl_u32 v1, v21, v1, 2
	v_and_b32_e32 v0, v0, v5
	v_not_b32_e32 v5, v2
	v_xor_b32_e32 v3, s12, v3
	v_xor_b32_e32 v4, s13, v4
	v_cmp_gt_i32_e64 s12, 0, v2
	s_delay_alu instid0(VALU_DEP_4) | instskip(NEXT) | instid1(VALU_DEP_4)
	v_ashrrev_i32_e32 v2, 31, v5
	v_and_b32_e32 v0, v0, v3
	; wave barrier
	ds_load_b32 v31, v1 offset:32
	v_add_nc_u32_e32 v33, 32, v1
	v_xor_b32_e32 v2, s12, v2
	v_and_b32_e32 v0, v0, v4
	; wave barrier
	s_delay_alu instid0(VALU_DEP_1) | instskip(NEXT) | instid1(VALU_DEP_1)
	v_and_b32_e32 v0, v0, v2
	v_mbcnt_lo_u32_b32 v32, v0, 0
	v_cmp_ne_u32_e64 s13, 0, v0
	s_delay_alu instid0(VALU_DEP_2) | instskip(NEXT) | instid1(VALU_DEP_1)
	v_cmp_eq_u32_e64 s12, 0, v32
	s_and_b32 s13, s13, s12
	s_delay_alu instid0(SALU_CYCLE_1)
	s_and_saveexec_b32 s12, s13
	s_cbranch_execz .LBB75_6
; %bb.5:                                ;   in Loop: Header=BB75_2 Depth=1
	s_waitcnt lgkmcnt(0)
	v_bcnt_u32_b32 v0, v0, v31
	ds_store_b32 v33, v0
.LBB75_6:                               ;   in Loop: Header=BB75_2 Depth=1
	s_or_b32 exec_lo, exec_lo, s12
	v_and_b32_e32 v0, 1, v25
	v_lshlrev_b32_e32 v2, 30, v25
	v_lshlrev_b32_e32 v4, 29, v25
	v_lshlrev_b32_e32 v5, 28, v25
	v_lshlrev_b32_e32 v6, 27, v25
	v_add_co_u32 v0, s12, v0, -1
	s_delay_alu instid0(VALU_DEP_1)
	v_cndmask_b32_e64 v3, 0, 1, s12
	v_not_b32_e32 v7, v2
	v_cmp_gt_i32_e64 s13, 0, v2
	v_not_b32_e32 v2, v4
	v_and_b32_e32 v1, 0xff, v25
	v_cmp_ne_u32_e64 s12, 0, v3
	v_ashrrev_i32_e32 v7, 31, v7
	v_lshlrev_b32_e32 v3, 26, v25
	v_ashrrev_i32_e32 v2, 31, v2
	v_lshlrev_b32_e32 v1, 3, v1
	v_xor_b32_e32 v0, s12, v0
	v_cmp_gt_i32_e64 s12, 0, v4
	v_not_b32_e32 v4, v5
	v_xor_b32_e32 v7, s13, v7
	v_cmp_gt_i32_e64 s13, 0, v5
	v_and_b32_e32 v0, exec_lo, v0
	v_not_b32_e32 v5, v6
	v_ashrrev_i32_e32 v4, 31, v4
	v_xor_b32_e32 v2, s12, v2
	v_cmp_gt_i32_e64 s12, 0, v6
	v_and_b32_e32 v0, v0, v7
	v_lshlrev_b32_e32 v7, 25, v25
	v_ashrrev_i32_e32 v5, 31, v5
	v_xor_b32_e32 v4, s13, v4
	v_not_b32_e32 v6, v3
	v_and_b32_e32 v0, v0, v2
	v_lshlrev_b32_e32 v2, 24, v25
	v_not_b32_e32 v34, v7
	v_xor_b32_e32 v5, s12, v5
	v_cmp_gt_i32_e64 s12, 0, v3
	v_and_b32_e32 v0, v0, v4
	v_ashrrev_i32_e32 v3, 31, v6
	v_cmp_gt_i32_e64 s13, 0, v7
	v_ashrrev_i32_e32 v4, 31, v34
	v_add_lshl_u32 v1, v21, v1, 2
	v_and_b32_e32 v0, v0, v5
	v_not_b32_e32 v5, v2
	v_xor_b32_e32 v3, s12, v3
	v_xor_b32_e32 v4, s13, v4
	v_cmp_gt_i32_e64 s12, 0, v2
	s_delay_alu instid0(VALU_DEP_4) | instskip(NEXT) | instid1(VALU_DEP_4)
	v_ashrrev_i32_e32 v2, 31, v5
	v_and_b32_e32 v0, v0, v3
	; wave barrier
	ds_load_b32 v34, v1 offset:32
	v_add_nc_u32_e32 v36, 32, v1
	v_xor_b32_e32 v2, s12, v2
	v_and_b32_e32 v0, v0, v4
	; wave barrier
	s_delay_alu instid0(VALU_DEP_1) | instskip(NEXT) | instid1(VALU_DEP_1)
	v_and_b32_e32 v0, v0, v2
	v_mbcnt_lo_u32_b32 v35, v0, 0
	v_cmp_ne_u32_e64 s13, 0, v0
	s_delay_alu instid0(VALU_DEP_2) | instskip(NEXT) | instid1(VALU_DEP_1)
	v_cmp_eq_u32_e64 s12, 0, v35
	s_and_b32 s13, s13, s12
	s_delay_alu instid0(SALU_CYCLE_1)
	s_and_saveexec_b32 s12, s13
	s_cbranch_execz .LBB75_8
; %bb.7:                                ;   in Loop: Header=BB75_2 Depth=1
	s_waitcnt lgkmcnt(0)
	v_bcnt_u32_b32 v0, v0, v34
	ds_store_b32 v36, v0
.LBB75_8:                               ;   in Loop: Header=BB75_2 Depth=1
	s_or_b32 exec_lo, exec_lo, s12
	; wave barrier
	s_waitcnt lgkmcnt(0)
	s_barrier
	buffer_gl0_inv
	ds_load_2addr_b64 v[4:7], v13 offset0:4 offset1:5
	ds_load_2addr_b64 v[0:3], v14 offset0:2 offset1:3
	s_waitcnt lgkmcnt(1)
	v_add_nc_u32_e32 v37, v5, v4
	s_delay_alu instid0(VALU_DEP_1) | instskip(SKIP_1) | instid1(VALU_DEP_1)
	v_add3_u32 v37, v37, v6, v7
	s_waitcnt lgkmcnt(0)
	v_add3_u32 v37, v37, v0, v1
	s_delay_alu instid0(VALU_DEP_1) | instskip(NEXT) | instid1(VALU_DEP_1)
	v_add3_u32 v3, v37, v2, v3
	v_mov_b32_dpp v37, v3 row_shr:1 row_mask:0xf bank_mask:0xf
	s_delay_alu instid0(VALU_DEP_1) | instskip(NEXT) | instid1(VALU_DEP_1)
	v_cndmask_b32_e64 v37, v37, 0, s0
	v_add_nc_u32_e32 v3, v37, v3
	s_delay_alu instid0(VALU_DEP_1) | instskip(NEXT) | instid1(VALU_DEP_1)
	v_mov_b32_dpp v37, v3 row_shr:2 row_mask:0xf bank_mask:0xf
	v_cndmask_b32_e64 v37, 0, v37, s1
	s_delay_alu instid0(VALU_DEP_1) | instskip(NEXT) | instid1(VALU_DEP_1)
	v_add_nc_u32_e32 v3, v3, v37
	v_mov_b32_dpp v37, v3 row_shr:4 row_mask:0xf bank_mask:0xf
	s_delay_alu instid0(VALU_DEP_1) | instskip(NEXT) | instid1(VALU_DEP_1)
	v_cndmask_b32_e64 v37, 0, v37, s2
	v_add_nc_u32_e32 v3, v3, v37
	s_delay_alu instid0(VALU_DEP_1) | instskip(NEXT) | instid1(VALU_DEP_1)
	v_mov_b32_dpp v37, v3 row_shr:8 row_mask:0xf bank_mask:0xf
	v_cndmask_b32_e64 v37, 0, v37, s3
	s_delay_alu instid0(VALU_DEP_1) | instskip(SKIP_3) | instid1(VALU_DEP_1)
	v_add_nc_u32_e32 v3, v3, v37
	ds_swizzle_b32 v37, v3 offset:swizzle(BROADCAST,32,15)
	s_waitcnt lgkmcnt(0)
	v_cndmask_b32_e64 v37, v37, 0, s4
	v_add_nc_u32_e32 v3, v3, v37
	s_and_saveexec_b32 s12, s11
	s_cbranch_execz .LBB75_10
; %bb.9:                                ;   in Loop: Header=BB75_2 Depth=1
	ds_store_b32 v17, v3
.LBB75_10:                              ;   in Loop: Header=BB75_2 Depth=1
	s_or_b32 exec_lo, exec_lo, s12
	s_waitcnt lgkmcnt(0)
	s_barrier
	buffer_gl0_inv
	s_and_saveexec_b32 s12, s5
	s_cbranch_execz .LBB75_12
; %bb.11:                               ;   in Loop: Header=BB75_2 Depth=1
	ds_load_b32 v37, v22
	s_waitcnt lgkmcnt(0)
	v_mov_b32_dpp v38, v37 row_shr:1 row_mask:0xf bank_mask:0xf
	s_delay_alu instid0(VALU_DEP_1) | instskip(NEXT) | instid1(VALU_DEP_1)
	v_cndmask_b32_e64 v38, v38, 0, s8
	v_add_nc_u32_e32 v37, v38, v37
	s_delay_alu instid0(VALU_DEP_1) | instskip(NEXT) | instid1(VALU_DEP_1)
	v_mov_b32_dpp v38, v37 row_shr:2 row_mask:0xf bank_mask:0xf
	v_cndmask_b32_e64 v38, 0, v38, s9
	s_delay_alu instid0(VALU_DEP_1) | instskip(NEXT) | instid1(VALU_DEP_1)
	v_add_nc_u32_e32 v37, v37, v38
	v_mov_b32_dpp v38, v37 row_shr:4 row_mask:0xf bank_mask:0xf
	s_delay_alu instid0(VALU_DEP_1) | instskip(NEXT) | instid1(VALU_DEP_1)
	v_cndmask_b32_e64 v38, 0, v38, s10
	v_add_nc_u32_e32 v37, v37, v38
	ds_store_b32 v22, v37
.LBB75_12:                              ;   in Loop: Header=BB75_2 Depth=1
	s_or_b32 exec_lo, exec_lo, s12
	v_mov_b32_e32 v37, 0
	s_waitcnt lgkmcnt(0)
	s_barrier
	buffer_gl0_inv
	s_and_saveexec_b32 s12, s6
	s_cbranch_execz .LBB75_1
; %bb.13:                               ;   in Loop: Header=BB75_2 Depth=1
	ds_load_b32 v37, v19
	s_branch .LBB75_1
.LBB75_14:
	s_add_u32 s0, s18, s14
	v_add_nc_u16 v0, v6, v3
	s_addc_u32 s1, s19, 0
	v_add_co_u32 v6, s0, s0, v8
	s_delay_alu instid0(VALU_DEP_1)
	v_add_co_ci_u32_e64 v7, null, s1, 0, s0
	v_add_nc_u16 v1, v4, v1
	v_add_nc_u16 v2, v5, v2
	s_clause 0x2
	global_store_b8 v[6:7], v0, off
	global_store_b8 v[6:7], v1, off offset:256
	global_store_b8 v[6:7], v2, off offset:512
	s_nop 0
	s_sendmsg sendmsg(MSG_DEALLOC_VGPRS)
	s_endpgm
	.section	.rodata,"a",@progbits
	.p2align	6, 0x0
	.amdhsa_kernel _Z17sort_pairs_kernelI22helper_blocked_blockedaLj256ELj3ELj10EEvPKT0_PS1_
		.amdhsa_group_segment_fixed_size 8224
		.amdhsa_private_segment_fixed_size 0
		.amdhsa_kernarg_size 272
		.amdhsa_user_sgpr_count 15
		.amdhsa_user_sgpr_dispatch_ptr 0
		.amdhsa_user_sgpr_queue_ptr 0
		.amdhsa_user_sgpr_kernarg_segment_ptr 1
		.amdhsa_user_sgpr_dispatch_id 0
		.amdhsa_user_sgpr_private_segment_size 0
		.amdhsa_wavefront_size32 1
		.amdhsa_uses_dynamic_stack 0
		.amdhsa_enable_private_segment 0
		.amdhsa_system_sgpr_workgroup_id_x 1
		.amdhsa_system_sgpr_workgroup_id_y 0
		.amdhsa_system_sgpr_workgroup_id_z 0
		.amdhsa_system_sgpr_workgroup_info 0
		.amdhsa_system_vgpr_workitem_id 2
		.amdhsa_next_free_vgpr 39
		.amdhsa_next_free_sgpr 20
		.amdhsa_reserve_vcc 1
		.amdhsa_float_round_mode_32 0
		.amdhsa_float_round_mode_16_64 0
		.amdhsa_float_denorm_mode_32 3
		.amdhsa_float_denorm_mode_16_64 3
		.amdhsa_dx10_clamp 1
		.amdhsa_ieee_mode 1
		.amdhsa_fp16_overflow 0
		.amdhsa_workgroup_processor_mode 1
		.amdhsa_memory_ordered 1
		.amdhsa_forward_progress 0
		.amdhsa_shared_vgpr_count 0
		.amdhsa_exception_fp_ieee_invalid_op 0
		.amdhsa_exception_fp_denorm_src 0
		.amdhsa_exception_fp_ieee_div_zero 0
		.amdhsa_exception_fp_ieee_overflow 0
		.amdhsa_exception_fp_ieee_underflow 0
		.amdhsa_exception_fp_ieee_inexact 0
		.amdhsa_exception_int_div_zero 0
	.end_amdhsa_kernel
	.section	.text._Z17sort_pairs_kernelI22helper_blocked_blockedaLj256ELj3ELj10EEvPKT0_PS1_,"axG",@progbits,_Z17sort_pairs_kernelI22helper_blocked_blockedaLj256ELj3ELj10EEvPKT0_PS1_,comdat
.Lfunc_end75:
	.size	_Z17sort_pairs_kernelI22helper_blocked_blockedaLj256ELj3ELj10EEvPKT0_PS1_, .Lfunc_end75-_Z17sort_pairs_kernelI22helper_blocked_blockedaLj256ELj3ELj10EEvPKT0_PS1_
                                        ; -- End function
	.section	.AMDGPU.csdata,"",@progbits
; Kernel info:
; codeLenInByte = 2632
; NumSgprs: 22
; NumVgprs: 39
; ScratchSize: 0
; MemoryBound: 0
; FloatMode: 240
; IeeeMode: 1
; LDSByteSize: 8224 bytes/workgroup (compile time only)
; SGPRBlocks: 2
; VGPRBlocks: 4
; NumSGPRsForWavesPerEU: 22
; NumVGPRsForWavesPerEU: 39
; Occupancy: 16
; WaveLimiterHint : 1
; COMPUTE_PGM_RSRC2:SCRATCH_EN: 0
; COMPUTE_PGM_RSRC2:USER_SGPR: 15
; COMPUTE_PGM_RSRC2:TRAP_HANDLER: 0
; COMPUTE_PGM_RSRC2:TGID_X_EN: 1
; COMPUTE_PGM_RSRC2:TGID_Y_EN: 0
; COMPUTE_PGM_RSRC2:TGID_Z_EN: 0
; COMPUTE_PGM_RSRC2:TIDIG_COMP_CNT: 2
	.section	.text._Z16sort_keys_kernelI22helper_blocked_blockedaLj256ELj4ELj10EEvPKT0_PS1_,"axG",@progbits,_Z16sort_keys_kernelI22helper_blocked_blockedaLj256ELj4ELj10EEvPKT0_PS1_,comdat
	.protected	_Z16sort_keys_kernelI22helper_blocked_blockedaLj256ELj4ELj10EEvPKT0_PS1_ ; -- Begin function _Z16sort_keys_kernelI22helper_blocked_blockedaLj256ELj4ELj10EEvPKT0_PS1_
	.globl	_Z16sort_keys_kernelI22helper_blocked_blockedaLj256ELj4ELj10EEvPKT0_PS1_
	.p2align	8
	.type	_Z16sort_keys_kernelI22helper_blocked_blockedaLj256ELj4ELj10EEvPKT0_PS1_,@function
_Z16sort_keys_kernelI22helper_blocked_blockedaLj256ELj4ELj10EEvPKT0_PS1_: ; @_Z16sort_keys_kernelI22helper_blocked_blockedaLj256ELj4ELj10EEvPKT0_PS1_
; %bb.0:
	s_load_b128 s[16:19], s[0:1], 0x0
	s_lshl_b32 s20, s15, 10
	s_load_b32 s15, s[0:1], 0x1c
	v_and_b32_e32 v8, 0x3ff, v0
	v_mbcnt_lo_u32_b32 v5, -1, 0
	v_bfe_u32 v7, v0, 10, 10
	v_bfe_u32 v0, v0, 20, 10
	s_mov_b32 s21, 10
	s_delay_alu instid0(VALU_DEP_3)
	v_and_b32_e32 v19, 16, v5
	v_add_nc_u32_e32 v20, -1, v5
	v_and_b32_e32 v6, 3, v5
	v_and_b32_e32 v18, 15, v5
	v_cmp_eq_u32_e32 vcc_lo, 0, v5
	v_cmp_eq_u32_e64 s8, 0, v19
	v_cmp_gt_i32_e64 s11, 0, v20
	v_and_b32_e32 v21, 7, v5
	v_cmp_eq_u32_e64 s4, 0, v18
	v_cmp_lt_u32_e64 s5, 1, v18
	v_cmp_lt_u32_e64 s6, 3, v18
	s_waitcnt lgkmcnt(0)
	s_add_u32 s0, s16, s20
	s_addc_u32 s1, s17, 0
	s_lshr_b32 s16, s15, 16
	s_clause 0x3
	global_load_u8 v1, v8, s[0:1] offset:256
	global_load_u8 v2, v8, s[0:1] offset:768
	global_load_u8 v3, v8, s[0:1]
	global_load_u8 v4, v8, s[0:1] offset:512
	s_mov_b32 s0, 0
	v_mad_u32_u24 v7, v0, s16, v7
	s_mov_b32 s1, s0
	s_mov_b32 s2, s0
	;; [unrolled: 1-line block ×3, first 2 shown]
	v_dual_mov_b32 v10, s1 :: v_dual_mov_b32 v9, s0
	v_lshrrev_b32_e32 v19, 3, v8
	s_and_b32 s15, s15, 0xffff
	v_dual_mov_b32 v12, s3 :: v_dual_and_b32 v13, 28, v5
	v_mov_b32_e32 v11, s2
	v_cmp_eq_u32_e64 s0, 3, v6
	v_cmp_eq_u32_e64 s1, 2, v6
	;; [unrolled: 1-line block ×4, first 2 shown]
	v_lshlrev_b32_e32 v17, 5, v8
	v_or_b32_e32 v6, 31, v8
	v_cndmask_b32_e64 v5, v20, v5, s11
	v_mul_i32_i24_e32 v23, 0xffffffe4, v8
	v_and_b32_e32 v19, 28, v19
	v_or_b32_e32 v14, 32, v13
	v_or_b32_e32 v15, 64, v13
	;; [unrolled: 1-line block ×3, first 2 shown]
	v_cmp_lt_u32_e64 s7, 7, v18
	v_cmp_gt_u32_e64 s9, 8, v8
	v_cmp_lt_u32_e64 s10, 31, v8
	v_cmp_eq_u32_e64 s11, 0, v8
	v_cmp_eq_u32_e64 s12, 0, v21
	v_cmp_lt_u32_e64 s13, 1, v21
	v_cmp_lt_u32_e64 s14, 3, v21
	v_add_nc_u32_e32 v18, 32, v17
	v_lshlrev_b32_e32 v20, 2, v5
	v_add_nc_u32_e32 v21, -4, v19
	v_add_nc_u32_e32 v23, v17, v23
	s_waitcnt vmcnt(3)
	v_lshlrev_b16 v1, 8, v1
	s_waitcnt vmcnt(2)
	v_lshlrev_b16 v2, 8, v2
	s_waitcnt vmcnt(1)
	s_delay_alu instid0(VALU_DEP_2) | instskip(SKIP_1) | instid1(VALU_DEP_2)
	v_or_b32_e32 v3, v3, v1
	s_waitcnt vmcnt(0)
	v_or_b32_e32 v2, v4, v2
	v_mad_u64_u32 v[0:1], null, v7, s15, v[8:9]
	v_cmp_eq_u32_e64 s15, v6, v8
	v_and_b32_e32 v1, 0xffff, v3
	s_delay_alu instid0(VALU_DEP_4) | instskip(NEXT) | instid1(VALU_DEP_4)
	v_lshlrev_b32_e32 v2, 16, v2
	v_lshrrev_b32_e32 v22, 5, v0
	s_delay_alu instid0(VALU_DEP_2)
	v_or_b32_e32 v0, v1, v2
	s_branch .LBB76_2
.LBB76_1:                               ;   in Loop: Header=BB76_2 Depth=1
	s_or_b32 exec_lo, exec_lo, s16
	s_waitcnt lgkmcnt(0)
	v_add_nc_u32_e32 v3, v39, v3
	s_add_i32 s21, s21, -1
	s_delay_alu instid0(SALU_CYCLE_1) | instskip(SKIP_3) | instid1(VALU_DEP_1)
	s_cmp_eq_u32 s21, 0
	ds_bpermute_b32 v3, v20, v3
	s_waitcnt lgkmcnt(0)
	v_cndmask_b32_e32 v3, v3, v39, vcc_lo
	v_cndmask_b32_e64 v3, v3, 0, s11
	s_delay_alu instid0(VALU_DEP_1) | instskip(NEXT) | instid1(VALU_DEP_1)
	v_add_nc_u32_e32 v4, v3, v4
	v_add_nc_u32_e32 v5, v4, v5
	s_delay_alu instid0(VALU_DEP_1) | instskip(NEXT) | instid1(VALU_DEP_1)
	v_add_nc_u32_e32 v6, v5, v6
	v_add_nc_u32_e32 v39, v6, v7
	;; [unrolled: 3-line block ×3, first 2 shown]
	s_delay_alu instid0(VALU_DEP_1)
	v_add_nc_u32_e32 v1, v0, v2
	ds_store_2addr_b64 v17, v[3:4], v[5:6] offset0:4 offset1:5
	ds_store_2addr_b64 v18, v[39:40], v[0:1] offset0:2 offset1:3
	s_waitcnt lgkmcnt(0)
	s_barrier
	buffer_gl0_inv
	ds_load_b32 v0, v26
	ds_load_b32 v1, v30
	;; [unrolled: 1-line block ×4, first 2 shown]
	s_waitcnt lgkmcnt(0)
	s_barrier
	buffer_gl0_inv
	v_add_nc_u32_e32 v0, v0, v25
	v_add3_u32 v1, v29, v28, v1
	v_add3_u32 v2, v33, v32, v2
	;; [unrolled: 1-line block ×3, first 2 shown]
	ds_store_b8 v0, v24
	ds_store_b8 v1, v27
	;; [unrolled: 1-line block ×4, first 2 shown]
	s_waitcnt lgkmcnt(0)
	s_barrier
	buffer_gl0_inv
	ds_load_b32 v0, v23
	s_waitcnt lgkmcnt(0)
	v_lshrrev_b32_e32 v2, 8, v0
	v_lshrrev_b32_e32 v3, 24, v0
	;; [unrolled: 1-line block ×3, first 2 shown]
	v_xor_b32_e32 v1, 0xffffff80, v0
	s_delay_alu instid0(VALU_DEP_4) | instskip(NEXT) | instid1(VALU_DEP_4)
	v_xor_b32_e32 v2, 0xffffff80, v2
	v_xor_b32_e32 v3, 0xffffff80, v3
	s_delay_alu instid0(VALU_DEP_4) | instskip(NEXT) | instid1(VALU_DEP_4)
	v_xor_b32_e32 v4, 0xffffff80, v4
	v_and_b32_e32 v0, 0xff, v1
	s_delay_alu instid0(VALU_DEP_4) | instskip(NEXT) | instid1(VALU_DEP_4)
	v_lshlrev_b16 v5, 8, v2
	v_lshlrev_b16 v6, 8, v3
	s_delay_alu instid0(VALU_DEP_4) | instskip(NEXT) | instid1(VALU_DEP_3)
	v_and_b32_e32 v7, 0xff, v4
	v_or_b32_e32 v0, v0, v5
	s_delay_alu instid0(VALU_DEP_2) | instskip(NEXT) | instid1(VALU_DEP_2)
	v_or_b32_e32 v5, v7, v6
	v_and_b32_e32 v0, 0xffff, v0
	s_delay_alu instid0(VALU_DEP_2) | instskip(NEXT) | instid1(VALU_DEP_1)
	v_lshlrev_b32_e32 v5, 16, v5
	v_or_b32_e32 v0, v0, v5
	s_cbranch_scc1 .LBB76_16
.LBB76_2:                               ; =>This Inner Loop Header: Depth=1
	s_delay_alu instid0(VALU_DEP_1) | instskip(SKIP_3) | instid1(VALU_DEP_4)
	v_lshrrev_b32_e32 v1, 8, v0
	v_xor_b32_e32 v2, 0x80, v0
	v_lshrrev_b32_e32 v3, 16, v0
	v_lshrrev_b32_e32 v0, 24, v0
	v_xor_b32_e32 v1, 0x80, v1
	s_delay_alu instid0(VALU_DEP_4) | instskip(NEXT) | instid1(VALU_DEP_4)
	v_and_b32_e32 v2, 0xff, v2
	v_xor_b32_e32 v3, 0x80, v3
	s_delay_alu instid0(VALU_DEP_4)
	v_xor_b32_e32 v0, 0x80, v0
	s_barrier
	v_and_b32_e32 v1, 0xff, v1
	ds_bpermute_b32 v4, v13, v2
	v_and_b32_e32 v3, 0xff, v3
	v_and_b32_e32 v0, 0xffff, v0
	s_waitcnt lgkmcnt(0)
	buffer_gl0_inv
	ds_bpermute_b32 v5, v13, v1
	ds_store_2addr_b64 v17, v[9:10], v[11:12] offset0:4 offset1:5
	ds_store_2addr_b64 v18, v[9:10], v[11:12] offset0:2 offset1:3
	ds_bpermute_b32 v6, v13, v3
	ds_bpermute_b32 v7, v13, v0
	s_waitcnt lgkmcnt(0)
	s_barrier
	buffer_gl0_inv
	; wave barrier
	v_perm_b32 v5, v5, v4, 0x3020104
	s_delay_alu instid0(VALU_DEP_1) | instskip(SKIP_2) | instid1(VALU_DEP_1)
	v_cndmask_b32_e64 v4, v4, v5, s2
	ds_bpermute_b32 v5, v14, v2
	v_perm_b32 v6, v6, v4, 0x3020104
	v_cndmask_b32_e64 v4, v4, v6, s1
	s_delay_alu instid0(VALU_DEP_1) | instskip(SKIP_4) | instid1(VALU_DEP_2)
	v_perm_b32 v6, v7, v4, 0x3020104
	ds_bpermute_b32 v7, v14, v1
	v_cndmask_b32_e64 v4, v4, v6, s0
	s_waitcnt lgkmcnt(1)
	v_lshlrev_b16 v5, 8, v5
	v_and_b32_e32 v6, 0xff, v4
	s_delay_alu instid0(VALU_DEP_1) | instskip(NEXT) | instid1(VALU_DEP_1)
	v_or_b32_e32 v5, v6, v5
	v_and_b32_e32 v5, 0xffff, v5
	s_delay_alu instid0(VALU_DEP_1) | instskip(NEXT) | instid1(VALU_DEP_1)
	v_and_or_b32 v5, 0xffff0000, v4, v5
	v_cndmask_b32_e64 v4, v4, v5, s3
	s_waitcnt lgkmcnt(0)
	v_lshlrev_b16 v5, 8, v7
	ds_bpermute_b32 v7, v14, v3
	v_and_b32_e32 v6, 0xff, v4
	s_delay_alu instid0(VALU_DEP_1) | instskip(NEXT) | instid1(VALU_DEP_1)
	v_or_b32_e32 v5, v6, v5
	v_and_b32_e32 v5, 0xffff, v5
	s_delay_alu instid0(VALU_DEP_1) | instskip(NEXT) | instid1(VALU_DEP_1)
	v_and_or_b32 v5, 0xffff0000, v4, v5
	v_cndmask_b32_e64 v4, v4, v5, s2
	s_waitcnt lgkmcnt(0)
	v_lshlrev_b16 v5, 8, v7
	ds_bpermute_b32 v7, v14, v0
	v_and_b32_e32 v6, 0xff, v4
	s_delay_alu instid0(VALU_DEP_1) | instskip(NEXT) | instid1(VALU_DEP_1)
	v_or_b32_e32 v5, v6, v5
	v_and_b32_e32 v5, 0xffff, v5
	s_delay_alu instid0(VALU_DEP_1) | instskip(NEXT) | instid1(VALU_DEP_1)
	v_and_or_b32 v5, 0xffff0000, v4, v5
	v_cndmask_b32_e64 v4, v4, v5, s1
	s_waitcnt lgkmcnt(0)
	v_lshlrev_b16 v5, 8, v7
	s_delay_alu instid0(VALU_DEP_2) | instskip(NEXT) | instid1(VALU_DEP_1)
	v_and_b32_e32 v6, 0xff, v4
	v_or_b32_e32 v5, v6, v5
	ds_bpermute_b32 v6, v15, v2
	ds_bpermute_b32 v2, v16, v2
	v_and_b32_e32 v5, 0xffff, v5
	s_delay_alu instid0(VALU_DEP_1) | instskip(NEXT) | instid1(VALU_DEP_1)
	v_and_or_b32 v5, 0xffff0000, v4, v5
	v_cndmask_b32_e64 v4, v4, v5, s0
	s_delay_alu instid0(VALU_DEP_1)
	v_lshrrev_b32_e32 v5, 16, v4
	s_waitcnt lgkmcnt(1)
	v_and_b32_e32 v6, 0xff, v6
	s_waitcnt lgkmcnt(0)
	v_lshlrev_b16 v2, 8, v2
	v_and_b32_e32 v5, 0xffffff00, v5
	s_delay_alu instid0(VALU_DEP_1) | instskip(SKIP_3) | instid1(VALU_DEP_1)
	v_or_b32_e32 v5, v6, v5
	ds_bpermute_b32 v6, v15, v1
	ds_bpermute_b32 v1, v16, v1
	v_lshlrev_b32_e32 v5, 16, v5
	v_and_or_b32 v5, 0xffff, v4, v5
	s_delay_alu instid0(VALU_DEP_1) | instskip(NEXT) | instid1(VALU_DEP_1)
	v_cndmask_b32_e64 v4, v4, v5, s3
	v_lshrrev_b32_e32 v5, 16, v4
	s_waitcnt lgkmcnt(1)
	v_and_b32_e32 v6, 0xff, v6
	s_waitcnt lgkmcnt(0)
	v_lshlrev_b16 v1, 8, v1
	v_and_b32_e32 v5, 0xffffff00, v5
	s_delay_alu instid0(VALU_DEP_1) | instskip(SKIP_3) | instid1(VALU_DEP_1)
	v_or_b32_e32 v5, v6, v5
	ds_bpermute_b32 v6, v15, v3
	ds_bpermute_b32 v3, v16, v3
	v_lshlrev_b32_e32 v5, 16, v5
	v_and_or_b32 v5, 0xffff, v4, v5
	s_delay_alu instid0(VALU_DEP_1) | instskip(NEXT) | instid1(VALU_DEP_1)
	v_cndmask_b32_e64 v4, v4, v5, s2
	;; [unrolled: 14-line block ×3, first 2 shown]
	v_lshrrev_b32_e32 v5, 16, v4
	s_waitcnt lgkmcnt(1)
	v_and_b32_e32 v6, 0xff, v6
	s_waitcnt lgkmcnt(0)
	v_lshlrev_b16 v0, 8, v0
	v_and_b32_e32 v5, 0xffffff00, v5
	s_delay_alu instid0(VALU_DEP_1) | instskip(NEXT) | instid1(VALU_DEP_1)
	v_or_b32_e32 v5, v6, v5
	v_lshlrev_b32_e32 v5, 16, v5
	s_delay_alu instid0(VALU_DEP_1) | instskip(NEXT) | instid1(VALU_DEP_1)
	v_and_or_b32 v5, 0xffff, v4, v5
	v_cndmask_b32_e64 v4, v4, v5, s0
	s_delay_alu instid0(VALU_DEP_1) | instskip(NEXT) | instid1(VALU_DEP_1)
	v_lshrrev_b32_e32 v5, 16, v4
	v_and_b32_e32 v5, 0xff, v5
	s_delay_alu instid0(VALU_DEP_1) | instskip(NEXT) | instid1(VALU_DEP_1)
	v_or_b32_e32 v2, v5, v2
	v_lshlrev_b32_e32 v2, 16, v2
	s_delay_alu instid0(VALU_DEP_1) | instskip(NEXT) | instid1(VALU_DEP_1)
	v_and_or_b32 v2, 0xffff, v4, v2
	v_cndmask_b32_e64 v2, v4, v2, s3
	s_delay_alu instid0(VALU_DEP_1) | instskip(NEXT) | instid1(VALU_DEP_1)
	v_lshrrev_b32_e32 v4, 16, v2
	;; [unrolled: 9-line block ×4, first 2 shown]
	v_and_b32_e32 v2, 0xff, v2
	s_delay_alu instid0(VALU_DEP_1) | instskip(NEXT) | instid1(VALU_DEP_1)
	v_or_b32_e32 v0, v2, v0
	v_lshlrev_b32_e32 v0, 16, v0
	s_delay_alu instid0(VALU_DEP_1) | instskip(NEXT) | instid1(VALU_DEP_1)
	v_and_or_b32 v0, 0xffff, v1, v0
	v_cndmask_b32_e64 v24, v1, v0, s0
	s_delay_alu instid0(VALU_DEP_1)
	v_and_b32_e32 v0, 1, v24
	v_lshlrev_b32_e32 v1, 30, v24
	v_lshlrev_b32_e32 v2, 29, v24
	;; [unrolled: 1-line block ×4, first 2 shown]
	v_add_co_u32 v0, s16, v0, -1
	s_delay_alu instid0(VALU_DEP_1)
	v_cndmask_b32_e64 v4, 0, 1, s16
	v_not_b32_e32 v25, v1
	v_cmp_gt_i32_e64 s17, 0, v1
	v_not_b32_e32 v1, v2
	v_lshlrev_b32_e32 v6, 26, v24
	v_cmp_ne_u32_e64 s16, 0, v4
	v_ashrrev_i32_e32 v25, 31, v25
	v_lshlrev_b32_e32 v7, 25, v24
	v_ashrrev_i32_e32 v1, 31, v1
	v_lshlrev_b32_e32 v4, 24, v24
	v_xor_b32_e32 v0, s16, v0
	v_cmp_gt_i32_e64 s16, 0, v2
	v_not_b32_e32 v2, v3
	v_xor_b32_e32 v25, s17, v25
	v_cmp_gt_i32_e64 s17, 0, v3
	v_and_b32_e32 v0, exec_lo, v0
	v_not_b32_e32 v3, v5
	v_ashrrev_i32_e32 v2, 31, v2
	v_xor_b32_e32 v1, s16, v1
	v_cmp_gt_i32_e64 s16, 0, v5
	v_and_b32_e32 v0, v0, v25
	v_not_b32_e32 v5, v6
	v_ashrrev_i32_e32 v3, 31, v3
	v_xor_b32_e32 v2, s17, v2
	v_cmp_gt_i32_e64 s17, 0, v6
	v_and_b32_e32 v0, v0, v1
	;; [unrolled: 5-line block ×4, first 2 shown]
	v_ashrrev_i32_e32 v2, 31, v2
	v_xor_b32_e32 v1, s16, v1
	s_delay_alu instid0(VALU_DEP_3) | instskip(NEXT) | instid1(VALU_DEP_3)
	v_and_b32_e32 v0, v0, v5
	v_xor_b32_e32 v2, s17, v2
	s_delay_alu instid0(VALU_DEP_2) | instskip(SKIP_1) | instid1(VALU_DEP_2)
	v_and_b32_e32 v0, v0, v1
	v_and_b32_e32 v1, 0xff, v24
	;; [unrolled: 1-line block ×3, first 2 shown]
	s_delay_alu instid0(VALU_DEP_2) | instskip(NEXT) | instid1(VALU_DEP_2)
	v_lshl_add_u32 v1, v1, 3, v22
	v_mbcnt_lo_u32_b32 v25, v0, 0
	v_cmp_ne_u32_e64 s17, 0, v0
	s_delay_alu instid0(VALU_DEP_3) | instskip(NEXT) | instid1(VALU_DEP_3)
	v_lshl_add_u32 v26, v1, 2, 32
	v_cmp_eq_u32_e64 s16, 0, v25
	s_delay_alu instid0(VALU_DEP_1) | instskip(NEXT) | instid1(SALU_CYCLE_1)
	s_and_b32 s17, s16, s17
	s_and_saveexec_b32 s16, s17
	s_cbranch_execz .LBB76_4
; %bb.3:                                ;   in Loop: Header=BB76_2 Depth=1
	v_bcnt_u32_b32 v0, v0, 0
	ds_store_b32 v26, v0
.LBB76_4:                               ;   in Loop: Header=BB76_2 Depth=1
	s_or_b32 exec_lo, exec_lo, s16
	v_bfe_u32 v0, v24, 8, 1
	v_lshrrev_b32_e32 v27, 8, v24
	; wave barrier
	s_delay_alu instid0(VALU_DEP_2) | instskip(NEXT) | instid1(VALU_DEP_1)
	v_add_co_u32 v0, s16, v0, -1
	v_cndmask_b32_e64 v1, 0, 1, s16
	s_delay_alu instid0(VALU_DEP_3)
	v_lshlrev_b32_e32 v2, 30, v27
	v_lshlrev_b32_e32 v3, 29, v27
	;; [unrolled: 1-line block ×4, first 2 shown]
	v_cmp_ne_u32_e64 s16, 0, v1
	v_not_b32_e32 v1, v2
	v_cmp_gt_i32_e64 s17, 0, v2
	v_not_b32_e32 v2, v3
	v_lshlrev_b32_e32 v6, 26, v27
	v_xor_b32_e32 v0, s16, v0
	v_ashrrev_i32_e32 v1, 31, v1
	v_cmp_gt_i32_e64 s16, 0, v3
	v_not_b32_e32 v3, v4
	v_ashrrev_i32_e32 v2, 31, v2
	v_and_b32_e32 v0, exec_lo, v0
	v_xor_b32_e32 v1, s17, v1
	v_cmp_gt_i32_e64 s17, 0, v4
	v_not_b32_e32 v4, v5
	v_ashrrev_i32_e32 v3, 31, v3
	v_xor_b32_e32 v2, s16, v2
	v_and_b32_e32 v0, v0, v1
	v_cmp_gt_i32_e64 s16, 0, v5
	v_not_b32_e32 v1, v6
	v_ashrrev_i32_e32 v4, 31, v4
	v_xor_b32_e32 v3, s17, v3
	v_and_b32_e32 v0, v0, v2
	v_lshlrev_b32_e32 v2, 25, v27
	v_cmp_gt_i32_e64 s17, 0, v6
	v_ashrrev_i32_e32 v1, 31, v1
	v_xor_b32_e32 v4, s16, v4
	v_and_b32_e32 v0, v0, v3
	v_not_b32_e32 v5, v2
	v_lshlrev_b32_e32 v6, 24, v27
	v_lshrrev_b32_e32 v3, 5, v24
	v_xor_b32_e32 v1, s17, v1
	v_and_b32_e32 v0, v0, v4
	v_cmp_gt_i32_e64 s16, 0, v2
	v_ashrrev_i32_e32 v2, 31, v5
	v_not_b32_e32 v4, v6
	v_and_b32_e32 v3, 0x7f8, v3
	v_and_b32_e32 v0, v0, v1
	s_delay_alu instid0(VALU_DEP_4) | instskip(SKIP_3) | instid1(VALU_DEP_4)
	v_xor_b32_e32 v1, s16, v2
	v_cmp_gt_i32_e64 s16, 0, v6
	v_ashrrev_i32_e32 v2, 31, v4
	v_add_lshl_u32 v3, v3, v22, 2
	v_and_b32_e32 v0, v0, v1
	s_delay_alu instid0(VALU_DEP_3) | instskip(SKIP_3) | instid1(VALU_DEP_1)
	v_xor_b32_e32 v1, s16, v2
	ds_load_b32 v28, v3 offset:32
	v_add_nc_u32_e32 v30, 32, v3
	; wave barrier
	v_and_b32_e32 v0, v0, v1
	v_mbcnt_lo_u32_b32 v29, v0, 0
	v_cmp_ne_u32_e64 s17, 0, v0
	s_delay_alu instid0(VALU_DEP_2) | instskip(NEXT) | instid1(VALU_DEP_1)
	v_cmp_eq_u32_e64 s16, 0, v29
	s_and_b32 s17, s17, s16
	s_delay_alu instid0(SALU_CYCLE_1)
	s_and_saveexec_b32 s16, s17
	s_cbranch_execz .LBB76_6
; %bb.5:                                ;   in Loop: Header=BB76_2 Depth=1
	s_waitcnt lgkmcnt(0)
	v_bcnt_u32_b32 v0, v0, v28
	ds_store_b32 v30, v0
.LBB76_6:                               ;   in Loop: Header=BB76_2 Depth=1
	s_or_b32 exec_lo, exec_lo, s16
	v_bfe_u32 v0, v24, 16, 1
	v_lshrrev_b32_e32 v31, 16, v24
	; wave barrier
	s_delay_alu instid0(VALU_DEP_2) | instskip(NEXT) | instid1(VALU_DEP_1)
	v_add_co_u32 v0, s16, v0, -1
	v_cndmask_b32_e64 v1, 0, 1, s16
	s_delay_alu instid0(VALU_DEP_3)
	v_lshlrev_b32_e32 v2, 30, v31
	v_lshlrev_b32_e32 v3, 29, v31
	;; [unrolled: 1-line block ×4, first 2 shown]
	v_cmp_ne_u32_e64 s16, 0, v1
	v_not_b32_e32 v1, v2
	v_cmp_gt_i32_e64 s17, 0, v2
	v_not_b32_e32 v2, v3
	v_lshlrev_b32_e32 v6, 26, v31
	v_xor_b32_e32 v0, s16, v0
	v_ashrrev_i32_e32 v1, 31, v1
	v_cmp_gt_i32_e64 s16, 0, v3
	v_not_b32_e32 v3, v4
	v_ashrrev_i32_e32 v2, 31, v2
	v_and_b32_e32 v0, exec_lo, v0
	v_xor_b32_e32 v1, s17, v1
	v_cmp_gt_i32_e64 s17, 0, v4
	v_not_b32_e32 v4, v5
	v_ashrrev_i32_e32 v3, 31, v3
	v_xor_b32_e32 v2, s16, v2
	v_and_b32_e32 v0, v0, v1
	v_cmp_gt_i32_e64 s16, 0, v5
	v_not_b32_e32 v1, v6
	v_ashrrev_i32_e32 v4, 31, v4
	v_xor_b32_e32 v3, s17, v3
	v_and_b32_e32 v0, v0, v2
	v_lshlrev_b32_e32 v2, 25, v31
	v_cmp_gt_i32_e64 s17, 0, v6
	v_ashrrev_i32_e32 v1, 31, v1
	v_xor_b32_e32 v4, s16, v4
	v_and_b32_e32 v0, v0, v3
	v_not_b32_e32 v5, v2
	v_lshlrev_b32_e32 v6, 24, v31
	v_lshrrev_b32_e32 v3, 13, v24
	v_xor_b32_e32 v1, s17, v1
	v_and_b32_e32 v0, v0, v4
	v_cmp_gt_i32_e64 s16, 0, v2
	v_ashrrev_i32_e32 v2, 31, v5
	v_not_b32_e32 v4, v6
	v_and_b32_e32 v3, 0x7f8, v3
	v_and_b32_e32 v0, v0, v1
	s_delay_alu instid0(VALU_DEP_4) | instskip(SKIP_3) | instid1(VALU_DEP_4)
	v_xor_b32_e32 v1, s16, v2
	v_cmp_gt_i32_e64 s16, 0, v6
	v_ashrrev_i32_e32 v2, 31, v4
	v_add_lshl_u32 v3, v3, v22, 2
	v_and_b32_e32 v0, v0, v1
	s_delay_alu instid0(VALU_DEP_3) | instskip(SKIP_3) | instid1(VALU_DEP_1)
	v_xor_b32_e32 v1, s16, v2
	ds_load_b32 v32, v3 offset:32
	v_add_nc_u32_e32 v34, 32, v3
	; wave barrier
	v_and_b32_e32 v0, v0, v1
	v_mbcnt_lo_u32_b32 v33, v0, 0
	v_cmp_ne_u32_e64 s17, 0, v0
	s_delay_alu instid0(VALU_DEP_2) | instskip(NEXT) | instid1(VALU_DEP_1)
	v_cmp_eq_u32_e64 s16, 0, v33
	s_and_b32 s17, s17, s16
	s_delay_alu instid0(SALU_CYCLE_1)
	s_and_saveexec_b32 s16, s17
	s_cbranch_execz .LBB76_8
; %bb.7:                                ;   in Loop: Header=BB76_2 Depth=1
	s_waitcnt lgkmcnt(0)
	v_bcnt_u32_b32 v0, v0, v32
	ds_store_b32 v34, v0
.LBB76_8:                               ;   in Loop: Header=BB76_2 Depth=1
	s_or_b32 exec_lo, exec_lo, s16
	v_bfe_u32 v0, v24, 24, 1
	v_lshrrev_b32_e32 v35, 24, v24
	; wave barrier
	s_delay_alu instid0(VALU_DEP_2) | instskip(NEXT) | instid1(VALU_DEP_1)
	v_add_co_u32 v0, s16, v0, -1
	v_cndmask_b32_e64 v1, 0, 1, s16
	s_delay_alu instid0(VALU_DEP_3)
	v_lshlrev_b32_e32 v2, 30, v35
	v_lshlrev_b32_e32 v3, 29, v35
	;; [unrolled: 1-line block ×4, first 2 shown]
	v_cmp_ne_u32_e64 s16, 0, v1
	v_not_b32_e32 v1, v2
	v_cmp_gt_i32_e64 s17, 0, v2
	v_not_b32_e32 v2, v3
	v_lshlrev_b32_e32 v6, 26, v35
	v_xor_b32_e32 v0, s16, v0
	v_ashrrev_i32_e32 v1, 31, v1
	v_cmp_gt_i32_e64 s16, 0, v3
	v_not_b32_e32 v3, v4
	v_ashrrev_i32_e32 v2, 31, v2
	v_and_b32_e32 v0, exec_lo, v0
	v_xor_b32_e32 v1, s17, v1
	v_cmp_gt_i32_e64 s17, 0, v4
	v_not_b32_e32 v4, v5
	v_ashrrev_i32_e32 v3, 31, v3
	v_xor_b32_e32 v2, s16, v2
	v_and_b32_e32 v0, v0, v1
	v_lshlrev_b32_e32 v1, 25, v35
	v_cmp_gt_i32_e64 s16, 0, v5
	v_ashrrev_i32_e32 v4, 31, v4
	v_xor_b32_e32 v3, s17, v3
	v_and_b32_e32 v0, v0, v2
	v_not_b32_e32 v5, v6
	v_not_b32_e32 v7, v1
	v_xor_b32_e32 v4, s16, v4
	v_cmp_gt_i32_e64 s16, 0, v6
	v_and_b32_e32 v0, v0, v3
	v_ashrrev_i32_e32 v3, 31, v5
	v_and_b32_e32 v2, 0xff000000, v24
	v_cmp_gt_i32_e64 s17, 0, v1
	v_ashrrev_i32_e32 v1, 31, v7
	v_and_b32_e32 v0, v0, v4
	v_not_b32_e32 v4, v24
	v_xor_b32_e32 v3, s16, v3
	v_lshlrev_b32_e32 v5, 3, v35
	v_xor_b32_e32 v1, s17, v1
	v_cmp_gt_i32_e64 s16, 0, v2
	v_ashrrev_i32_e32 v2, 31, v4
	v_and_b32_e32 v0, v0, v3
	v_add_lshl_u32 v3, v5, v22, 2
	s_delay_alu instid0(VALU_DEP_3) | instskip(NEXT) | instid1(VALU_DEP_3)
	v_xor_b32_e32 v2, s16, v2
	v_and_b32_e32 v0, v0, v1
	ds_load_b32 v36, v3 offset:32
	v_add_nc_u32_e32 v38, 32, v3
	; wave barrier
	v_and_b32_e32 v0, v0, v2
	s_delay_alu instid0(VALU_DEP_1) | instskip(SKIP_1) | instid1(VALU_DEP_2)
	v_mbcnt_lo_u32_b32 v37, v0, 0
	v_cmp_ne_u32_e64 s17, 0, v0
	v_cmp_eq_u32_e64 s16, 0, v37
	s_delay_alu instid0(VALU_DEP_1) | instskip(NEXT) | instid1(SALU_CYCLE_1)
	s_and_b32 s17, s17, s16
	s_and_saveexec_b32 s16, s17
	s_cbranch_execz .LBB76_10
; %bb.9:                                ;   in Loop: Header=BB76_2 Depth=1
	s_waitcnt lgkmcnt(0)
	v_bcnt_u32_b32 v0, v0, v36
	ds_store_b32 v38, v0
.LBB76_10:                              ;   in Loop: Header=BB76_2 Depth=1
	s_or_b32 exec_lo, exec_lo, s16
	; wave barrier
	s_waitcnt lgkmcnt(0)
	s_barrier
	buffer_gl0_inv
	ds_load_2addr_b64 v[4:7], v17 offset0:4 offset1:5
	ds_load_2addr_b64 v[0:3], v18 offset0:2 offset1:3
	s_waitcnt lgkmcnt(1)
	v_add_nc_u32_e32 v39, v5, v4
	s_delay_alu instid0(VALU_DEP_1) | instskip(SKIP_1) | instid1(VALU_DEP_1)
	v_add3_u32 v39, v39, v6, v7
	s_waitcnt lgkmcnt(0)
	v_add3_u32 v39, v39, v0, v1
	s_delay_alu instid0(VALU_DEP_1) | instskip(NEXT) | instid1(VALU_DEP_1)
	v_add3_u32 v3, v39, v2, v3
	v_mov_b32_dpp v39, v3 row_shr:1 row_mask:0xf bank_mask:0xf
	s_delay_alu instid0(VALU_DEP_1) | instskip(NEXT) | instid1(VALU_DEP_1)
	v_cndmask_b32_e64 v39, v39, 0, s4
	v_add_nc_u32_e32 v3, v39, v3
	s_delay_alu instid0(VALU_DEP_1) | instskip(NEXT) | instid1(VALU_DEP_1)
	v_mov_b32_dpp v39, v3 row_shr:2 row_mask:0xf bank_mask:0xf
	v_cndmask_b32_e64 v39, 0, v39, s5
	s_delay_alu instid0(VALU_DEP_1) | instskip(NEXT) | instid1(VALU_DEP_1)
	v_add_nc_u32_e32 v3, v3, v39
	v_mov_b32_dpp v39, v3 row_shr:4 row_mask:0xf bank_mask:0xf
	s_delay_alu instid0(VALU_DEP_1) | instskip(NEXT) | instid1(VALU_DEP_1)
	v_cndmask_b32_e64 v39, 0, v39, s6
	v_add_nc_u32_e32 v3, v3, v39
	s_delay_alu instid0(VALU_DEP_1) | instskip(NEXT) | instid1(VALU_DEP_1)
	v_mov_b32_dpp v39, v3 row_shr:8 row_mask:0xf bank_mask:0xf
	v_cndmask_b32_e64 v39, 0, v39, s7
	s_delay_alu instid0(VALU_DEP_1) | instskip(SKIP_3) | instid1(VALU_DEP_1)
	v_add_nc_u32_e32 v3, v3, v39
	ds_swizzle_b32 v39, v3 offset:swizzle(BROADCAST,32,15)
	s_waitcnt lgkmcnt(0)
	v_cndmask_b32_e64 v39, v39, 0, s8
	v_add_nc_u32_e32 v3, v3, v39
	s_and_saveexec_b32 s16, s15
	s_cbranch_execz .LBB76_12
; %bb.11:                               ;   in Loop: Header=BB76_2 Depth=1
	ds_store_b32 v19, v3
.LBB76_12:                              ;   in Loop: Header=BB76_2 Depth=1
	s_or_b32 exec_lo, exec_lo, s16
	s_waitcnt lgkmcnt(0)
	s_barrier
	buffer_gl0_inv
	s_and_saveexec_b32 s16, s9
	s_cbranch_execz .LBB76_14
; %bb.13:                               ;   in Loop: Header=BB76_2 Depth=1
	ds_load_b32 v39, v23
	s_waitcnt lgkmcnt(0)
	v_mov_b32_dpp v40, v39 row_shr:1 row_mask:0xf bank_mask:0xf
	s_delay_alu instid0(VALU_DEP_1) | instskip(NEXT) | instid1(VALU_DEP_1)
	v_cndmask_b32_e64 v40, v40, 0, s12
	v_add_nc_u32_e32 v39, v40, v39
	s_delay_alu instid0(VALU_DEP_1) | instskip(NEXT) | instid1(VALU_DEP_1)
	v_mov_b32_dpp v40, v39 row_shr:2 row_mask:0xf bank_mask:0xf
	v_cndmask_b32_e64 v40, 0, v40, s13
	s_delay_alu instid0(VALU_DEP_1) | instskip(NEXT) | instid1(VALU_DEP_1)
	v_add_nc_u32_e32 v39, v39, v40
	v_mov_b32_dpp v40, v39 row_shr:4 row_mask:0xf bank_mask:0xf
	s_delay_alu instid0(VALU_DEP_1) | instskip(NEXT) | instid1(VALU_DEP_1)
	v_cndmask_b32_e64 v40, 0, v40, s14
	v_add_nc_u32_e32 v39, v39, v40
	ds_store_b32 v23, v39
.LBB76_14:                              ;   in Loop: Header=BB76_2 Depth=1
	s_or_b32 exec_lo, exec_lo, s16
	v_mov_b32_e32 v39, 0
	s_waitcnt lgkmcnt(0)
	s_barrier
	buffer_gl0_inv
	s_and_saveexec_b32 s16, s10
	s_cbranch_execz .LBB76_1
; %bb.15:                               ;   in Loop: Header=BB76_2 Depth=1
	ds_load_b32 v39, v21
	s_branch .LBB76_1
.LBB76_16:
	s_add_u32 s0, s18, s20
	s_addc_u32 s1, s19, 0
	v_add_co_u32 v5, s0, s0, v8
	s_delay_alu instid0(VALU_DEP_1)
	v_add_co_ci_u32_e64 v6, null, s1, 0, s0
	s_clause 0x3
	global_store_b8 v[5:6], v1, off
	global_store_b8 v[5:6], v2, off offset:256
	global_store_b8 v[5:6], v4, off offset:512
	;; [unrolled: 1-line block ×3, first 2 shown]
	s_nop 0
	s_sendmsg sendmsg(MSG_DEALLOC_VGPRS)
	s_endpgm
	.section	.rodata,"a",@progbits
	.p2align	6, 0x0
	.amdhsa_kernel _Z16sort_keys_kernelI22helper_blocked_blockedaLj256ELj4ELj10EEvPKT0_PS1_
		.amdhsa_group_segment_fixed_size 8224
		.amdhsa_private_segment_fixed_size 0
		.amdhsa_kernarg_size 272
		.amdhsa_user_sgpr_count 15
		.amdhsa_user_sgpr_dispatch_ptr 0
		.amdhsa_user_sgpr_queue_ptr 0
		.amdhsa_user_sgpr_kernarg_segment_ptr 1
		.amdhsa_user_sgpr_dispatch_id 0
		.amdhsa_user_sgpr_private_segment_size 0
		.amdhsa_wavefront_size32 1
		.amdhsa_uses_dynamic_stack 0
		.amdhsa_enable_private_segment 0
		.amdhsa_system_sgpr_workgroup_id_x 1
		.amdhsa_system_sgpr_workgroup_id_y 0
		.amdhsa_system_sgpr_workgroup_id_z 0
		.amdhsa_system_sgpr_workgroup_info 0
		.amdhsa_system_vgpr_workitem_id 2
		.amdhsa_next_free_vgpr 41
		.amdhsa_next_free_sgpr 22
		.amdhsa_reserve_vcc 1
		.amdhsa_float_round_mode_32 0
		.amdhsa_float_round_mode_16_64 0
		.amdhsa_float_denorm_mode_32 3
		.amdhsa_float_denorm_mode_16_64 3
		.amdhsa_dx10_clamp 1
		.amdhsa_ieee_mode 1
		.amdhsa_fp16_overflow 0
		.amdhsa_workgroup_processor_mode 1
		.amdhsa_memory_ordered 1
		.amdhsa_forward_progress 0
		.amdhsa_shared_vgpr_count 0
		.amdhsa_exception_fp_ieee_invalid_op 0
		.amdhsa_exception_fp_denorm_src 0
		.amdhsa_exception_fp_ieee_div_zero 0
		.amdhsa_exception_fp_ieee_overflow 0
		.amdhsa_exception_fp_ieee_underflow 0
		.amdhsa_exception_fp_ieee_inexact 0
		.amdhsa_exception_int_div_zero 0
	.end_amdhsa_kernel
	.section	.text._Z16sort_keys_kernelI22helper_blocked_blockedaLj256ELj4ELj10EEvPKT0_PS1_,"axG",@progbits,_Z16sort_keys_kernelI22helper_blocked_blockedaLj256ELj4ELj10EEvPKT0_PS1_,comdat
.Lfunc_end76:
	.size	_Z16sort_keys_kernelI22helper_blocked_blockedaLj256ELj4ELj10EEvPKT0_PS1_, .Lfunc_end76-_Z16sort_keys_kernelI22helper_blocked_blockedaLj256ELj4ELj10EEvPKT0_PS1_
                                        ; -- End function
	.section	.AMDGPU.csdata,"",@progbits
; Kernel info:
; codeLenInByte = 3796
; NumSgprs: 24
; NumVgprs: 41
; ScratchSize: 0
; MemoryBound: 0
; FloatMode: 240
; IeeeMode: 1
; LDSByteSize: 8224 bytes/workgroup (compile time only)
; SGPRBlocks: 2
; VGPRBlocks: 5
; NumSGPRsForWavesPerEU: 24
; NumVGPRsForWavesPerEU: 41
; Occupancy: 16
; WaveLimiterHint : 1
; COMPUTE_PGM_RSRC2:SCRATCH_EN: 0
; COMPUTE_PGM_RSRC2:USER_SGPR: 15
; COMPUTE_PGM_RSRC2:TRAP_HANDLER: 0
; COMPUTE_PGM_RSRC2:TGID_X_EN: 1
; COMPUTE_PGM_RSRC2:TGID_Y_EN: 0
; COMPUTE_PGM_RSRC2:TGID_Z_EN: 0
; COMPUTE_PGM_RSRC2:TIDIG_COMP_CNT: 2
	.section	.text._Z17sort_pairs_kernelI22helper_blocked_blockedaLj256ELj4ELj10EEvPKT0_PS1_,"axG",@progbits,_Z17sort_pairs_kernelI22helper_blocked_blockedaLj256ELj4ELj10EEvPKT0_PS1_,comdat
	.protected	_Z17sort_pairs_kernelI22helper_blocked_blockedaLj256ELj4ELj10EEvPKT0_PS1_ ; -- Begin function _Z17sort_pairs_kernelI22helper_blocked_blockedaLj256ELj4ELj10EEvPKT0_PS1_
	.globl	_Z17sort_pairs_kernelI22helper_blocked_blockedaLj256ELj4ELj10EEvPKT0_PS1_
	.p2align	8
	.type	_Z17sort_pairs_kernelI22helper_blocked_blockedaLj256ELj4ELj10EEvPKT0_PS1_,@function
_Z17sort_pairs_kernelI22helper_blocked_blockedaLj256ELj4ELj10EEvPKT0_PS1_: ; @_Z17sort_pairs_kernelI22helper_blocked_blockedaLj256ELj4ELj10EEvPKT0_PS1_
; %bb.0:
	s_clause 0x1
	s_load_b128 s[16:19], s[0:1], 0x0
	s_load_b32 s21, s[0:1], 0x1c
	s_lshl_b32 s20, s15, 10
	v_and_b32_e32 v8, 0x3ff, v0
	v_mbcnt_lo_u32_b32 v5, -1, 0
	v_bfe_u32 v7, v0, 10, 10
	v_bfe_u32 v0, v0, 20, 10
	s_delay_alu instid0(VALU_DEP_3)
	v_add_nc_u32_e32 v20, -1, v5
	v_and_b32_e32 v21, 7, v5
	v_and_b32_e32 v6, 3, v5
	v_and_b32_e32 v18, 15, v5
	v_and_b32_e32 v19, 16, v5
	v_cmp_gt_i32_e64 s11, 0, v20
	v_cmp_eq_u32_e32 vcc_lo, 0, v5
	v_cmp_eq_u32_e64 s12, 0, v21
	v_cmp_lt_u32_e64 s13, 1, v21
	v_cmp_lt_u32_e64 s14, 3, v21
	v_cmp_eq_u32_e64 s8, 0, v19
	s_waitcnt lgkmcnt(0)
	s_add_u32 s0, s16, s20
	s_addc_u32 s1, s17, 0
	s_lshr_b32 s16, s21, 16
	s_clause 0x3
	global_load_u8 v2, v8, s[0:1]
	global_load_u8 v3, v8, s[0:1] offset:512
	global_load_u8 v1, v8, s[0:1] offset:256
	;; [unrolled: 1-line block ×3, first 2 shown]
	s_mov_b32 s0, 0
	v_cmp_eq_u32_e64 s4, 0, v18
	s_mov_b32 s3, s0
	s_mov_b32 s2, s0
	v_dual_mov_b32 v12, s3 :: v_dual_and_b32 v13, 28, v5
	v_cndmask_b32_e64 v5, v20, v5, s11
	s_mov_b32 s1, s0
	s_delay_alu instid0(SALU_CYCLE_1)
	v_dual_mov_b32 v11, s2 :: v_dual_mov_b32 v10, s1
	v_mov_b32_e32 v9, s0
	v_cmp_eq_u32_e64 s0, 3, v6
	v_cmp_eq_u32_e64 s1, 2, v6
	;; [unrolled: 1-line block ×4, first 2 shown]
	v_or_b32_e32 v6, 31, v8
	v_lshrrev_b32_e32 v19, 3, v8
	v_lshlrev_b32_e32 v17, 5, v8
	v_mul_i32_i24_e32 v23, 0xffffffe4, v8
	v_or_b32_e32 v14, 32, v13
	v_cmp_eq_u32_e64 s15, v6, v8
	v_mad_u32_u24 v6, v0, s16, v7
	s_and_b32 s16, s21, 0xffff
	v_and_b32_e32 v19, 28, v19
	v_or_b32_e32 v15, 64, v13
	v_or_b32_e32 v16, 0x60, v13
	v_cmp_lt_u32_e64 s5, 1, v18
	v_cmp_lt_u32_e64 s6, 3, v18
	;; [unrolled: 1-line block ×3, first 2 shown]
	v_cmp_gt_u32_e64 s9, 8, v8
	v_cmp_lt_u32_e64 s10, 31, v8
	v_cmp_eq_u32_e64 s11, 0, v8
	v_add_nc_u32_e32 v18, 32, v17
	v_add_nc_u32_e32 v23, v17, v23
	s_mov_b32 s21, 10
	s_waitcnt vmcnt(3)
	v_add_nc_u16 v20, v2, 1
	s_waitcnt vmcnt(2)
	v_add_nc_u16 v21, v3, 1
	s_waitcnt vmcnt(1)
	v_lshlrev_b16 v22, 8, v1
	s_waitcnt vmcnt(0)
	v_lshlrev_b16 v4, 8, v4
	v_and_b32_e32 v1, 0xff, v20
	v_and_b32_e32 v20, 0xff, v21
	v_add_nc_u32_e32 v21, -4, v19
	s_delay_alu instid0(VALU_DEP_3) | instskip(NEXT) | instid1(VALU_DEP_3)
	v_or_b32_e32 v7, v22, v1
	v_or_b32_e32 v20, v4, v20
	v_mad_u64_u32 v[0:1], null, v6, s16, v[8:9]
	v_or_b32_e32 v1, v2, v22
	v_or_b32_e32 v2, v3, v4
	v_add_nc_u16 v3, v7, 0x100
	v_add_nc_u16 v4, v20, 0x100
	v_lshlrev_b32_e32 v20, 2, v5
	v_and_b32_e32 v1, 0xffff, v1
	v_lshlrev_b32_e32 v2, 16, v2
	v_and_b32_e32 v3, 0xffff, v3
	v_lshlrev_b32_e32 v6, 16, v4
	v_lshrrev_b32_e32 v22, 5, v0
	s_delay_alu instid0(VALU_DEP_4) | instskip(NEXT) | instid1(VALU_DEP_3)
	v_or_b32_e32 v4, v1, v2
	v_or_b32_e32 v0, v3, v6
	s_branch .LBB77_2
.LBB77_1:                               ;   in Loop: Header=BB77_2 Depth=1
	s_or_b32 exec_lo, exec_lo, s16
	v_perm_b32 v36, v36, v30, 0x3020104
	s_waitcnt lgkmcnt(0)
	v_add_nc_u32_e32 v3, v55, v3
	s_add_i32 s21, s21, -1
	s_delay_alu instid0(SALU_CYCLE_1) | instskip(SKIP_4) | instid1(VALU_DEP_1)
	s_cmp_eq_u32 s21, 0
	v_cndmask_b32_e64 v30, v30, v36, s2
	ds_bpermute_b32 v3, v20, v3
	v_and_b32_e32 v26, 0xff, v26
	v_perm_b32 v35, v35, v30, 0x3020104
	v_cndmask_b32_e64 v30, v30, v35, s1
	s_delay_alu instid0(VALU_DEP_1) | instskip(NEXT) | instid1(VALU_DEP_1)
	v_perm_b32 v34, v34, v30, 0x3020104
	v_cndmask_b32_e64 v30, v30, v34, s0
	s_waitcnt lgkmcnt(0)
	v_cndmask_b32_e32 v3, v3, v55, vcc_lo
	s_delay_alu instid0(VALU_DEP_2) | instskip(NEXT) | instid1(VALU_DEP_2)
	v_perm_b32 v31, v30, v31, 0x7060004
	v_cndmask_b32_e64 v3, v3, 0, s11
	s_delay_alu instid0(VALU_DEP_2) | instskip(NEXT) | instid1(VALU_DEP_2)
	v_cndmask_b32_e64 v30, v30, v31, s3
	v_add_nc_u32_e32 v4, v3, v4
	s_delay_alu instid0(VALU_DEP_2) | instskip(NEXT) | instid1(VALU_DEP_2)
	v_perm_b32 v31, v30, v32, 0x7060004
	v_add_nc_u32_e32 v5, v4, v5
	s_delay_alu instid0(VALU_DEP_2) | instskip(NEXT) | instid1(VALU_DEP_2)
	v_cndmask_b32_e64 v30, v30, v31, s2
	v_add_nc_u32_e32 v6, v5, v6
	s_delay_alu instid0(VALU_DEP_2) | instskip(NEXT) | instid1(VALU_DEP_1)
	v_perm_b32 v29, v30, v29, 0x7060004
	v_cndmask_b32_e64 v29, v30, v29, s1
	s_delay_alu instid0(VALU_DEP_1) | instskip(NEXT) | instid1(VALU_DEP_1)
	v_perm_b32 v28, v29, v28, 0x7060004
	v_cndmask_b32_e64 v28, v29, v28, s0
	s_delay_alu instid0(VALU_DEP_1) | instskip(NEXT) | instid1(VALU_DEP_1)
	v_lshrrev_b32_e32 v29, 16, v28
	v_and_b32_e32 v29, 0xffffff00, v29
	s_delay_alu instid0(VALU_DEP_1) | instskip(SKIP_1) | instid1(VALU_DEP_2)
	v_or_b32_e32 v26, v26, v29
	v_and_b32_e32 v29, 0xff, v43
	v_lshlrev_b32_e32 v26, 16, v26
	s_delay_alu instid0(VALU_DEP_1) | instskip(NEXT) | instid1(VALU_DEP_1)
	v_and_or_b32 v26, 0xffff, v28, v26
	v_cndmask_b32_e64 v26, v28, v26, s3
	s_delay_alu instid0(VALU_DEP_1) | instskip(NEXT) | instid1(VALU_DEP_1)
	v_lshrrev_b32_e32 v28, 16, v26
	v_and_b32_e32 v28, 0xffffff00, v28
	s_delay_alu instid0(VALU_DEP_1) | instskip(SKIP_1) | instid1(VALU_DEP_2)
	v_or_b32_e32 v28, v29, v28
	v_and_b32_e32 v29, 0xff, v42
	v_lshlrev_b32_e32 v28, 16, v28
	s_delay_alu instid0(VALU_DEP_1) | instskip(NEXT) | instid1(VALU_DEP_1)
	v_and_or_b32 v28, 0xffff, v26, v28
	;; [unrolled: 10-line block ×3, first 2 shown]
	v_cndmask_b32_e64 v26, v26, v28, s1
	s_delay_alu instid0(VALU_DEP_1) | instskip(NEXT) | instid1(VALU_DEP_1)
	v_lshrrev_b32_e32 v28, 16, v26
	v_and_b32_e32 v28, 0xffffff00, v28
	s_delay_alu instid0(VALU_DEP_1) | instskip(SKIP_1) | instid1(VALU_DEP_2)
	v_or_b32_e32 v28, v29, v28
	v_lshlrev_b16 v29, 8, v40
	v_lshlrev_b32_e32 v28, 16, v28
	s_delay_alu instid0(VALU_DEP_1) | instskip(NEXT) | instid1(VALU_DEP_1)
	v_and_or_b32 v28, 0xffff, v26, v28
	v_cndmask_b32_e64 v26, v26, v28, s0
	s_delay_alu instid0(VALU_DEP_1) | instskip(NEXT) | instid1(VALU_DEP_1)
	v_lshrrev_b32_e32 v28, 16, v26
	v_and_b32_e32 v28, 0xff, v28
	s_delay_alu instid0(VALU_DEP_1) | instskip(NEXT) | instid1(VALU_DEP_1)
	v_or_b32_e32 v28, v28, v29
	v_lshlrev_b32_e32 v28, 16, v28
	s_delay_alu instid0(VALU_DEP_1) | instskip(NEXT) | instid1(VALU_DEP_1)
	v_and_or_b32 v28, 0xffff, v26, v28
	v_cndmask_b32_e64 v26, v26, v28, s3
	v_add_nc_u32_e32 v28, v6, v7
	v_lshlrev_b16 v7, 8, v38
	s_delay_alu instid0(VALU_DEP_3) | instskip(NEXT) | instid1(VALU_DEP_1)
	v_lshrrev_b32_e32 v29, 16, v26
	v_and_b32_e32 v30, 0xff, v29
	s_delay_alu instid0(VALU_DEP_4) | instskip(NEXT) | instid1(VALU_DEP_2)
	v_add_nc_u32_e32 v29, v28, v0
	v_or_b32_e32 v7, v30, v7
	s_delay_alu instid0(VALU_DEP_2) | instskip(NEXT) | instid1(VALU_DEP_2)
	v_add_nc_u32_e32 v0, v29, v1
	v_lshlrev_b32_e32 v7, 16, v7
	s_delay_alu instid0(VALU_DEP_2)
	v_add_nc_u32_e32 v1, v0, v2
	ds_store_2addr_b64 v17, v[3:4], v[5:6] offset0:4 offset1:5
	ds_store_2addr_b64 v18, v[28:29], v[0:1] offset0:2 offset1:3
	v_and_or_b32 v2, 0xffff, v26, v7
	s_waitcnt lgkmcnt(0)
	s_barrier
	buffer_gl0_inv
	v_lshlrev_b16 v6, 8, v27
	v_cndmask_b32_e64 v0, v26, v2, s2
	ds_load_b32 v1, v37
	ds_load_b32 v2, v46
	;; [unrolled: 1-line block ×4, first 2 shown]
	s_waitcnt lgkmcnt(0)
	s_barrier
	buffer_gl0_inv
	v_lshrrev_b32_e32 v5, 16, v0
	s_delay_alu instid0(VALU_DEP_1) | instskip(NEXT) | instid1(VALU_DEP_1)
	v_and_b32_e32 v5, 0xff, v5
	v_or_b32_e32 v5, v5, v6
	v_add_nc_u32_e32 v6, v1, v33
	v_add3_u32 v7, v45, v44, v2
	s_delay_alu instid0(VALU_DEP_3)
	v_lshlrev_b32_e32 v5, 16, v5
	v_add3_u32 v26, v49, v48, v3
	v_add3_u32 v4, v53, v52, v4
	ds_store_b8 v6, v24
	ds_store_b8 v7, v39
	ds_store_b8 v26, v47
	ds_store_b8 v4, v51
	v_and_or_b32 v1, 0xffff, v0, v5
	s_waitcnt lgkmcnt(0)
	s_barrier
	buffer_gl0_inv
	v_lshlrev_b16 v3, 8, v25
	v_cndmask_b32_e64 v0, v0, v1, s1
	ds_load_b32 v1, v23
	s_waitcnt lgkmcnt(0)
	s_barrier
	buffer_gl0_inv
	v_lshrrev_b32_e32 v2, 16, v0
	s_delay_alu instid0(VALU_DEP_1) | instskip(NEXT) | instid1(VALU_DEP_1)
	v_and_b32_e32 v2, 0xff, v2
	v_or_b32_e32 v2, v2, v3
	s_delay_alu instid0(VALU_DEP_1)
	v_lshlrev_b32_e32 v2, 16, v2
	v_lshrrev_b32_e32 v3, 8, v1
	v_lshrrev_b32_e32 v24, 24, v1
	;; [unrolled: 1-line block ×3, first 2 shown]
	v_xor_b32_e32 v5, 0xffffff80, v1
	v_and_or_b32 v2, 0xffff, v0, v2
	v_xor_b32_e32 v1, 0xffffff80, v3
	s_delay_alu instid0(VALU_DEP_4) | instskip(NEXT) | instid1(VALU_DEP_3)
	v_xor_b32_e32 v3, 0xffffff80, v25
	v_cndmask_b32_e64 v0, v0, v2, s0
	v_xor_b32_e32 v2, 0xffffff80, v24
	v_and_b32_e32 v24, 0xff, v5
	v_lshlrev_b16 v25, 8, v1
	v_and_b32_e32 v30, 0xff, v3
	v_lshrrev_b32_e32 v27, 8, v0
	v_lshrrev_b32_e32 v29, 24, v0
	v_lshlrev_b16 v28, 8, v2
	ds_store_b8 v6, v0
	ds_store_b8 v7, v27
	ds_store_b8_d16_hi v26, v0
	ds_store_b8 v4, v29
	s_waitcnt lgkmcnt(0)
	s_barrier
	buffer_gl0_inv
	ds_load_b32 v0, v23
	v_or_b32_e32 v4, v24, v25
	v_or_b32_e32 v6, v30, v28
	s_delay_alu instid0(VALU_DEP_2) | instskip(NEXT) | instid1(VALU_DEP_2)
	v_and_b32_e32 v4, 0xffff, v4
	v_lshlrev_b32_e32 v6, 16, v6
	s_delay_alu instid0(VALU_DEP_1)
	v_or_b32_e32 v4, v4, v6
	s_cbranch_scc1 .LBB77_16
.LBB77_2:                               ; =>This Inner Loop Header: Depth=1
	s_delay_alu instid0(VALU_DEP_1) | instskip(SKIP_3) | instid1(VALU_DEP_4)
	v_lshrrev_b32_e32 v1, 8, v4
	v_xor_b32_e32 v2, 0x80, v4
	v_lshrrev_b32_e32 v3, 16, v4
	v_lshrrev_b32_e32 v4, 24, v4
	v_xor_b32_e32 v1, 0x80, v1
	s_delay_alu instid0(VALU_DEP_4) | instskip(NEXT) | instid1(VALU_DEP_4)
	v_and_b32_e32 v2, 0xff, v2
	v_xor_b32_e32 v3, 0x80, v3
	s_delay_alu instid0(VALU_DEP_4)
	v_xor_b32_e32 v4, 0x80, v4
	s_waitcnt lgkmcnt(0)
	s_barrier
	v_and_b32_e32 v1, 0xff, v1
	ds_bpermute_b32 v5, v13, v2
	v_and_b32_e32 v3, 0xff, v3
	v_and_b32_e32 v4, 0xffff, v4
	s_waitcnt lgkmcnt(0)
	buffer_gl0_inv
	ds_bpermute_b32 v6, v13, v1
	ds_store_2addr_b64 v17, v[9:10], v[11:12] offset0:4 offset1:5
	ds_store_2addr_b64 v18, v[9:10], v[11:12] offset0:2 offset1:3
	ds_bpermute_b32 v7, v13, v3
	ds_bpermute_b32 v24, v13, v4
	s_waitcnt lgkmcnt(0)
	s_barrier
	buffer_gl0_inv
	; wave barrier
	v_perm_b32 v6, v6, v5, 0x3020104
	s_delay_alu instid0(VALU_DEP_1) | instskip(SKIP_2) | instid1(VALU_DEP_1)
	v_cndmask_b32_e64 v5, v5, v6, s2
	ds_bpermute_b32 v6, v14, v2
	v_perm_b32 v7, v7, v5, 0x3020104
	v_cndmask_b32_e64 v5, v5, v7, s1
	s_delay_alu instid0(VALU_DEP_1) | instskip(SKIP_4) | instid1(VALU_DEP_2)
	v_perm_b32 v7, v24, v5, 0x3020104
	ds_bpermute_b32 v24, v14, v1
	v_cndmask_b32_e64 v5, v5, v7, s0
	s_waitcnt lgkmcnt(1)
	v_lshlrev_b16 v6, 8, v6
	v_and_b32_e32 v7, 0xff, v5
	s_delay_alu instid0(VALU_DEP_1) | instskip(NEXT) | instid1(VALU_DEP_1)
	v_or_b32_e32 v6, v7, v6
	v_and_b32_e32 v6, 0xffff, v6
	s_delay_alu instid0(VALU_DEP_1) | instskip(NEXT) | instid1(VALU_DEP_1)
	v_and_or_b32 v6, 0xffff0000, v5, v6
	v_cndmask_b32_e64 v5, v5, v6, s3
	s_waitcnt lgkmcnt(0)
	v_lshlrev_b16 v6, 8, v24
	ds_bpermute_b32 v24, v14, v3
	v_and_b32_e32 v7, 0xff, v5
	s_delay_alu instid0(VALU_DEP_1) | instskip(NEXT) | instid1(VALU_DEP_1)
	v_or_b32_e32 v6, v7, v6
	v_and_b32_e32 v6, 0xffff, v6
	s_delay_alu instid0(VALU_DEP_1) | instskip(NEXT) | instid1(VALU_DEP_1)
	v_and_or_b32 v6, 0xffff0000, v5, v6
	v_cndmask_b32_e64 v5, v5, v6, s2
	s_waitcnt lgkmcnt(0)
	v_lshlrev_b16 v6, 8, v24
	ds_bpermute_b32 v24, v14, v4
	v_and_b32_e32 v7, 0xff, v5
	s_delay_alu instid0(VALU_DEP_1) | instskip(NEXT) | instid1(VALU_DEP_1)
	v_or_b32_e32 v6, v7, v6
	v_and_b32_e32 v6, 0xffff, v6
	s_delay_alu instid0(VALU_DEP_1) | instskip(NEXT) | instid1(VALU_DEP_1)
	v_and_or_b32 v6, 0xffff0000, v5, v6
	v_cndmask_b32_e64 v5, v5, v6, s1
	s_waitcnt lgkmcnt(0)
	v_lshlrev_b16 v6, 8, v24
	s_delay_alu instid0(VALU_DEP_2) | instskip(NEXT) | instid1(VALU_DEP_1)
	v_and_b32_e32 v7, 0xff, v5
	v_or_b32_e32 v6, v7, v6
	ds_bpermute_b32 v7, v15, v2
	ds_bpermute_b32 v2, v16, v2
	v_and_b32_e32 v6, 0xffff, v6
	s_delay_alu instid0(VALU_DEP_1) | instskip(NEXT) | instid1(VALU_DEP_1)
	v_and_or_b32 v6, 0xffff0000, v5, v6
	v_cndmask_b32_e64 v5, v5, v6, s0
	s_delay_alu instid0(VALU_DEP_1)
	v_lshrrev_b32_e32 v6, 16, v5
	s_waitcnt lgkmcnt(1)
	v_and_b32_e32 v7, 0xff, v7
	s_waitcnt lgkmcnt(0)
	v_lshlrev_b16 v2, 8, v2
	v_and_b32_e32 v6, 0xffffff00, v6
	s_delay_alu instid0(VALU_DEP_1) | instskip(SKIP_3) | instid1(VALU_DEP_1)
	v_or_b32_e32 v6, v7, v6
	ds_bpermute_b32 v7, v15, v1
	ds_bpermute_b32 v1, v16, v1
	v_lshlrev_b32_e32 v6, 16, v6
	v_and_or_b32 v6, 0xffff, v5, v6
	s_delay_alu instid0(VALU_DEP_1) | instskip(NEXT) | instid1(VALU_DEP_1)
	v_cndmask_b32_e64 v5, v5, v6, s3
	v_lshrrev_b32_e32 v6, 16, v5
	s_waitcnt lgkmcnt(1)
	v_and_b32_e32 v7, 0xff, v7
	s_waitcnt lgkmcnt(0)
	v_lshlrev_b16 v1, 8, v1
	v_and_b32_e32 v6, 0xffffff00, v6
	s_delay_alu instid0(VALU_DEP_1) | instskip(SKIP_3) | instid1(VALU_DEP_1)
	v_or_b32_e32 v6, v7, v6
	ds_bpermute_b32 v7, v15, v3
	ds_bpermute_b32 v3, v16, v3
	v_lshlrev_b32_e32 v6, 16, v6
	v_and_or_b32 v6, 0xffff, v5, v6
	s_delay_alu instid0(VALU_DEP_1) | instskip(NEXT) | instid1(VALU_DEP_1)
	v_cndmask_b32_e64 v5, v5, v6, s2
	v_lshrrev_b32_e32 v6, 16, v5
	s_waitcnt lgkmcnt(1)
	v_and_b32_e32 v7, 0xff, v7
	s_waitcnt lgkmcnt(0)
	v_lshlrev_b16 v3, 8, v3
	v_and_b32_e32 v6, 0xffffff00, v6
	s_delay_alu instid0(VALU_DEP_1) | instskip(SKIP_2) | instid1(VALU_DEP_1)
	v_or_b32_e32 v6, v7, v6
	ds_bpermute_b32 v7, v15, v4
	v_lshlrev_b32_e32 v6, 16, v6
	v_and_or_b32 v6, 0xffff, v5, v6
	s_delay_alu instid0(VALU_DEP_1) | instskip(NEXT) | instid1(VALU_DEP_1)
	v_cndmask_b32_e64 v5, v5, v6, s1
	v_lshrrev_b32_e32 v6, 16, v5
	s_waitcnt lgkmcnt(0)
	v_and_b32_e32 v7, 0xff, v7
	s_delay_alu instid0(VALU_DEP_2) | instskip(NEXT) | instid1(VALU_DEP_1)
	v_and_b32_e32 v6, 0xffffff00, v6
	v_or_b32_e32 v6, v7, v6
	s_delay_alu instid0(VALU_DEP_1) | instskip(NEXT) | instid1(VALU_DEP_1)
	v_lshlrev_b32_e32 v6, 16, v6
	v_and_or_b32 v6, 0xffff, v5, v6
	s_delay_alu instid0(VALU_DEP_1) | instskip(NEXT) | instid1(VALU_DEP_1)
	v_cndmask_b32_e64 v5, v5, v6, s0
	v_lshrrev_b32_e32 v6, 16, v5
	s_delay_alu instid0(VALU_DEP_1) | instskip(NEXT) | instid1(VALU_DEP_1)
	v_and_b32_e32 v6, 0xff, v6
	v_or_b32_e32 v2, v6, v2
	s_delay_alu instid0(VALU_DEP_1) | instskip(NEXT) | instid1(VALU_DEP_1)
	v_lshlrev_b32_e32 v2, 16, v2
	v_and_or_b32 v2, 0xffff, v5, v2
	s_delay_alu instid0(VALU_DEP_1) | instskip(NEXT) | instid1(VALU_DEP_1)
	v_cndmask_b32_e64 v2, v5, v2, s3
	v_lshrrev_b32_e32 v5, 16, v2
	s_delay_alu instid0(VALU_DEP_1) | instskip(NEXT) | instid1(VALU_DEP_1)
	v_and_b32_e32 v5, 0xff, v5
	v_or_b32_e32 v1, v5, v1
	v_bfe_u32 v5, v0, 16, 8
	s_delay_alu instid0(VALU_DEP_2) | instskip(SKIP_4) | instid1(VALU_DEP_1)
	v_lshlrev_b32_e32 v1, 16, v1
	ds_bpermute_b32 v35, v13, v5
	ds_bpermute_b32 v29, v14, v5
	;; [unrolled: 1-line block ×3, first 2 shown]
	v_and_or_b32 v1, 0xffff, v2, v1
	v_cndmask_b32_e64 v1, v2, v1, s2
	s_delay_alu instid0(VALU_DEP_1) | instskip(NEXT) | instid1(VALU_DEP_1)
	v_lshrrev_b32_e32 v2, 16, v1
	v_and_b32_e32 v2, 0xff, v2
	s_delay_alu instid0(VALU_DEP_1)
	v_or_b32_e32 v2, v2, v3
	ds_bpermute_b32 v3, v16, v4
	v_bfe_u32 v4, v0, 8, 8
	v_lshlrev_b32_e32 v2, 16, v2
	ds_bpermute_b32 v36, v13, v4
	ds_bpermute_b32 v32, v14, v4
	;; [unrolled: 1-line block ×3, first 2 shown]
	v_and_or_b32 v2, 0xffff, v1, v2
	s_delay_alu instid0(VALU_DEP_1) | instskip(NEXT) | instid1(VALU_DEP_1)
	v_cndmask_b32_e64 v1, v1, v2, s1
	v_lshrrev_b32_e32 v2, 16, v1
	s_waitcnt lgkmcnt(3)
	v_lshlrev_b16 v3, 8, v3
	s_delay_alu instid0(VALU_DEP_2) | instskip(NEXT) | instid1(VALU_DEP_1)
	v_and_b32_e32 v2, 0xff, v2
	v_or_b32_e32 v2, v2, v3
	v_and_b32_e32 v3, 0xff, v0
	v_lshrrev_b32_e32 v0, 24, v0
	s_delay_alu instid0(VALU_DEP_3)
	v_lshlrev_b32_e32 v2, 16, v2
	ds_bpermute_b32 v30, v13, v3
	ds_bpermute_b32 v31, v14, v3
	;; [unrolled: 1-line block ×4, first 2 shown]
	v_and_or_b32 v2, 0xffff, v1, v2
	ds_bpermute_b32 v34, v13, v0
	ds_bpermute_b32 v28, v14, v0
	;; [unrolled: 1-line block ×3, first 2 shown]
	v_cndmask_b32_e64 v24, v1, v2, s0
	s_delay_alu instid0(VALU_DEP_1)
	v_and_b32_e32 v1, 1, v24
	v_lshlrev_b32_e32 v2, 30, v24
	v_lshlrev_b32_e32 v6, 29, v24
	;; [unrolled: 1-line block ×4, first 2 shown]
	v_add_co_u32 v1, s16, v1, -1
	s_delay_alu instid0(VALU_DEP_1)
	v_cndmask_b32_e64 v25, 0, 1, s16
	v_not_b32_e32 v38, v2
	v_cmp_gt_i32_e64 s17, 0, v2
	v_not_b32_e32 v2, v6
	v_lshlrev_b32_e32 v33, 26, v24
	v_cmp_ne_u32_e64 s16, 0, v25
	v_ashrrev_i32_e32 v38, 31, v38
	v_lshlrev_b32_e32 v37, 25, v24
	v_ashrrev_i32_e32 v2, 31, v2
	v_lshlrev_b32_e32 v25, 24, v24
	v_xor_b32_e32 v1, s16, v1
	v_cmp_gt_i32_e64 s16, 0, v6
	v_not_b32_e32 v6, v7
	v_xor_b32_e32 v38, s17, v38
	v_cmp_gt_i32_e64 s17, 0, v7
	v_and_b32_e32 v1, exec_lo, v1
	v_not_b32_e32 v7, v27
	v_ashrrev_i32_e32 v6, 31, v6
	v_xor_b32_e32 v2, s16, v2
	v_cmp_gt_i32_e64 s16, 0, v27
	v_and_b32_e32 v1, v1, v38
	v_not_b32_e32 v27, v33
	v_ashrrev_i32_e32 v7, 31, v7
	v_xor_b32_e32 v6, s17, v6
	v_cmp_gt_i32_e64 s17, 0, v33
	v_and_b32_e32 v1, v1, v2
	;; [unrolled: 5-line block ×4, first 2 shown]
	v_ashrrev_i32_e32 v6, 31, v6
	v_xor_b32_e32 v2, s16, v2
	ds_bpermute_b32 v38, v16, v4
	ds_bpermute_b32 v25, v16, v0
	v_and_b32_e32 v1, v1, v27
	v_xor_b32_e32 v3, s17, v6
	ds_bpermute_b32 v27, v16, v5
	v_and_b32_e32 v1, v1, v2
	s_delay_alu instid0(VALU_DEP_1) | instskip(SKIP_1) | instid1(VALU_DEP_2)
	v_and_b32_e32 v0, v1, v3
	v_and_b32_e32 v1, 0xff, v24
	v_mbcnt_lo_u32_b32 v33, v0, 0
	s_delay_alu instid0(VALU_DEP_2) | instskip(SKIP_1) | instid1(VALU_DEP_3)
	v_lshl_add_u32 v1, v1, 3, v22
	v_cmp_ne_u32_e64 s17, 0, v0
	v_cmp_eq_u32_e64 s16, 0, v33
	s_delay_alu instid0(VALU_DEP_3) | instskip(NEXT) | instid1(VALU_DEP_2)
	v_lshl_add_u32 v37, v1, 2, 32
	s_and_b32 s17, s17, s16
	s_delay_alu instid0(SALU_CYCLE_1)
	s_and_saveexec_b32 s16, s17
	s_cbranch_execz .LBB77_4
; %bb.3:                                ;   in Loop: Header=BB77_2 Depth=1
	v_bcnt_u32_b32 v0, v0, 0
	ds_store_b32 v37, v0
.LBB77_4:                               ;   in Loop: Header=BB77_2 Depth=1
	s_or_b32 exec_lo, exec_lo, s16
	v_bfe_u32 v0, v24, 8, 1
	v_lshrrev_b32_e32 v39, 8, v24
	; wave barrier
	s_delay_alu instid0(VALU_DEP_2) | instskip(NEXT) | instid1(VALU_DEP_1)
	v_add_co_u32 v0, s16, v0, -1
	v_cndmask_b32_e64 v1, 0, 1, s16
	s_delay_alu instid0(VALU_DEP_3)
	v_lshlrev_b32_e32 v2, 30, v39
	v_lshlrev_b32_e32 v3, 29, v39
	;; [unrolled: 1-line block ×4, first 2 shown]
	v_cmp_ne_u32_e64 s16, 0, v1
	v_not_b32_e32 v1, v2
	v_cmp_gt_i32_e64 s17, 0, v2
	v_not_b32_e32 v2, v3
	v_lshlrev_b32_e32 v6, 26, v39
	v_xor_b32_e32 v0, s16, v0
	v_ashrrev_i32_e32 v1, 31, v1
	v_cmp_gt_i32_e64 s16, 0, v3
	v_not_b32_e32 v3, v4
	v_ashrrev_i32_e32 v2, 31, v2
	v_and_b32_e32 v0, exec_lo, v0
	v_xor_b32_e32 v1, s17, v1
	v_cmp_gt_i32_e64 s17, 0, v4
	v_not_b32_e32 v4, v5
	v_ashrrev_i32_e32 v3, 31, v3
	v_xor_b32_e32 v2, s16, v2
	v_and_b32_e32 v0, v0, v1
	v_cmp_gt_i32_e64 s16, 0, v5
	v_not_b32_e32 v1, v6
	v_ashrrev_i32_e32 v4, 31, v4
	v_xor_b32_e32 v3, s17, v3
	v_and_b32_e32 v0, v0, v2
	v_lshlrev_b32_e32 v2, 25, v39
	v_cmp_gt_i32_e64 s17, 0, v6
	v_ashrrev_i32_e32 v1, 31, v1
	v_xor_b32_e32 v4, s16, v4
	v_and_b32_e32 v0, v0, v3
	v_not_b32_e32 v5, v2
	v_lshlrev_b32_e32 v6, 24, v39
	v_lshrrev_b32_e32 v3, 5, v24
	v_xor_b32_e32 v1, s17, v1
	v_and_b32_e32 v0, v0, v4
	v_cmp_gt_i32_e64 s16, 0, v2
	v_ashrrev_i32_e32 v2, 31, v5
	v_not_b32_e32 v4, v6
	v_and_b32_e32 v3, 0x7f8, v3
	v_and_b32_e32 v0, v0, v1
	s_delay_alu instid0(VALU_DEP_4) | instskip(SKIP_3) | instid1(VALU_DEP_4)
	v_xor_b32_e32 v1, s16, v2
	v_cmp_gt_i32_e64 s16, 0, v6
	v_ashrrev_i32_e32 v2, 31, v4
	v_add_lshl_u32 v3, v22, v3, 2
	v_and_b32_e32 v0, v0, v1
	s_delay_alu instid0(VALU_DEP_3) | instskip(SKIP_3) | instid1(VALU_DEP_1)
	v_xor_b32_e32 v1, s16, v2
	ds_load_b32 v44, v3 offset:32
	v_add_nc_u32_e32 v46, 32, v3
	; wave barrier
	v_and_b32_e32 v0, v0, v1
	v_mbcnt_lo_u32_b32 v45, v0, 0
	v_cmp_ne_u32_e64 s17, 0, v0
	s_delay_alu instid0(VALU_DEP_2) | instskip(NEXT) | instid1(VALU_DEP_1)
	v_cmp_eq_u32_e64 s16, 0, v45
	s_and_b32 s17, s17, s16
	s_delay_alu instid0(SALU_CYCLE_1)
	s_and_saveexec_b32 s16, s17
	s_cbranch_execz .LBB77_6
; %bb.5:                                ;   in Loop: Header=BB77_2 Depth=1
	s_waitcnt lgkmcnt(0)
	v_bcnt_u32_b32 v0, v0, v44
	ds_store_b32 v46, v0
.LBB77_6:                               ;   in Loop: Header=BB77_2 Depth=1
	s_or_b32 exec_lo, exec_lo, s16
	v_bfe_u32 v0, v24, 16, 1
	v_lshrrev_b32_e32 v47, 16, v24
	; wave barrier
	s_delay_alu instid0(VALU_DEP_2) | instskip(NEXT) | instid1(VALU_DEP_1)
	v_add_co_u32 v0, s16, v0, -1
	v_cndmask_b32_e64 v1, 0, 1, s16
	s_delay_alu instid0(VALU_DEP_3)
	v_lshlrev_b32_e32 v2, 30, v47
	v_lshlrev_b32_e32 v3, 29, v47
	v_lshlrev_b32_e32 v4, 28, v47
	v_lshlrev_b32_e32 v5, 27, v47
	v_cmp_ne_u32_e64 s16, 0, v1
	v_not_b32_e32 v1, v2
	v_cmp_gt_i32_e64 s17, 0, v2
	v_not_b32_e32 v2, v3
	v_lshlrev_b32_e32 v6, 26, v47
	v_xor_b32_e32 v0, s16, v0
	v_ashrrev_i32_e32 v1, 31, v1
	v_cmp_gt_i32_e64 s16, 0, v3
	v_not_b32_e32 v3, v4
	v_ashrrev_i32_e32 v2, 31, v2
	v_and_b32_e32 v0, exec_lo, v0
	v_xor_b32_e32 v1, s17, v1
	v_cmp_gt_i32_e64 s17, 0, v4
	v_not_b32_e32 v4, v5
	v_ashrrev_i32_e32 v3, 31, v3
	v_xor_b32_e32 v2, s16, v2
	v_and_b32_e32 v0, v0, v1
	v_cmp_gt_i32_e64 s16, 0, v5
	v_not_b32_e32 v1, v6
	v_ashrrev_i32_e32 v4, 31, v4
	v_xor_b32_e32 v3, s17, v3
	v_and_b32_e32 v0, v0, v2
	v_lshlrev_b32_e32 v2, 25, v47
	v_cmp_gt_i32_e64 s17, 0, v6
	v_ashrrev_i32_e32 v1, 31, v1
	v_xor_b32_e32 v4, s16, v4
	v_and_b32_e32 v0, v0, v3
	v_not_b32_e32 v5, v2
	v_lshlrev_b32_e32 v6, 24, v47
	v_lshrrev_b32_e32 v3, 13, v24
	v_xor_b32_e32 v1, s17, v1
	v_and_b32_e32 v0, v0, v4
	v_cmp_gt_i32_e64 s16, 0, v2
	v_ashrrev_i32_e32 v2, 31, v5
	v_not_b32_e32 v4, v6
	v_and_b32_e32 v3, 0x7f8, v3
	v_and_b32_e32 v0, v0, v1
	s_delay_alu instid0(VALU_DEP_4) | instskip(SKIP_3) | instid1(VALU_DEP_4)
	v_xor_b32_e32 v1, s16, v2
	v_cmp_gt_i32_e64 s16, 0, v6
	v_ashrrev_i32_e32 v2, 31, v4
	v_add_lshl_u32 v3, v22, v3, 2
	v_and_b32_e32 v0, v0, v1
	s_delay_alu instid0(VALU_DEP_3) | instskip(SKIP_3) | instid1(VALU_DEP_1)
	v_xor_b32_e32 v1, s16, v2
	ds_load_b32 v48, v3 offset:32
	v_add_nc_u32_e32 v50, 32, v3
	; wave barrier
	v_and_b32_e32 v0, v0, v1
	v_mbcnt_lo_u32_b32 v49, v0, 0
	v_cmp_ne_u32_e64 s17, 0, v0
	s_delay_alu instid0(VALU_DEP_2) | instskip(NEXT) | instid1(VALU_DEP_1)
	v_cmp_eq_u32_e64 s16, 0, v49
	s_and_b32 s17, s17, s16
	s_delay_alu instid0(SALU_CYCLE_1)
	s_and_saveexec_b32 s16, s17
	s_cbranch_execz .LBB77_8
; %bb.7:                                ;   in Loop: Header=BB77_2 Depth=1
	s_waitcnt lgkmcnt(0)
	v_bcnt_u32_b32 v0, v0, v48
	ds_store_b32 v50, v0
.LBB77_8:                               ;   in Loop: Header=BB77_2 Depth=1
	s_or_b32 exec_lo, exec_lo, s16
	v_bfe_u32 v0, v24, 24, 1
	v_lshrrev_b32_e32 v51, 24, v24
	; wave barrier
	s_delay_alu instid0(VALU_DEP_2) | instskip(NEXT) | instid1(VALU_DEP_1)
	v_add_co_u32 v0, s16, v0, -1
	v_cndmask_b32_e64 v1, 0, 1, s16
	s_delay_alu instid0(VALU_DEP_3)
	v_lshlrev_b32_e32 v2, 30, v51
	v_lshlrev_b32_e32 v3, 29, v51
	;; [unrolled: 1-line block ×4, first 2 shown]
	v_cmp_ne_u32_e64 s16, 0, v1
	v_not_b32_e32 v1, v2
	v_cmp_gt_i32_e64 s17, 0, v2
	v_not_b32_e32 v2, v3
	v_lshlrev_b32_e32 v6, 26, v51
	v_xor_b32_e32 v0, s16, v0
	v_ashrrev_i32_e32 v1, 31, v1
	v_cmp_gt_i32_e64 s16, 0, v3
	v_not_b32_e32 v3, v4
	v_ashrrev_i32_e32 v2, 31, v2
	v_and_b32_e32 v0, exec_lo, v0
	v_xor_b32_e32 v1, s17, v1
	v_cmp_gt_i32_e64 s17, 0, v4
	v_not_b32_e32 v4, v5
	v_ashrrev_i32_e32 v3, 31, v3
	v_xor_b32_e32 v2, s16, v2
	v_and_b32_e32 v0, v0, v1
	v_lshlrev_b32_e32 v1, 25, v51
	v_cmp_gt_i32_e64 s16, 0, v5
	v_ashrrev_i32_e32 v4, 31, v4
	v_xor_b32_e32 v3, s17, v3
	v_and_b32_e32 v0, v0, v2
	v_not_b32_e32 v5, v6
	v_not_b32_e32 v7, v1
	v_xor_b32_e32 v4, s16, v4
	v_cmp_gt_i32_e64 s16, 0, v6
	v_and_b32_e32 v0, v0, v3
	v_ashrrev_i32_e32 v3, 31, v5
	v_and_b32_e32 v2, 0xff000000, v24
	v_cmp_gt_i32_e64 s17, 0, v1
	v_ashrrev_i32_e32 v1, 31, v7
	v_and_b32_e32 v0, v0, v4
	v_not_b32_e32 v4, v24
	v_xor_b32_e32 v3, s16, v3
	v_lshlrev_b32_e32 v5, 3, v51
	v_xor_b32_e32 v1, s17, v1
	v_cmp_gt_i32_e64 s16, 0, v2
	v_ashrrev_i32_e32 v2, 31, v4
	v_and_b32_e32 v0, v0, v3
	v_add_lshl_u32 v3, v22, v5, 2
	s_delay_alu instid0(VALU_DEP_3) | instskip(NEXT) | instid1(VALU_DEP_3)
	v_xor_b32_e32 v2, s16, v2
	v_and_b32_e32 v0, v0, v1
	ds_load_b32 v52, v3 offset:32
	v_add_nc_u32_e32 v54, 32, v3
	; wave barrier
	v_and_b32_e32 v0, v0, v2
	s_delay_alu instid0(VALU_DEP_1) | instskip(SKIP_1) | instid1(VALU_DEP_2)
	v_mbcnt_lo_u32_b32 v53, v0, 0
	v_cmp_ne_u32_e64 s17, 0, v0
	v_cmp_eq_u32_e64 s16, 0, v53
	s_delay_alu instid0(VALU_DEP_1) | instskip(NEXT) | instid1(SALU_CYCLE_1)
	s_and_b32 s17, s17, s16
	s_and_saveexec_b32 s16, s17
	s_cbranch_execz .LBB77_10
; %bb.9:                                ;   in Loop: Header=BB77_2 Depth=1
	s_waitcnt lgkmcnt(0)
	v_bcnt_u32_b32 v0, v0, v52
	ds_store_b32 v54, v0
.LBB77_10:                              ;   in Loop: Header=BB77_2 Depth=1
	s_or_b32 exec_lo, exec_lo, s16
	; wave barrier
	s_waitcnt lgkmcnt(0)
	s_barrier
	buffer_gl0_inv
	ds_load_2addr_b64 v[4:7], v17 offset0:4 offset1:5
	ds_load_2addr_b64 v[0:3], v18 offset0:2 offset1:3
	s_waitcnt lgkmcnt(1)
	v_add_nc_u32_e32 v55, v5, v4
	s_delay_alu instid0(VALU_DEP_1) | instskip(SKIP_1) | instid1(VALU_DEP_1)
	v_add3_u32 v55, v55, v6, v7
	s_waitcnt lgkmcnt(0)
	v_add3_u32 v55, v55, v0, v1
	s_delay_alu instid0(VALU_DEP_1) | instskip(NEXT) | instid1(VALU_DEP_1)
	v_add3_u32 v3, v55, v2, v3
	v_mov_b32_dpp v55, v3 row_shr:1 row_mask:0xf bank_mask:0xf
	s_delay_alu instid0(VALU_DEP_1) | instskip(NEXT) | instid1(VALU_DEP_1)
	v_cndmask_b32_e64 v55, v55, 0, s4
	v_add_nc_u32_e32 v3, v55, v3
	s_delay_alu instid0(VALU_DEP_1) | instskip(NEXT) | instid1(VALU_DEP_1)
	v_mov_b32_dpp v55, v3 row_shr:2 row_mask:0xf bank_mask:0xf
	v_cndmask_b32_e64 v55, 0, v55, s5
	s_delay_alu instid0(VALU_DEP_1) | instskip(NEXT) | instid1(VALU_DEP_1)
	v_add_nc_u32_e32 v3, v3, v55
	v_mov_b32_dpp v55, v3 row_shr:4 row_mask:0xf bank_mask:0xf
	s_delay_alu instid0(VALU_DEP_1) | instskip(NEXT) | instid1(VALU_DEP_1)
	v_cndmask_b32_e64 v55, 0, v55, s6
	v_add_nc_u32_e32 v3, v3, v55
	s_delay_alu instid0(VALU_DEP_1) | instskip(NEXT) | instid1(VALU_DEP_1)
	v_mov_b32_dpp v55, v3 row_shr:8 row_mask:0xf bank_mask:0xf
	v_cndmask_b32_e64 v55, 0, v55, s7
	s_delay_alu instid0(VALU_DEP_1) | instskip(SKIP_3) | instid1(VALU_DEP_1)
	v_add_nc_u32_e32 v3, v3, v55
	ds_swizzle_b32 v55, v3 offset:swizzle(BROADCAST,32,15)
	s_waitcnt lgkmcnt(0)
	v_cndmask_b32_e64 v55, v55, 0, s8
	v_add_nc_u32_e32 v3, v3, v55
	s_and_saveexec_b32 s16, s15
	s_cbranch_execz .LBB77_12
; %bb.11:                               ;   in Loop: Header=BB77_2 Depth=1
	ds_store_b32 v19, v3
.LBB77_12:                              ;   in Loop: Header=BB77_2 Depth=1
	s_or_b32 exec_lo, exec_lo, s16
	s_waitcnt lgkmcnt(0)
	s_barrier
	buffer_gl0_inv
	s_and_saveexec_b32 s16, s9
	s_cbranch_execz .LBB77_14
; %bb.13:                               ;   in Loop: Header=BB77_2 Depth=1
	ds_load_b32 v55, v23
	s_waitcnt lgkmcnt(0)
	v_mov_b32_dpp v56, v55 row_shr:1 row_mask:0xf bank_mask:0xf
	s_delay_alu instid0(VALU_DEP_1) | instskip(NEXT) | instid1(VALU_DEP_1)
	v_cndmask_b32_e64 v56, v56, 0, s12
	v_add_nc_u32_e32 v55, v56, v55
	s_delay_alu instid0(VALU_DEP_1) | instskip(NEXT) | instid1(VALU_DEP_1)
	v_mov_b32_dpp v56, v55 row_shr:2 row_mask:0xf bank_mask:0xf
	v_cndmask_b32_e64 v56, 0, v56, s13
	s_delay_alu instid0(VALU_DEP_1) | instskip(NEXT) | instid1(VALU_DEP_1)
	v_add_nc_u32_e32 v55, v55, v56
	v_mov_b32_dpp v56, v55 row_shr:4 row_mask:0xf bank_mask:0xf
	s_delay_alu instid0(VALU_DEP_1) | instskip(NEXT) | instid1(VALU_DEP_1)
	v_cndmask_b32_e64 v56, 0, v56, s14
	v_add_nc_u32_e32 v55, v55, v56
	ds_store_b32 v23, v55
.LBB77_14:                              ;   in Loop: Header=BB77_2 Depth=1
	s_or_b32 exec_lo, exec_lo, s16
	v_mov_b32_e32 v55, 0
	s_waitcnt lgkmcnt(0)
	s_barrier
	buffer_gl0_inv
	s_and_saveexec_b32 s16, s10
	s_cbranch_execz .LBB77_1
; %bb.15:                               ;   in Loop: Header=BB77_2 Depth=1
	ds_load_b32 v55, v21
	s_branch .LBB77_1
.LBB77_16:
	s_waitcnt lgkmcnt(0)
	v_lshrrev_b32_e32 v7, 8, v0
	s_add_u32 s0, s18, s20
	v_lshrrev_b32_e32 v6, 16, v0
	v_lshrrev_b32_e32 v9, 24, v0
	s_addc_u32 s1, s19, 0
	v_add_co_u32 v4, s0, s0, v8
	v_add_nc_u16 v0, v5, v0
	v_add_co_ci_u32_e64 v5, null, s1, 0, s0
	v_add_nc_u16 v1, v1, v7
	v_add_nc_u16 v3, v3, v6
	;; [unrolled: 1-line block ×3, first 2 shown]
	s_clause 0x3
	global_store_b8 v[4:5], v0, off
	global_store_b8 v[4:5], v1, off offset:256
	global_store_b8 v[4:5], v3, off offset:512
	;; [unrolled: 1-line block ×3, first 2 shown]
	s_nop 0
	s_sendmsg sendmsg(MSG_DEALLOC_VGPRS)
	s_endpgm
	.section	.rodata,"a",@progbits
	.p2align	6, 0x0
	.amdhsa_kernel _Z17sort_pairs_kernelI22helper_blocked_blockedaLj256ELj4ELj10EEvPKT0_PS1_
		.amdhsa_group_segment_fixed_size 8224
		.amdhsa_private_segment_fixed_size 0
		.amdhsa_kernarg_size 272
		.amdhsa_user_sgpr_count 15
		.amdhsa_user_sgpr_dispatch_ptr 0
		.amdhsa_user_sgpr_queue_ptr 0
		.amdhsa_user_sgpr_kernarg_segment_ptr 1
		.amdhsa_user_sgpr_dispatch_id 0
		.amdhsa_user_sgpr_private_segment_size 0
		.amdhsa_wavefront_size32 1
		.amdhsa_uses_dynamic_stack 0
		.amdhsa_enable_private_segment 0
		.amdhsa_system_sgpr_workgroup_id_x 1
		.amdhsa_system_sgpr_workgroup_id_y 0
		.amdhsa_system_sgpr_workgroup_id_z 0
		.amdhsa_system_sgpr_workgroup_info 0
		.amdhsa_system_vgpr_workitem_id 2
		.amdhsa_next_free_vgpr 57
		.amdhsa_next_free_sgpr 22
		.amdhsa_reserve_vcc 1
		.amdhsa_float_round_mode_32 0
		.amdhsa_float_round_mode_16_64 0
		.amdhsa_float_denorm_mode_32 3
		.amdhsa_float_denorm_mode_16_64 3
		.amdhsa_dx10_clamp 1
		.amdhsa_ieee_mode 1
		.amdhsa_fp16_overflow 0
		.amdhsa_workgroup_processor_mode 1
		.amdhsa_memory_ordered 1
		.amdhsa_forward_progress 0
		.amdhsa_shared_vgpr_count 0
		.amdhsa_exception_fp_ieee_invalid_op 0
		.amdhsa_exception_fp_denorm_src 0
		.amdhsa_exception_fp_ieee_div_zero 0
		.amdhsa_exception_fp_ieee_overflow 0
		.amdhsa_exception_fp_ieee_underflow 0
		.amdhsa_exception_fp_ieee_inexact 0
		.amdhsa_exception_int_div_zero 0
	.end_amdhsa_kernel
	.section	.text._Z17sort_pairs_kernelI22helper_blocked_blockedaLj256ELj4ELj10EEvPKT0_PS1_,"axG",@progbits,_Z17sort_pairs_kernelI22helper_blocked_blockedaLj256ELj4ELj10EEvPKT0_PS1_,comdat
.Lfunc_end77:
	.size	_Z17sort_pairs_kernelI22helper_blocked_blockedaLj256ELj4ELj10EEvPKT0_PS1_, .Lfunc_end77-_Z17sort_pairs_kernelI22helper_blocked_blockedaLj256ELj4ELj10EEvPKT0_PS1_
                                        ; -- End function
	.section	.AMDGPU.csdata,"",@progbits
; Kernel info:
; codeLenInByte = 4768
; NumSgprs: 24
; NumVgprs: 57
; ScratchSize: 0
; MemoryBound: 0
; FloatMode: 240
; IeeeMode: 1
; LDSByteSize: 8224 bytes/workgroup (compile time only)
; SGPRBlocks: 2
; VGPRBlocks: 7
; NumSGPRsForWavesPerEU: 24
; NumVGPRsForWavesPerEU: 57
; Occupancy: 16
; WaveLimiterHint : 1
; COMPUTE_PGM_RSRC2:SCRATCH_EN: 0
; COMPUTE_PGM_RSRC2:USER_SGPR: 15
; COMPUTE_PGM_RSRC2:TRAP_HANDLER: 0
; COMPUTE_PGM_RSRC2:TGID_X_EN: 1
; COMPUTE_PGM_RSRC2:TGID_Y_EN: 0
; COMPUTE_PGM_RSRC2:TGID_Z_EN: 0
; COMPUTE_PGM_RSRC2:TIDIG_COMP_CNT: 2
	.section	.text._Z16sort_keys_kernelI22helper_blocked_blockedaLj256ELj8ELj10EEvPKT0_PS1_,"axG",@progbits,_Z16sort_keys_kernelI22helper_blocked_blockedaLj256ELj8ELj10EEvPKT0_PS1_,comdat
	.protected	_Z16sort_keys_kernelI22helper_blocked_blockedaLj256ELj8ELj10EEvPKT0_PS1_ ; -- Begin function _Z16sort_keys_kernelI22helper_blocked_blockedaLj256ELj8ELj10EEvPKT0_PS1_
	.globl	_Z16sort_keys_kernelI22helper_blocked_blockedaLj256ELj8ELj10EEvPKT0_PS1_
	.p2align	8
	.type	_Z16sort_keys_kernelI22helper_blocked_blockedaLj256ELj8ELj10EEvPKT0_PS1_,@function
_Z16sort_keys_kernelI22helper_blocked_blockedaLj256ELj8ELj10EEvPKT0_PS1_: ; @_Z16sort_keys_kernelI22helper_blocked_blockedaLj256ELj8ELj10EEvPKT0_PS1_
; %bb.0:
	s_clause 0x1
	s_load_b128 s[16:19], s[0:1], 0x0
	s_load_b32 s11, s[0:1], 0x1c
	s_lshl_b32 s14, s15, 11
	v_and_b32_e32 v8, 0x3ff, v0
	v_mbcnt_lo_u32_b32 v14, -1, 0
	v_bfe_u32 v20, v0, 10, 10
	v_bfe_u32 v0, v0, 20, 10
	s_mov_b32 s15, 10
	s_delay_alu instid0(VALU_DEP_3)
	v_and_b32_e32 v18, 7, v14
	v_add_nc_u32_e32 v17, -1, v14
	v_and_b32_e32 v16, 16, v14
	v_cmp_eq_u32_e32 vcc_lo, 0, v14
	v_and_b32_e32 v15, 15, v14
	v_cmp_eq_u32_e64 s8, 0, v18
	v_cmp_lt_u32_e64 s9, 1, v18
	v_cmp_lt_u32_e64 s10, 3, v18
	v_cmp_gt_i32_e64 s7, 0, v17
	v_cmp_eq_u32_e64 s4, 0, v16
	s_waitcnt lgkmcnt(0)
	s_add_u32 s0, s16, s14
	s_addc_u32 s1, s17, 0
	s_clause 0x7
	global_load_u8 v1, v8, s[0:1] offset:256
	global_load_u8 v2, v8, s[0:1] offset:768
	;; [unrolled: 1-line block ×4, first 2 shown]
	global_load_u8 v5, v8, s[0:1]
	global_load_u8 v6, v8, s[0:1] offset:512
	global_load_u8 v7, v8, s[0:1] offset:1024
	;; [unrolled: 1-line block ×3, first 2 shown]
	s_mov_b32 s0, 0
	s_lshr_b32 s12, s11, 16
	s_mov_b32 s1, s0
	s_mov_b32 s2, s0
	;; [unrolled: 1-line block ×3, first 2 shown]
	v_dual_mov_b32 v10, s1 :: v_dual_mov_b32 v9, s0
	v_lshrrev_b32_e32 v23, 3, v8
	v_mad_u32_u24 v20, v0, s12, v20
	s_and_b32 s11, s11, 0xffff
	v_lshlrev_b32_e32 v21, 3, v8
	v_and_b32_e32 v22, 0xe0, v8
	v_and_b32_e32 v18, 28, v23
	v_lshlrev_b32_e32 v13, 5, v8
	v_lshlrev_b32_e32 v24, 2, v8
	v_mov_b32_e32 v12, s3
	v_cndmask_b32_e64 v16, v17, v14, s7
	v_or_b32_e32 v25, v14, v22
	v_and_or_b32 v14, 0x700, v21, v14
	v_or_b32_e32 v21, 31, v22
	v_mad_i32_i24 v17, 0xffffffe8, v8, v13
	v_sub_nc_u32_e32 v22, 0, v24
	v_mov_b32_e32 v11, s2
	v_cmp_eq_u32_e64 s0, 0, v15
	v_cmp_lt_u32_e64 s1, 1, v15
	v_cmp_lt_u32_e64 s2, 3, v15
	;; [unrolled: 1-line block ×3, first 2 shown]
	v_cmp_gt_u32_e64 s5, 8, v8
	v_cmp_lt_u32_e64 s6, 31, v8
	v_cmp_eq_u32_e64 s7, 0, v8
	v_add_nc_u32_e32 v15, 32, v13
	v_lshlrev_b32_e32 v16, 2, v16
	v_add_nc_u32_e32 v22, v17, v22
	s_waitcnt vmcnt(7)
	v_lshlrev_b16 v23, 8, v1
	s_waitcnt vmcnt(6)
	v_lshlrev_b16 v2, 8, v2
	;; [unrolled: 2-line block ×4, first 2 shown]
	v_mad_u64_u32 v[0:1], null, v20, s11, v[8:9]
	s_waitcnt vmcnt(3)
	v_or_b32_e32 v1, v5, v23
	s_waitcnt vmcnt(2)
	v_or_b32_e32 v2, v6, v2
	;; [unrolled: 2-line block ×4, first 2 shown]
	v_lshlrev_b32_e32 v19, 3, v25
	v_and_b32_e32 v1, 0xffff, v1
	v_lshlrev_b32_e32 v2, 16, v2
	v_and_b32_e32 v3, 0xffff, v3
	v_lshlrev_b32_e32 v4, 16, v4
	v_cmp_eq_u32_e64 s11, v21, v8
	v_add_nc_u32_e32 v20, -4, v18
	v_lshrrev_b32_e32 v21, 5, v0
	v_or_b32_e32 v23, v1, v2
	v_or_b32_e32 v24, v3, v4
	s_branch .LBB78_2
.LBB78_1:                               ;   in Loop: Header=BB78_2 Depth=1
	s_or_b32 exec_lo, exec_lo, s12
	s_waitcnt lgkmcnt(0)
	v_add_nc_u32_e32 v3, v54, v3
	s_add_i32 s15, s15, -1
	s_delay_alu instid0(SALU_CYCLE_1) | instskip(SKIP_3) | instid1(VALU_DEP_1)
	s_cmp_eq_u32 s15, 0
	ds_bpermute_b32 v3, v16, v3
	s_waitcnt lgkmcnt(0)
	v_cndmask_b32_e32 v3, v3, v54, vcc_lo
	v_cndmask_b32_e64 v3, v3, 0, s7
	s_delay_alu instid0(VALU_DEP_1) | instskip(NEXT) | instid1(VALU_DEP_1)
	v_add_nc_u32_e32 v4, v3, v4
	v_add_nc_u32_e32 v5, v4, v5
	s_delay_alu instid0(VALU_DEP_1) | instskip(NEXT) | instid1(VALU_DEP_1)
	v_add_nc_u32_e32 v6, v5, v6
	v_add_nc_u32_e32 v54, v6, v7
	;; [unrolled: 3-line block ×3, first 2 shown]
	s_delay_alu instid0(VALU_DEP_1)
	v_add_nc_u32_e32 v1, v0, v2
	ds_store_2addr_b64 v13, v[3:4], v[5:6] offset0:4 offset1:5
	ds_store_2addr_b64 v15, v[54:55], v[0:1] offset0:2 offset1:3
	s_waitcnt lgkmcnt(0)
	s_barrier
	buffer_gl0_inv
	ds_load_b32 v0, v32
	ds_load_b32 v1, v35
	;; [unrolled: 1-line block ×8, first 2 shown]
	s_waitcnt lgkmcnt(0)
	s_barrier
	buffer_gl0_inv
	v_add_nc_u32_e32 v0, v0, v31
	v_add3_u32 v1, v34, v33, v1
	v_add3_u32 v2, v37, v36, v2
	;; [unrolled: 1-line block ×7, first 2 shown]
	ds_store_b8 v0, v23
	ds_store_b8 v1, v24
	ds_store_b8 v2, v25
	ds_store_b8 v3, v26
	ds_store_b8 v4, v27
	ds_store_b8 v5, v28
	ds_store_b8 v6, v29
	ds_store_b8 v7, v30
	s_waitcnt lgkmcnt(0)
	s_barrier
	buffer_gl0_inv
	ds_load_b64 v[0:1], v17
	s_waitcnt lgkmcnt(0)
	v_lshrrev_b32_e32 v2, 8, v0
	v_lshrrev_b32_e32 v3, 16, v0
	;; [unrolled: 1-line block ×6, first 2 shown]
	v_xor_b32_e32 v0, 0xffffff80, v0
	v_xor_b32_e32 v1, 0xffffff80, v1
	;; [unrolled: 1-line block ×8, first 2 shown]
	v_and_b32_e32 v23, 0xff, v0
	v_and_b32_e32 v24, 0xff, v1
	v_lshlrev_b16 v25, 8, v5
	v_lshlrev_b16 v26, 8, v7
	v_and_b32_e32 v27, 0xff, v6
	v_lshlrev_b16 v28, 8, v2
	v_lshlrev_b16 v29, 8, v4
	v_and_b32_e32 v30, 0xff, v3
	v_or_b32_e32 v23, v23, v25
	v_or_b32_e32 v25, v27, v26
	;; [unrolled: 1-line block ×3, first 2 shown]
	s_delay_alu instid0(VALU_DEP_4) | instskip(NEXT) | instid1(VALU_DEP_4)
	v_or_b32_e32 v26, v30, v29
	v_and_b32_e32 v23, 0xffff, v23
	s_delay_alu instid0(VALU_DEP_4) | instskip(NEXT) | instid1(VALU_DEP_4)
	v_lshlrev_b32_e32 v25, 16, v25
	v_and_b32_e32 v24, 0xffff, v24
	s_delay_alu instid0(VALU_DEP_4) | instskip(NEXT) | instid1(VALU_DEP_3)
	v_lshlrev_b32_e32 v26, 16, v26
	v_or_b32_e32 v23, v23, v25
	s_delay_alu instid0(VALU_DEP_2)
	v_or_b32_e32 v24, v24, v26
	s_cbranch_scc1 .LBB78_24
.LBB78_2:                               ; =>This Inner Loop Header: Depth=1
	s_delay_alu instid0(VALU_DEP_1) | instskip(NEXT) | instid1(VALU_DEP_3)
	v_lshrrev_b32_e32 v0, 16, v24
	v_lshrrev_b32_e32 v1, 16, v23
	v_xor_b32_e32 v2, 0x80, v24
	v_xor_b32_e32 v6, 0x80, v23
	v_and_b32_e32 v3, 0xffffff00, v24
	v_xor_b32_e32 v5, 0x80, v0
	v_xor_b32_e32 v7, 0x80, v1
	v_and_b32_e32 v4, 0xffffff00, v23
	v_and_b32_e32 v2, 0xff, v2
	;; [unrolled: 1-line block ×7, first 2 shown]
	v_or_b32_e32 v2, v2, v3
	v_or_b32_e32 v0, v5, v0
	;; [unrolled: 1-line block ×3, first 2 shown]
	s_delay_alu instid0(VALU_DEP_4) | instskip(NEXT) | instid1(VALU_DEP_4)
	v_or_b32_e32 v1, v7, v1
	v_add_nc_u16 v2, v2, 0x8000
	s_delay_alu instid0(VALU_DEP_4) | instskip(NEXT) | instid1(VALU_DEP_4)
	v_add_nc_u16 v0, v0, 0x8000
	v_add_nc_u16 v3, v3, 0x8000
	s_delay_alu instid0(VALU_DEP_4) | instskip(NEXT) | instid1(VALU_DEP_4)
	v_add_nc_u16 v1, v1, 0x8000
	v_and_b32_e32 v2, 0xffff, v2
	s_delay_alu instid0(VALU_DEP_4) | instskip(NEXT) | instid1(VALU_DEP_4)
	v_lshlrev_b32_e32 v0, 16, v0
	v_and_b32_e32 v3, 0xffff, v3
	s_delay_alu instid0(VALU_DEP_4) | instskip(NEXT) | instid1(VALU_DEP_3)
	v_lshlrev_b32_e32 v4, 16, v1
	v_or_b32_e32 v1, v2, v0
	s_delay_alu instid0(VALU_DEP_2)
	v_or_b32_e32 v0, v3, v4
	ds_store_b64 v19, v[0:1]
	; wave barrier
	ds_load_u8 v23, v14
	ds_load_u8 v24, v14 offset:32
	ds_load_u8 v25, v14 offset:64
	;; [unrolled: 1-line block ×7, first 2 shown]
	; wave barrier
	; wave barrier
	s_waitcnt lgkmcnt(0)
	s_barrier
	buffer_gl0_inv
	ds_store_2addr_b64 v13, v[9:10], v[11:12] offset0:4 offset1:5
	ds_store_2addr_b64 v15, v[9:10], v[11:12] offset0:2 offset1:3
	s_waitcnt lgkmcnt(0)
	s_barrier
	buffer_gl0_inv
	v_and_b32_e32 v0, 1, v23
	v_lshlrev_b32_e32 v1, 30, v23
	v_lshlrev_b32_e32 v2, 29, v23
	;; [unrolled: 1-line block ×4, first 2 shown]
	v_add_co_u32 v0, s12, v0, -1
	s_delay_alu instid0(VALU_DEP_1)
	v_cndmask_b32_e64 v4, 0, 1, s12
	v_not_b32_e32 v31, v1
	v_cmp_gt_i32_e64 s13, 0, v1
	v_not_b32_e32 v1, v2
	v_lshlrev_b32_e32 v6, 26, v23
	v_cmp_ne_u32_e64 s12, 0, v4
	v_ashrrev_i32_e32 v31, 31, v31
	v_lshlrev_b32_e32 v7, 25, v23
	v_ashrrev_i32_e32 v1, 31, v1
	v_lshlrev_b32_e32 v4, 24, v23
	v_xor_b32_e32 v0, s12, v0
	v_cmp_gt_i32_e64 s12, 0, v2
	v_not_b32_e32 v2, v3
	v_xor_b32_e32 v31, s13, v31
	v_cmp_gt_i32_e64 s13, 0, v3
	v_and_b32_e32 v0, exec_lo, v0
	v_not_b32_e32 v3, v5
	v_ashrrev_i32_e32 v2, 31, v2
	v_xor_b32_e32 v1, s12, v1
	v_cmp_gt_i32_e64 s12, 0, v5
	v_and_b32_e32 v0, v0, v31
	v_not_b32_e32 v5, v6
	v_ashrrev_i32_e32 v3, 31, v3
	v_xor_b32_e32 v2, s13, v2
	v_cmp_gt_i32_e64 s13, 0, v6
	v_and_b32_e32 v0, v0, v1
	v_not_b32_e32 v1, v7
	v_ashrrev_i32_e32 v5, 31, v5
	v_xor_b32_e32 v3, s12, v3
	v_cmp_gt_i32_e64 s12, 0, v7
	v_and_b32_e32 v0, v0, v2
	v_not_b32_e32 v2, v4
	v_ashrrev_i32_e32 v1, 31, v1
	v_xor_b32_e32 v5, s13, v5
	v_cmp_gt_i32_e64 s13, 0, v4
	v_and_b32_e32 v0, v0, v3
	v_ashrrev_i32_e32 v2, 31, v2
	v_xor_b32_e32 v1, s12, v1
	; wave barrier
	s_delay_alu instid0(VALU_DEP_3) | instskip(NEXT) | instid1(VALU_DEP_3)
	v_and_b32_e32 v0, v0, v5
	v_xor_b32_e32 v2, s13, v2
	s_delay_alu instid0(VALU_DEP_2) | instskip(SKIP_1) | instid1(VALU_DEP_2)
	v_and_b32_e32 v0, v0, v1
	v_and_b32_e32 v1, 0xff, v23
	;; [unrolled: 1-line block ×3, first 2 shown]
	s_delay_alu instid0(VALU_DEP_2) | instskip(NEXT) | instid1(VALU_DEP_2)
	v_lshl_add_u32 v1, v1, 3, v21
	v_mbcnt_lo_u32_b32 v31, v0, 0
	v_cmp_ne_u32_e64 s13, 0, v0
	s_delay_alu instid0(VALU_DEP_3) | instskip(NEXT) | instid1(VALU_DEP_3)
	v_lshl_add_u32 v32, v1, 2, 32
	v_cmp_eq_u32_e64 s12, 0, v31
	s_delay_alu instid0(VALU_DEP_1) | instskip(NEXT) | instid1(SALU_CYCLE_1)
	s_and_b32 s13, s13, s12
	s_and_saveexec_b32 s12, s13
	s_cbranch_execz .LBB78_4
; %bb.3:                                ;   in Loop: Header=BB78_2 Depth=1
	v_bcnt_u32_b32 v0, v0, 0
	ds_store_b32 v32, v0
.LBB78_4:                               ;   in Loop: Header=BB78_2 Depth=1
	s_or_b32 exec_lo, exec_lo, s12
	v_and_b32_e32 v0, 1, v24
	v_lshlrev_b32_e32 v2, 30, v24
	v_lshlrev_b32_e32 v4, 29, v24
	;; [unrolled: 1-line block ×4, first 2 shown]
	v_add_co_u32 v0, s12, v0, -1
	s_delay_alu instid0(VALU_DEP_1)
	v_cndmask_b32_e64 v3, 0, 1, s12
	v_not_b32_e32 v7, v2
	v_cmp_gt_i32_e64 s13, 0, v2
	v_not_b32_e32 v2, v4
	v_and_b32_e32 v1, 0xff, v24
	v_cmp_ne_u32_e64 s12, 0, v3
	v_ashrrev_i32_e32 v7, 31, v7
	v_lshlrev_b32_e32 v3, 26, v24
	v_ashrrev_i32_e32 v2, 31, v2
	v_lshlrev_b32_e32 v1, 3, v1
	v_xor_b32_e32 v0, s12, v0
	v_cmp_gt_i32_e64 s12, 0, v4
	v_not_b32_e32 v4, v5
	v_xor_b32_e32 v7, s13, v7
	v_cmp_gt_i32_e64 s13, 0, v5
	v_and_b32_e32 v0, exec_lo, v0
	v_not_b32_e32 v5, v6
	v_ashrrev_i32_e32 v4, 31, v4
	v_xor_b32_e32 v2, s12, v2
	v_cmp_gt_i32_e64 s12, 0, v6
	v_and_b32_e32 v0, v0, v7
	v_lshlrev_b32_e32 v7, 25, v24
	v_ashrrev_i32_e32 v5, 31, v5
	v_xor_b32_e32 v4, s13, v4
	v_not_b32_e32 v6, v3
	v_and_b32_e32 v0, v0, v2
	v_lshlrev_b32_e32 v2, 24, v24
	v_not_b32_e32 v33, v7
	v_xor_b32_e32 v5, s12, v5
	v_cmp_gt_i32_e64 s12, 0, v3
	v_and_b32_e32 v0, v0, v4
	v_ashrrev_i32_e32 v3, 31, v6
	v_cmp_gt_i32_e64 s13, 0, v7
	v_ashrrev_i32_e32 v4, 31, v33
	v_add_lshl_u32 v1, v21, v1, 2
	v_and_b32_e32 v0, v0, v5
	v_not_b32_e32 v5, v2
	v_xor_b32_e32 v3, s12, v3
	v_xor_b32_e32 v4, s13, v4
	v_cmp_gt_i32_e64 s12, 0, v2
	s_delay_alu instid0(VALU_DEP_4) | instskip(NEXT) | instid1(VALU_DEP_4)
	v_ashrrev_i32_e32 v2, 31, v5
	v_and_b32_e32 v0, v0, v3
	; wave barrier
	ds_load_b32 v33, v1 offset:32
	v_add_nc_u32_e32 v35, 32, v1
	v_xor_b32_e32 v2, s12, v2
	v_and_b32_e32 v0, v0, v4
	; wave barrier
	s_delay_alu instid0(VALU_DEP_1) | instskip(NEXT) | instid1(VALU_DEP_1)
	v_and_b32_e32 v0, v0, v2
	v_mbcnt_lo_u32_b32 v34, v0, 0
	v_cmp_ne_u32_e64 s13, 0, v0
	s_delay_alu instid0(VALU_DEP_2) | instskip(NEXT) | instid1(VALU_DEP_1)
	v_cmp_eq_u32_e64 s12, 0, v34
	s_and_b32 s13, s13, s12
	s_delay_alu instid0(SALU_CYCLE_1)
	s_and_saveexec_b32 s12, s13
	s_cbranch_execz .LBB78_6
; %bb.5:                                ;   in Loop: Header=BB78_2 Depth=1
	s_waitcnt lgkmcnt(0)
	v_bcnt_u32_b32 v0, v0, v33
	ds_store_b32 v35, v0
.LBB78_6:                               ;   in Loop: Header=BB78_2 Depth=1
	s_or_b32 exec_lo, exec_lo, s12
	v_and_b32_e32 v0, 1, v25
	v_lshlrev_b32_e32 v2, 30, v25
	v_lshlrev_b32_e32 v4, 29, v25
	;; [unrolled: 1-line block ×4, first 2 shown]
	v_add_co_u32 v0, s12, v0, -1
	s_delay_alu instid0(VALU_DEP_1)
	v_cndmask_b32_e64 v3, 0, 1, s12
	v_not_b32_e32 v7, v2
	v_cmp_gt_i32_e64 s13, 0, v2
	v_not_b32_e32 v2, v4
	v_and_b32_e32 v1, 0xff, v25
	v_cmp_ne_u32_e64 s12, 0, v3
	v_ashrrev_i32_e32 v7, 31, v7
	v_lshlrev_b32_e32 v3, 26, v25
	v_ashrrev_i32_e32 v2, 31, v2
	v_lshlrev_b32_e32 v1, 3, v1
	v_xor_b32_e32 v0, s12, v0
	v_cmp_gt_i32_e64 s12, 0, v4
	v_not_b32_e32 v4, v5
	v_xor_b32_e32 v7, s13, v7
	v_cmp_gt_i32_e64 s13, 0, v5
	v_and_b32_e32 v0, exec_lo, v0
	v_not_b32_e32 v5, v6
	v_ashrrev_i32_e32 v4, 31, v4
	v_xor_b32_e32 v2, s12, v2
	v_cmp_gt_i32_e64 s12, 0, v6
	v_and_b32_e32 v0, v0, v7
	v_lshlrev_b32_e32 v7, 25, v25
	v_ashrrev_i32_e32 v5, 31, v5
	v_xor_b32_e32 v4, s13, v4
	v_not_b32_e32 v6, v3
	v_and_b32_e32 v0, v0, v2
	v_lshlrev_b32_e32 v2, 24, v25
	v_not_b32_e32 v36, v7
	v_xor_b32_e32 v5, s12, v5
	v_cmp_gt_i32_e64 s12, 0, v3
	v_and_b32_e32 v0, v0, v4
	v_ashrrev_i32_e32 v3, 31, v6
	v_cmp_gt_i32_e64 s13, 0, v7
	v_ashrrev_i32_e32 v4, 31, v36
	v_add_lshl_u32 v1, v21, v1, 2
	v_and_b32_e32 v0, v0, v5
	v_not_b32_e32 v5, v2
	v_xor_b32_e32 v3, s12, v3
	v_xor_b32_e32 v4, s13, v4
	v_cmp_gt_i32_e64 s12, 0, v2
	s_delay_alu instid0(VALU_DEP_4) | instskip(NEXT) | instid1(VALU_DEP_4)
	v_ashrrev_i32_e32 v2, 31, v5
	v_and_b32_e32 v0, v0, v3
	; wave barrier
	ds_load_b32 v36, v1 offset:32
	v_add_nc_u32_e32 v38, 32, v1
	v_xor_b32_e32 v2, s12, v2
	v_and_b32_e32 v0, v0, v4
	; wave barrier
	s_delay_alu instid0(VALU_DEP_1) | instskip(NEXT) | instid1(VALU_DEP_1)
	v_and_b32_e32 v0, v0, v2
	v_mbcnt_lo_u32_b32 v37, v0, 0
	v_cmp_ne_u32_e64 s13, 0, v0
	s_delay_alu instid0(VALU_DEP_2) | instskip(NEXT) | instid1(VALU_DEP_1)
	v_cmp_eq_u32_e64 s12, 0, v37
	s_and_b32 s13, s13, s12
	s_delay_alu instid0(SALU_CYCLE_1)
	s_and_saveexec_b32 s12, s13
	s_cbranch_execz .LBB78_8
; %bb.7:                                ;   in Loop: Header=BB78_2 Depth=1
	s_waitcnt lgkmcnt(0)
	v_bcnt_u32_b32 v0, v0, v36
	ds_store_b32 v38, v0
.LBB78_8:                               ;   in Loop: Header=BB78_2 Depth=1
	s_or_b32 exec_lo, exec_lo, s12
	v_and_b32_e32 v0, 1, v26
	v_lshlrev_b32_e32 v2, 30, v26
	v_lshlrev_b32_e32 v4, 29, v26
	;; [unrolled: 1-line block ×4, first 2 shown]
	v_add_co_u32 v0, s12, v0, -1
	s_delay_alu instid0(VALU_DEP_1)
	v_cndmask_b32_e64 v3, 0, 1, s12
	v_not_b32_e32 v7, v2
	v_cmp_gt_i32_e64 s13, 0, v2
	v_not_b32_e32 v2, v4
	v_and_b32_e32 v1, 0xff, v26
	v_cmp_ne_u32_e64 s12, 0, v3
	v_ashrrev_i32_e32 v7, 31, v7
	v_lshlrev_b32_e32 v3, 26, v26
	v_ashrrev_i32_e32 v2, 31, v2
	v_lshlrev_b32_e32 v1, 3, v1
	v_xor_b32_e32 v0, s12, v0
	v_cmp_gt_i32_e64 s12, 0, v4
	v_not_b32_e32 v4, v5
	v_xor_b32_e32 v7, s13, v7
	v_cmp_gt_i32_e64 s13, 0, v5
	v_and_b32_e32 v0, exec_lo, v0
	v_not_b32_e32 v5, v6
	v_ashrrev_i32_e32 v4, 31, v4
	v_xor_b32_e32 v2, s12, v2
	v_cmp_gt_i32_e64 s12, 0, v6
	v_and_b32_e32 v0, v0, v7
	v_lshlrev_b32_e32 v7, 25, v26
	v_ashrrev_i32_e32 v5, 31, v5
	v_xor_b32_e32 v4, s13, v4
	v_not_b32_e32 v6, v3
	v_and_b32_e32 v0, v0, v2
	v_lshlrev_b32_e32 v2, 24, v26
	v_not_b32_e32 v39, v7
	v_xor_b32_e32 v5, s12, v5
	v_cmp_gt_i32_e64 s12, 0, v3
	v_and_b32_e32 v0, v0, v4
	v_ashrrev_i32_e32 v3, 31, v6
	v_cmp_gt_i32_e64 s13, 0, v7
	v_ashrrev_i32_e32 v4, 31, v39
	v_add_lshl_u32 v1, v21, v1, 2
	v_and_b32_e32 v0, v0, v5
	v_not_b32_e32 v5, v2
	v_xor_b32_e32 v3, s12, v3
	v_xor_b32_e32 v4, s13, v4
	v_cmp_gt_i32_e64 s12, 0, v2
	s_delay_alu instid0(VALU_DEP_4) | instskip(NEXT) | instid1(VALU_DEP_4)
	v_ashrrev_i32_e32 v2, 31, v5
	v_and_b32_e32 v0, v0, v3
	; wave barrier
	ds_load_b32 v39, v1 offset:32
	v_add_nc_u32_e32 v41, 32, v1
	v_xor_b32_e32 v2, s12, v2
	v_and_b32_e32 v0, v0, v4
	; wave barrier
	s_delay_alu instid0(VALU_DEP_1) | instskip(NEXT) | instid1(VALU_DEP_1)
	v_and_b32_e32 v0, v0, v2
	v_mbcnt_lo_u32_b32 v40, v0, 0
	v_cmp_ne_u32_e64 s13, 0, v0
	s_delay_alu instid0(VALU_DEP_2) | instskip(NEXT) | instid1(VALU_DEP_1)
	v_cmp_eq_u32_e64 s12, 0, v40
	s_and_b32 s13, s13, s12
	s_delay_alu instid0(SALU_CYCLE_1)
	s_and_saveexec_b32 s12, s13
	s_cbranch_execz .LBB78_10
; %bb.9:                                ;   in Loop: Header=BB78_2 Depth=1
	s_waitcnt lgkmcnt(0)
	v_bcnt_u32_b32 v0, v0, v39
	ds_store_b32 v41, v0
.LBB78_10:                              ;   in Loop: Header=BB78_2 Depth=1
	s_or_b32 exec_lo, exec_lo, s12
	v_and_b32_e32 v0, 1, v27
	v_lshlrev_b32_e32 v2, 30, v27
	v_lshlrev_b32_e32 v4, 29, v27
	;; [unrolled: 1-line block ×4, first 2 shown]
	v_add_co_u32 v0, s12, v0, -1
	s_delay_alu instid0(VALU_DEP_1)
	v_cndmask_b32_e64 v3, 0, 1, s12
	v_not_b32_e32 v7, v2
	v_cmp_gt_i32_e64 s13, 0, v2
	v_not_b32_e32 v2, v4
	v_and_b32_e32 v1, 0xff, v27
	v_cmp_ne_u32_e64 s12, 0, v3
	v_ashrrev_i32_e32 v7, 31, v7
	v_lshlrev_b32_e32 v3, 26, v27
	v_ashrrev_i32_e32 v2, 31, v2
	v_lshlrev_b32_e32 v1, 3, v1
	v_xor_b32_e32 v0, s12, v0
	v_cmp_gt_i32_e64 s12, 0, v4
	v_not_b32_e32 v4, v5
	v_xor_b32_e32 v7, s13, v7
	v_cmp_gt_i32_e64 s13, 0, v5
	v_and_b32_e32 v0, exec_lo, v0
	v_not_b32_e32 v5, v6
	v_ashrrev_i32_e32 v4, 31, v4
	v_xor_b32_e32 v2, s12, v2
	v_cmp_gt_i32_e64 s12, 0, v6
	v_and_b32_e32 v0, v0, v7
	v_lshlrev_b32_e32 v7, 25, v27
	v_ashrrev_i32_e32 v5, 31, v5
	v_xor_b32_e32 v4, s13, v4
	v_not_b32_e32 v6, v3
	v_and_b32_e32 v0, v0, v2
	v_lshlrev_b32_e32 v2, 24, v27
	v_not_b32_e32 v42, v7
	v_xor_b32_e32 v5, s12, v5
	v_cmp_gt_i32_e64 s12, 0, v3
	v_and_b32_e32 v0, v0, v4
	v_ashrrev_i32_e32 v3, 31, v6
	v_cmp_gt_i32_e64 s13, 0, v7
	v_ashrrev_i32_e32 v4, 31, v42
	v_add_lshl_u32 v1, v21, v1, 2
	v_and_b32_e32 v0, v0, v5
	v_not_b32_e32 v5, v2
	v_xor_b32_e32 v3, s12, v3
	v_xor_b32_e32 v4, s13, v4
	v_cmp_gt_i32_e64 s12, 0, v2
	s_delay_alu instid0(VALU_DEP_4) | instskip(NEXT) | instid1(VALU_DEP_4)
	v_ashrrev_i32_e32 v2, 31, v5
	v_and_b32_e32 v0, v0, v3
	; wave barrier
	ds_load_b32 v42, v1 offset:32
	v_add_nc_u32_e32 v44, 32, v1
	v_xor_b32_e32 v2, s12, v2
	v_and_b32_e32 v0, v0, v4
	; wave barrier
	s_delay_alu instid0(VALU_DEP_1) | instskip(NEXT) | instid1(VALU_DEP_1)
	v_and_b32_e32 v0, v0, v2
	v_mbcnt_lo_u32_b32 v43, v0, 0
	v_cmp_ne_u32_e64 s13, 0, v0
	s_delay_alu instid0(VALU_DEP_2) | instskip(NEXT) | instid1(VALU_DEP_1)
	v_cmp_eq_u32_e64 s12, 0, v43
	s_and_b32 s13, s13, s12
	s_delay_alu instid0(SALU_CYCLE_1)
	s_and_saveexec_b32 s12, s13
	s_cbranch_execz .LBB78_12
; %bb.11:                               ;   in Loop: Header=BB78_2 Depth=1
	s_waitcnt lgkmcnt(0)
	v_bcnt_u32_b32 v0, v0, v42
	ds_store_b32 v44, v0
.LBB78_12:                              ;   in Loop: Header=BB78_2 Depth=1
	s_or_b32 exec_lo, exec_lo, s12
	v_and_b32_e32 v0, 1, v28
	v_lshlrev_b32_e32 v2, 30, v28
	v_lshlrev_b32_e32 v4, 29, v28
	;; [unrolled: 1-line block ×4, first 2 shown]
	v_add_co_u32 v0, s12, v0, -1
	s_delay_alu instid0(VALU_DEP_1)
	v_cndmask_b32_e64 v3, 0, 1, s12
	v_not_b32_e32 v7, v2
	v_cmp_gt_i32_e64 s13, 0, v2
	v_not_b32_e32 v2, v4
	v_and_b32_e32 v1, 0xff, v28
	v_cmp_ne_u32_e64 s12, 0, v3
	v_ashrrev_i32_e32 v7, 31, v7
	v_lshlrev_b32_e32 v3, 26, v28
	v_ashrrev_i32_e32 v2, 31, v2
	v_lshlrev_b32_e32 v1, 3, v1
	v_xor_b32_e32 v0, s12, v0
	v_cmp_gt_i32_e64 s12, 0, v4
	v_not_b32_e32 v4, v5
	v_xor_b32_e32 v7, s13, v7
	v_cmp_gt_i32_e64 s13, 0, v5
	v_and_b32_e32 v0, exec_lo, v0
	v_not_b32_e32 v5, v6
	v_ashrrev_i32_e32 v4, 31, v4
	v_xor_b32_e32 v2, s12, v2
	v_cmp_gt_i32_e64 s12, 0, v6
	v_and_b32_e32 v0, v0, v7
	v_lshlrev_b32_e32 v7, 25, v28
	v_ashrrev_i32_e32 v5, 31, v5
	v_xor_b32_e32 v4, s13, v4
	v_not_b32_e32 v6, v3
	v_and_b32_e32 v0, v0, v2
	v_lshlrev_b32_e32 v2, 24, v28
	v_not_b32_e32 v45, v7
	v_xor_b32_e32 v5, s12, v5
	v_cmp_gt_i32_e64 s12, 0, v3
	v_and_b32_e32 v0, v0, v4
	v_ashrrev_i32_e32 v3, 31, v6
	v_cmp_gt_i32_e64 s13, 0, v7
	v_ashrrev_i32_e32 v4, 31, v45
	v_add_lshl_u32 v1, v21, v1, 2
	v_and_b32_e32 v0, v0, v5
	v_not_b32_e32 v5, v2
	v_xor_b32_e32 v3, s12, v3
	v_xor_b32_e32 v4, s13, v4
	v_cmp_gt_i32_e64 s12, 0, v2
	s_delay_alu instid0(VALU_DEP_4) | instskip(NEXT) | instid1(VALU_DEP_4)
	v_ashrrev_i32_e32 v2, 31, v5
	v_and_b32_e32 v0, v0, v3
	; wave barrier
	ds_load_b32 v45, v1 offset:32
	v_add_nc_u32_e32 v47, 32, v1
	v_xor_b32_e32 v2, s12, v2
	v_and_b32_e32 v0, v0, v4
	; wave barrier
	s_delay_alu instid0(VALU_DEP_1) | instskip(NEXT) | instid1(VALU_DEP_1)
	v_and_b32_e32 v0, v0, v2
	v_mbcnt_lo_u32_b32 v46, v0, 0
	v_cmp_ne_u32_e64 s13, 0, v0
	s_delay_alu instid0(VALU_DEP_2) | instskip(NEXT) | instid1(VALU_DEP_1)
	v_cmp_eq_u32_e64 s12, 0, v46
	s_and_b32 s13, s13, s12
	s_delay_alu instid0(SALU_CYCLE_1)
	s_and_saveexec_b32 s12, s13
	s_cbranch_execz .LBB78_14
; %bb.13:                               ;   in Loop: Header=BB78_2 Depth=1
	s_waitcnt lgkmcnt(0)
	v_bcnt_u32_b32 v0, v0, v45
	ds_store_b32 v47, v0
.LBB78_14:                              ;   in Loop: Header=BB78_2 Depth=1
	s_or_b32 exec_lo, exec_lo, s12
	v_and_b32_e32 v0, 1, v29
	v_lshlrev_b32_e32 v2, 30, v29
	v_lshlrev_b32_e32 v4, 29, v29
	;; [unrolled: 1-line block ×4, first 2 shown]
	v_add_co_u32 v0, s12, v0, -1
	s_delay_alu instid0(VALU_DEP_1)
	v_cndmask_b32_e64 v3, 0, 1, s12
	v_not_b32_e32 v7, v2
	v_cmp_gt_i32_e64 s13, 0, v2
	v_not_b32_e32 v2, v4
	v_and_b32_e32 v1, 0xff, v29
	v_cmp_ne_u32_e64 s12, 0, v3
	v_ashrrev_i32_e32 v7, 31, v7
	v_lshlrev_b32_e32 v3, 26, v29
	v_ashrrev_i32_e32 v2, 31, v2
	v_lshlrev_b32_e32 v1, 3, v1
	v_xor_b32_e32 v0, s12, v0
	v_cmp_gt_i32_e64 s12, 0, v4
	v_not_b32_e32 v4, v5
	v_xor_b32_e32 v7, s13, v7
	v_cmp_gt_i32_e64 s13, 0, v5
	v_and_b32_e32 v0, exec_lo, v0
	v_not_b32_e32 v5, v6
	v_ashrrev_i32_e32 v4, 31, v4
	v_xor_b32_e32 v2, s12, v2
	v_cmp_gt_i32_e64 s12, 0, v6
	v_and_b32_e32 v0, v0, v7
	v_lshlrev_b32_e32 v7, 25, v29
	v_ashrrev_i32_e32 v5, 31, v5
	v_xor_b32_e32 v4, s13, v4
	v_not_b32_e32 v6, v3
	v_and_b32_e32 v0, v0, v2
	v_lshlrev_b32_e32 v2, 24, v29
	v_not_b32_e32 v48, v7
	v_xor_b32_e32 v5, s12, v5
	v_cmp_gt_i32_e64 s12, 0, v3
	v_and_b32_e32 v0, v0, v4
	v_ashrrev_i32_e32 v3, 31, v6
	v_cmp_gt_i32_e64 s13, 0, v7
	v_ashrrev_i32_e32 v4, 31, v48
	v_add_lshl_u32 v1, v21, v1, 2
	v_and_b32_e32 v0, v0, v5
	v_not_b32_e32 v5, v2
	v_xor_b32_e32 v3, s12, v3
	v_xor_b32_e32 v4, s13, v4
	v_cmp_gt_i32_e64 s12, 0, v2
	s_delay_alu instid0(VALU_DEP_4) | instskip(NEXT) | instid1(VALU_DEP_4)
	v_ashrrev_i32_e32 v2, 31, v5
	v_and_b32_e32 v0, v0, v3
	; wave barrier
	ds_load_b32 v48, v1 offset:32
	v_add_nc_u32_e32 v50, 32, v1
	v_xor_b32_e32 v2, s12, v2
	v_and_b32_e32 v0, v0, v4
	; wave barrier
	s_delay_alu instid0(VALU_DEP_1) | instskip(NEXT) | instid1(VALU_DEP_1)
	v_and_b32_e32 v0, v0, v2
	v_mbcnt_lo_u32_b32 v49, v0, 0
	v_cmp_ne_u32_e64 s13, 0, v0
	s_delay_alu instid0(VALU_DEP_2) | instskip(NEXT) | instid1(VALU_DEP_1)
	v_cmp_eq_u32_e64 s12, 0, v49
	s_and_b32 s13, s13, s12
	s_delay_alu instid0(SALU_CYCLE_1)
	s_and_saveexec_b32 s12, s13
	s_cbranch_execz .LBB78_16
; %bb.15:                               ;   in Loop: Header=BB78_2 Depth=1
	s_waitcnt lgkmcnt(0)
	v_bcnt_u32_b32 v0, v0, v48
	ds_store_b32 v50, v0
.LBB78_16:                              ;   in Loop: Header=BB78_2 Depth=1
	s_or_b32 exec_lo, exec_lo, s12
	v_and_b32_e32 v0, 1, v30
	v_lshlrev_b32_e32 v2, 30, v30
	v_lshlrev_b32_e32 v4, 29, v30
	;; [unrolled: 1-line block ×4, first 2 shown]
	v_add_co_u32 v0, s12, v0, -1
	s_delay_alu instid0(VALU_DEP_1)
	v_cndmask_b32_e64 v3, 0, 1, s12
	v_not_b32_e32 v7, v2
	v_cmp_gt_i32_e64 s13, 0, v2
	v_not_b32_e32 v2, v4
	v_and_b32_e32 v1, 0xff, v30
	v_cmp_ne_u32_e64 s12, 0, v3
	v_ashrrev_i32_e32 v7, 31, v7
	v_lshlrev_b32_e32 v3, 26, v30
	v_ashrrev_i32_e32 v2, 31, v2
	v_lshlrev_b32_e32 v1, 3, v1
	v_xor_b32_e32 v0, s12, v0
	v_cmp_gt_i32_e64 s12, 0, v4
	v_not_b32_e32 v4, v5
	v_xor_b32_e32 v7, s13, v7
	v_cmp_gt_i32_e64 s13, 0, v5
	v_and_b32_e32 v0, exec_lo, v0
	v_not_b32_e32 v5, v6
	v_ashrrev_i32_e32 v4, 31, v4
	v_xor_b32_e32 v2, s12, v2
	v_cmp_gt_i32_e64 s12, 0, v6
	v_and_b32_e32 v0, v0, v7
	v_lshlrev_b32_e32 v7, 25, v30
	v_ashrrev_i32_e32 v5, 31, v5
	v_xor_b32_e32 v4, s13, v4
	v_not_b32_e32 v6, v3
	v_and_b32_e32 v0, v0, v2
	v_lshlrev_b32_e32 v2, 24, v30
	v_not_b32_e32 v51, v7
	v_xor_b32_e32 v5, s12, v5
	v_cmp_gt_i32_e64 s12, 0, v3
	v_and_b32_e32 v0, v0, v4
	v_ashrrev_i32_e32 v3, 31, v6
	v_cmp_gt_i32_e64 s13, 0, v7
	v_ashrrev_i32_e32 v4, 31, v51
	v_add_lshl_u32 v1, v21, v1, 2
	v_and_b32_e32 v0, v0, v5
	v_not_b32_e32 v5, v2
	v_xor_b32_e32 v3, s12, v3
	v_xor_b32_e32 v4, s13, v4
	v_cmp_gt_i32_e64 s12, 0, v2
	s_delay_alu instid0(VALU_DEP_4) | instskip(NEXT) | instid1(VALU_DEP_4)
	v_ashrrev_i32_e32 v2, 31, v5
	v_and_b32_e32 v0, v0, v3
	; wave barrier
	ds_load_b32 v51, v1 offset:32
	v_add_nc_u32_e32 v53, 32, v1
	v_xor_b32_e32 v2, s12, v2
	v_and_b32_e32 v0, v0, v4
	; wave barrier
	s_delay_alu instid0(VALU_DEP_1) | instskip(NEXT) | instid1(VALU_DEP_1)
	v_and_b32_e32 v0, v0, v2
	v_mbcnt_lo_u32_b32 v52, v0, 0
	v_cmp_ne_u32_e64 s13, 0, v0
	s_delay_alu instid0(VALU_DEP_2) | instskip(NEXT) | instid1(VALU_DEP_1)
	v_cmp_eq_u32_e64 s12, 0, v52
	s_and_b32 s13, s13, s12
	s_delay_alu instid0(SALU_CYCLE_1)
	s_and_saveexec_b32 s12, s13
	s_cbranch_execz .LBB78_18
; %bb.17:                               ;   in Loop: Header=BB78_2 Depth=1
	s_waitcnt lgkmcnt(0)
	v_bcnt_u32_b32 v0, v0, v51
	ds_store_b32 v53, v0
.LBB78_18:                              ;   in Loop: Header=BB78_2 Depth=1
	s_or_b32 exec_lo, exec_lo, s12
	; wave barrier
	s_waitcnt lgkmcnt(0)
	s_barrier
	buffer_gl0_inv
	ds_load_2addr_b64 v[4:7], v13 offset0:4 offset1:5
	ds_load_2addr_b64 v[0:3], v15 offset0:2 offset1:3
	s_waitcnt lgkmcnt(1)
	v_add_nc_u32_e32 v54, v5, v4
	s_delay_alu instid0(VALU_DEP_1) | instskip(SKIP_1) | instid1(VALU_DEP_1)
	v_add3_u32 v54, v54, v6, v7
	s_waitcnt lgkmcnt(0)
	v_add3_u32 v54, v54, v0, v1
	s_delay_alu instid0(VALU_DEP_1) | instskip(NEXT) | instid1(VALU_DEP_1)
	v_add3_u32 v3, v54, v2, v3
	v_mov_b32_dpp v54, v3 row_shr:1 row_mask:0xf bank_mask:0xf
	s_delay_alu instid0(VALU_DEP_1) | instskip(NEXT) | instid1(VALU_DEP_1)
	v_cndmask_b32_e64 v54, v54, 0, s0
	v_add_nc_u32_e32 v3, v54, v3
	s_delay_alu instid0(VALU_DEP_1) | instskip(NEXT) | instid1(VALU_DEP_1)
	v_mov_b32_dpp v54, v3 row_shr:2 row_mask:0xf bank_mask:0xf
	v_cndmask_b32_e64 v54, 0, v54, s1
	s_delay_alu instid0(VALU_DEP_1) | instskip(NEXT) | instid1(VALU_DEP_1)
	v_add_nc_u32_e32 v3, v3, v54
	v_mov_b32_dpp v54, v3 row_shr:4 row_mask:0xf bank_mask:0xf
	s_delay_alu instid0(VALU_DEP_1) | instskip(NEXT) | instid1(VALU_DEP_1)
	v_cndmask_b32_e64 v54, 0, v54, s2
	v_add_nc_u32_e32 v3, v3, v54
	s_delay_alu instid0(VALU_DEP_1) | instskip(NEXT) | instid1(VALU_DEP_1)
	v_mov_b32_dpp v54, v3 row_shr:8 row_mask:0xf bank_mask:0xf
	v_cndmask_b32_e64 v54, 0, v54, s3
	s_delay_alu instid0(VALU_DEP_1) | instskip(SKIP_3) | instid1(VALU_DEP_1)
	v_add_nc_u32_e32 v3, v3, v54
	ds_swizzle_b32 v54, v3 offset:swizzle(BROADCAST,32,15)
	s_waitcnt lgkmcnt(0)
	v_cndmask_b32_e64 v54, v54, 0, s4
	v_add_nc_u32_e32 v3, v3, v54
	s_and_saveexec_b32 s12, s11
	s_cbranch_execz .LBB78_20
; %bb.19:                               ;   in Loop: Header=BB78_2 Depth=1
	ds_store_b32 v18, v3
.LBB78_20:                              ;   in Loop: Header=BB78_2 Depth=1
	s_or_b32 exec_lo, exec_lo, s12
	s_waitcnt lgkmcnt(0)
	s_barrier
	buffer_gl0_inv
	s_and_saveexec_b32 s12, s5
	s_cbranch_execz .LBB78_22
; %bb.21:                               ;   in Loop: Header=BB78_2 Depth=1
	ds_load_b32 v54, v22
	s_waitcnt lgkmcnt(0)
	v_mov_b32_dpp v55, v54 row_shr:1 row_mask:0xf bank_mask:0xf
	s_delay_alu instid0(VALU_DEP_1) | instskip(NEXT) | instid1(VALU_DEP_1)
	v_cndmask_b32_e64 v55, v55, 0, s8
	v_add_nc_u32_e32 v54, v55, v54
	s_delay_alu instid0(VALU_DEP_1) | instskip(NEXT) | instid1(VALU_DEP_1)
	v_mov_b32_dpp v55, v54 row_shr:2 row_mask:0xf bank_mask:0xf
	v_cndmask_b32_e64 v55, 0, v55, s9
	s_delay_alu instid0(VALU_DEP_1) | instskip(NEXT) | instid1(VALU_DEP_1)
	v_add_nc_u32_e32 v54, v54, v55
	v_mov_b32_dpp v55, v54 row_shr:4 row_mask:0xf bank_mask:0xf
	s_delay_alu instid0(VALU_DEP_1) | instskip(NEXT) | instid1(VALU_DEP_1)
	v_cndmask_b32_e64 v55, 0, v55, s10
	v_add_nc_u32_e32 v54, v54, v55
	ds_store_b32 v22, v54
.LBB78_22:                              ;   in Loop: Header=BB78_2 Depth=1
	s_or_b32 exec_lo, exec_lo, s12
	v_mov_b32_e32 v54, 0
	s_waitcnt lgkmcnt(0)
	s_barrier
	buffer_gl0_inv
	s_and_saveexec_b32 s12, s6
	s_cbranch_execz .LBB78_1
; %bb.23:                               ;   in Loop: Header=BB78_2 Depth=1
	ds_load_b32 v54, v20
	s_branch .LBB78_1
.LBB78_24:
	s_add_u32 s0, s18, s14
	s_addc_u32 s1, s19, 0
	v_add_co_u32 v8, s0, s0, v8
	s_delay_alu instid0(VALU_DEP_1)
	v_add_co_ci_u32_e64 v9, null, s1, 0, s0
	s_clause 0x7
	global_store_b8 v[8:9], v0, off
	global_store_b8 v[8:9], v5, off offset:256
	global_store_b8 v[8:9], v6, off offset:512
	;; [unrolled: 1-line block ×7, first 2 shown]
	s_nop 0
	s_sendmsg sendmsg(MSG_DEALLOC_VGPRS)
	s_endpgm
	.section	.rodata,"a",@progbits
	.p2align	6, 0x0
	.amdhsa_kernel _Z16sort_keys_kernelI22helper_blocked_blockedaLj256ELj8ELj10EEvPKT0_PS1_
		.amdhsa_group_segment_fixed_size 8224
		.amdhsa_private_segment_fixed_size 0
		.amdhsa_kernarg_size 272
		.amdhsa_user_sgpr_count 15
		.amdhsa_user_sgpr_dispatch_ptr 0
		.amdhsa_user_sgpr_queue_ptr 0
		.amdhsa_user_sgpr_kernarg_segment_ptr 1
		.amdhsa_user_sgpr_dispatch_id 0
		.amdhsa_user_sgpr_private_segment_size 0
		.amdhsa_wavefront_size32 1
		.amdhsa_uses_dynamic_stack 0
		.amdhsa_enable_private_segment 0
		.amdhsa_system_sgpr_workgroup_id_x 1
		.amdhsa_system_sgpr_workgroup_id_y 0
		.amdhsa_system_sgpr_workgroup_id_z 0
		.amdhsa_system_sgpr_workgroup_info 0
		.amdhsa_system_vgpr_workitem_id 2
		.amdhsa_next_free_vgpr 56
		.amdhsa_next_free_sgpr 20
		.amdhsa_reserve_vcc 1
		.amdhsa_float_round_mode_32 0
		.amdhsa_float_round_mode_16_64 0
		.amdhsa_float_denorm_mode_32 3
		.amdhsa_float_denorm_mode_16_64 3
		.amdhsa_dx10_clamp 1
		.amdhsa_ieee_mode 1
		.amdhsa_fp16_overflow 0
		.amdhsa_workgroup_processor_mode 1
		.amdhsa_memory_ordered 1
		.amdhsa_forward_progress 0
		.amdhsa_shared_vgpr_count 0
		.amdhsa_exception_fp_ieee_invalid_op 0
		.amdhsa_exception_fp_denorm_src 0
		.amdhsa_exception_fp_ieee_div_zero 0
		.amdhsa_exception_fp_ieee_overflow 0
		.amdhsa_exception_fp_ieee_underflow 0
		.amdhsa_exception_fp_ieee_inexact 0
		.amdhsa_exception_int_div_zero 0
	.end_amdhsa_kernel
	.section	.text._Z16sort_keys_kernelI22helper_blocked_blockedaLj256ELj8ELj10EEvPKT0_PS1_,"axG",@progbits,_Z16sort_keys_kernelI22helper_blocked_blockedaLj256ELj8ELj10EEvPKT0_PS1_,comdat
.Lfunc_end78:
	.size	_Z16sort_keys_kernelI22helper_blocked_blockedaLj256ELj8ELj10EEvPKT0_PS1_, .Lfunc_end78-_Z16sort_keys_kernelI22helper_blocked_blockedaLj256ELj8ELj10EEvPKT0_PS1_
                                        ; -- End function
	.section	.AMDGPU.csdata,"",@progbits
; Kernel info:
; codeLenInByte = 4704
; NumSgprs: 22
; NumVgprs: 56
; ScratchSize: 0
; MemoryBound: 0
; FloatMode: 240
; IeeeMode: 1
; LDSByteSize: 8224 bytes/workgroup (compile time only)
; SGPRBlocks: 2
; VGPRBlocks: 6
; NumSGPRsForWavesPerEU: 22
; NumVGPRsForWavesPerEU: 56
; Occupancy: 16
; WaveLimiterHint : 1
; COMPUTE_PGM_RSRC2:SCRATCH_EN: 0
; COMPUTE_PGM_RSRC2:USER_SGPR: 15
; COMPUTE_PGM_RSRC2:TRAP_HANDLER: 0
; COMPUTE_PGM_RSRC2:TGID_X_EN: 1
; COMPUTE_PGM_RSRC2:TGID_Y_EN: 0
; COMPUTE_PGM_RSRC2:TGID_Z_EN: 0
; COMPUTE_PGM_RSRC2:TIDIG_COMP_CNT: 2
	.section	.text._Z17sort_pairs_kernelI22helper_blocked_blockedaLj256ELj8ELj10EEvPKT0_PS1_,"axG",@progbits,_Z17sort_pairs_kernelI22helper_blocked_blockedaLj256ELj8ELj10EEvPKT0_PS1_,comdat
	.protected	_Z17sort_pairs_kernelI22helper_blocked_blockedaLj256ELj8ELj10EEvPKT0_PS1_ ; -- Begin function _Z17sort_pairs_kernelI22helper_blocked_blockedaLj256ELj8ELj10EEvPKT0_PS1_
	.globl	_Z17sort_pairs_kernelI22helper_blocked_blockedaLj256ELj8ELj10EEvPKT0_PS1_
	.p2align	8
	.type	_Z17sort_pairs_kernelI22helper_blocked_blockedaLj256ELj8ELj10EEvPKT0_PS1_,@function
_Z17sort_pairs_kernelI22helper_blocked_blockedaLj256ELj8ELj10EEvPKT0_PS1_: ; @_Z17sort_pairs_kernelI22helper_blocked_blockedaLj256ELj8ELj10EEvPKT0_PS1_
; %bb.0:
	s_clause 0x1
	s_load_b128 s[16:19], s[0:1], 0x0
	s_load_b32 s12, s[0:1], 0x1c
	s_lshl_b32 s14, s15, 11
	v_and_b32_e32 v8, 0x3ff, v0
	v_mbcnt_lo_u32_b32 v1, -1, 0
	v_bfe_u32 v20, v0, 10, 10
	v_bfe_u32 v0, v0, 20, 10
	s_mov_b32 s15, 10
	s_delay_alu instid0(VALU_DEP_3)
	v_add_nc_u32_e32 v16, -1, v1
	v_and_b32_e32 v14, 15, v1
	v_cmp_eq_u32_e32 vcc_lo, 0, v1
	v_and_b32_e32 v17, 7, v1
	v_and_b32_e32 v15, 16, v1
	v_cmp_gt_i32_e64 s7, 0, v16
	s_delay_alu instid0(VALU_DEP_3) | instskip(SKIP_1) | instid1(VALU_DEP_3)
	v_cmp_eq_u32_e64 s8, 0, v17
	v_cmp_lt_u32_e64 s9, 1, v17
	v_cndmask_b32_e64 v16, v16, v1, s7
	s_waitcnt lgkmcnt(0)
	s_add_u32 s0, s16, s14
	s_addc_u32 s1, s17, 0
	s_clause 0x7
	global_load_u8 v2, v8, s[0:1]
	global_load_u8 v3, v8, s[0:1] offset:512
	global_load_u8 v4, v8, s[0:1] offset:1024
	;; [unrolled: 1-line block ×7, first 2 shown]
	s_mov_b32 s0, 0
	s_lshr_b32 s11, s12, 16
	s_mov_b32 s1, s0
	s_mov_b32 s2, s0
	;; [unrolled: 1-line block ×3, first 2 shown]
	v_dual_mov_b32 v10, s1 :: v_dual_mov_b32 v9, s0
	v_lshlrev_b32_e32 v18, 3, v8
	v_and_b32_e32 v19, 0xe0, v8
	v_lshrrev_b32_e32 v23, 3, v8
	v_lshlrev_b32_e32 v24, 2, v8
	v_dual_mov_b32 v12, s3 :: v_dual_mov_b32 v11, s2
	v_cmp_eq_u32_e64 s0, 0, v14
	v_cmp_lt_u32_e64 s1, 1, v14
	v_cmp_lt_u32_e64 s2, 3, v14
	;; [unrolled: 1-line block ×3, first 2 shown]
	v_or_b32_e32 v25, v1, v19
	v_and_or_b32 v14, 0x700, v18, v1
	v_or_b32_e32 v1, 31, v19
	v_and_b32_e32 v18, 28, v23
	v_sub_nc_u32_e32 v23, 0, v24
	v_mad_u32_u24 v24, v0, s11, v20
	s_and_b32 s12, s12, 0xffff
	v_cmp_eq_u32_e64 s11, v1, v8
	v_lshlrev_b32_e32 v19, 3, v25
	v_lshlrev_b32_e32 v13, 5, v8
	v_mad_u64_u32 v[0:1], null, v24, s12, v[8:9]
	v_cmp_lt_u32_e64 s10, 3, v17
	v_cmp_eq_u32_e64 s4, 0, v15
	s_delay_alu instid0(VALU_DEP_4)
	v_mad_i32_i24 v17, 0xffffffe8, v8, v13
	v_cmp_gt_u32_e64 s5, 8, v8
	v_cmp_lt_u32_e64 s6, 31, v8
	v_cmp_eq_u32_e64 s7, 0, v8
	v_add_nc_u32_e32 v15, 32, v13
	v_lshlrev_b32_e32 v16, 2, v16
	v_add_nc_u32_e32 v20, -4, v18
	s_waitcnt vmcnt(7)
	v_add_nc_u16 v1, v2, 1
	s_waitcnt vmcnt(6)
	v_add_nc_u16 v24, v3, 1
	;; [unrolled: 2-line block ×3, first 2 shown]
	s_waitcnt vmcnt(4)
	v_lshlrev_b16 v5, 8, v5
	s_waitcnt vmcnt(3)
	v_lshlrev_b16 v6, 8, v6
	;; [unrolled: 2-line block ×4, first 2 shown]
	s_waitcnt vmcnt(0)
	v_add_nc_u16 v26, v22, 1
	v_and_b32_e32 v1, 0xff, v1
	v_and_b32_e32 v24, 0xff, v24
	;; [unrolled: 1-line block ×3, first 2 shown]
	v_or_b32_e32 v2, v2, v5
	v_and_b32_e32 v26, 0xff, v26
	v_or_b32_e32 v3, v3, v6
	v_or_b32_e32 v4, v4, v7
	;; [unrolled: 1-line block ×7, first 2 shown]
	v_add_nc_u16 v1, v1, 0x100
	v_add_nc_u16 v5, v5, 0x100
	;; [unrolled: 1-line block ×4, first 2 shown]
	v_and_b32_e32 v2, 0xffff, v2
	v_lshlrev_b32_e32 v3, 16, v3
	v_and_b32_e32 v4, 0xffff, v4
	v_lshlrev_b32_e32 v22, 16, v22
	;; [unrolled: 2-line block ×4, first 2 shown]
	v_lshrrev_b32_e32 v21, 5, v0
	v_or_b32_e32 v25, v2, v3
	v_or_b32_e32 v26, v4, v22
	;; [unrolled: 1-line block ×4, first 2 shown]
	v_add_nc_u32_e32 v22, v17, v23
	s_branch .LBB79_2
.LBB79_1:                               ;   in Loop: Header=BB79_2 Depth=1
	s_or_b32 exec_lo, exec_lo, s12
	s_waitcnt lgkmcnt(0)
	v_add_nc_u32_e32 v3, v62, v3
	s_add_i32 s15, s15, -1
	s_delay_alu instid0(SALU_CYCLE_1) | instskip(SKIP_3) | instid1(VALU_DEP_1)
	s_cmp_eq_u32 s15, 0
	ds_bpermute_b32 v3, v16, v3
	s_waitcnt lgkmcnt(0)
	v_cndmask_b32_e32 v3, v3, v62, vcc_lo
	v_cndmask_b32_e64 v3, v3, 0, s7
	s_delay_alu instid0(VALU_DEP_1) | instskip(NEXT) | instid1(VALU_DEP_1)
	v_add_nc_u32_e32 v4, v3, v4
	v_add_nc_u32_e32 v5, v4, v5
	s_delay_alu instid0(VALU_DEP_1) | instskip(NEXT) | instid1(VALU_DEP_1)
	v_add_nc_u32_e32 v6, v5, v6
	v_add_nc_u32_e32 v62, v6, v7
	;; [unrolled: 3-line block ×3, first 2 shown]
	s_delay_alu instid0(VALU_DEP_1)
	v_add_nc_u32_e32 v1, v0, v2
	ds_store_2addr_b64 v13, v[3:4], v[5:6] offset0:4 offset1:5
	ds_store_2addr_b64 v15, v[62:63], v[0:1] offset0:2 offset1:3
	s_waitcnt lgkmcnt(0)
	s_barrier
	buffer_gl0_inv
	ds_load_b32 v0, v40
	ds_load_b32 v1, v43
	;; [unrolled: 1-line block ×8, first 2 shown]
	s_waitcnt lgkmcnt(0)
	s_barrier
	buffer_gl0_inv
	v_add_nc_u32_e32 v39, v0, v39
	v_add3_u32 v40, v42, v41, v1
	v_add3_u32 v2, v45, v44, v2
	;; [unrolled: 1-line block ×7, first 2 shown]
	ds_store_b8 v39, v23
	ds_store_b8 v40, v24
	;; [unrolled: 1-line block ×8, first 2 shown]
	s_waitcnt lgkmcnt(0)
	s_barrier
	buffer_gl0_inv
	ds_load_b64 v[0:1], v17
	s_waitcnt lgkmcnt(0)
	s_barrier
	buffer_gl0_inv
	ds_store_b8 v39, v31
	ds_store_b8 v40, v32
	ds_store_b8 v2, v33
	ds_store_b8 v3, v34
	ds_store_b8 v4, v35
	ds_store_b8 v5, v36
	ds_store_b8 v6, v37
	ds_store_b8 v7, v38
	s_waitcnt lgkmcnt(0)
	s_barrier
	buffer_gl0_inv
	v_lshrrev_b32_e32 v3, 8, v0
	v_lshrrev_b32_e32 v4, 16, v0
	;; [unrolled: 1-line block ×6, first 2 shown]
	v_xor_b32_e32 v6, 0xffffff80, v0
	v_xor_b32_e32 v2, 0xffffff80, v1
	;; [unrolled: 1-line block ×8, first 2 shown]
	v_and_b32_e32 v25, 0xff, v6
	v_and_b32_e32 v26, 0xff, v2
	v_lshlrev_b16 v27, 8, v7
	v_lshlrev_b16 v28, 8, v24
	v_and_b32_e32 v29, 0xff, v23
	v_lshlrev_b16 v30, 8, v3
	v_lshlrev_b16 v31, 8, v5
	v_and_b32_e32 v32, 0xff, v4
	ds_load_b64 v[0:1], v17
	v_or_b32_e32 v25, v25, v27
	v_or_b32_e32 v27, v29, v28
	;; [unrolled: 1-line block ×4, first 2 shown]
	s_delay_alu instid0(VALU_DEP_4) | instskip(NEXT) | instid1(VALU_DEP_4)
	v_and_b32_e32 v25, 0xffff, v25
	v_lshlrev_b32_e32 v27, 16, v27
	s_delay_alu instid0(VALU_DEP_4) | instskip(NEXT) | instid1(VALU_DEP_4)
	v_and_b32_e32 v26, 0xffff, v26
	v_lshlrev_b32_e32 v28, 16, v28
	s_delay_alu instid0(VALU_DEP_3) | instskip(NEXT) | instid1(VALU_DEP_2)
	v_or_b32_e32 v25, v25, v27
	v_or_b32_e32 v26, v26, v28
	s_cbranch_scc1 .LBB79_24
.LBB79_2:                               ; =>This Inner Loop Header: Depth=1
	s_delay_alu instid0(VALU_DEP_1) | instskip(NEXT) | instid1(VALU_DEP_3)
	v_lshrrev_b32_e32 v2, 16, v26
	v_lshrrev_b32_e32 v3, 16, v25
	v_xor_b32_e32 v4, 0x80, v26
	v_xor_b32_e32 v23, 0x80, v25
	v_and_b32_e32 v5, 0xffffff00, v26
	v_xor_b32_e32 v7, 0x80, v2
	v_xor_b32_e32 v24, 0x80, v3
	v_and_b32_e32 v6, 0xffffff00, v25
	v_and_b32_e32 v4, 0xff, v4
	;; [unrolled: 1-line block ×7, first 2 shown]
	v_or_b32_e32 v4, v4, v5
	v_or_b32_e32 v2, v7, v2
	;; [unrolled: 1-line block ×3, first 2 shown]
	s_delay_alu instid0(VALU_DEP_4) | instskip(NEXT) | instid1(VALU_DEP_4)
	v_or_b32_e32 v3, v24, v3
	v_add_nc_u16 v4, v4, 0x8000
	s_delay_alu instid0(VALU_DEP_4) | instskip(NEXT) | instid1(VALU_DEP_4)
	v_add_nc_u16 v2, v2, 0x8000
	v_add_nc_u16 v5, v5, 0x8000
	s_delay_alu instid0(VALU_DEP_4) | instskip(NEXT) | instid1(VALU_DEP_4)
	v_add_nc_u16 v3, v3, 0x8000
	v_and_b32_e32 v4, 0xffff, v4
	s_delay_alu instid0(VALU_DEP_4) | instskip(NEXT) | instid1(VALU_DEP_4)
	v_lshlrev_b32_e32 v2, 16, v2
	v_and_b32_e32 v5, 0xffff, v5
	s_delay_alu instid0(VALU_DEP_4) | instskip(NEXT) | instid1(VALU_DEP_3)
	v_lshlrev_b32_e32 v6, 16, v3
	v_or_b32_e32 v3, v4, v2
	s_delay_alu instid0(VALU_DEP_2)
	v_or_b32_e32 v2, v5, v6
	ds_store_b64 v19, v[2:3]
	; wave barrier
	ds_load_u8 v23, v14
	ds_load_u8 v24, v14 offset:32
	ds_load_u8 v25, v14 offset:64
	ds_load_u8 v26, v14 offset:96
	ds_load_u8 v27, v14 offset:128
	ds_load_u8 v28, v14 offset:160
	ds_load_u8 v29, v14 offset:192
	ds_load_u8 v30, v14 offset:224
	; wave barrier
	s_waitcnt lgkmcnt(9)
	ds_store_b64 v19, v[0:1]
	; wave barrier
	s_waitcnt lgkmcnt(8)
	v_and_b32_e32 v2, 1, v23
	v_lshlrev_b32_e32 v3, 30, v23
	v_lshlrev_b32_e32 v4, 29, v23
	;; [unrolled: 1-line block ×4, first 2 shown]
	v_add_co_u32 v2, s12, v2, -1
	s_delay_alu instid0(VALU_DEP_1)
	v_cndmask_b32_e64 v6, 0, 1, s12
	v_not_b32_e32 v33, v3
	v_cmp_gt_i32_e64 s13, 0, v3
	v_not_b32_e32 v3, v4
	v_lshlrev_b32_e32 v31, 26, v23
	v_cmp_ne_u32_e64 s12, 0, v6
	v_ashrrev_i32_e32 v33, 31, v33
	v_lshlrev_b32_e32 v32, 25, v23
	v_ashrrev_i32_e32 v3, 31, v3
	v_lshlrev_b32_e32 v6, 24, v23
	v_xor_b32_e32 v2, s12, v2
	v_cmp_gt_i32_e64 s12, 0, v4
	v_not_b32_e32 v4, v5
	v_xor_b32_e32 v33, s13, v33
	v_cmp_gt_i32_e64 s13, 0, v5
	v_and_b32_e32 v2, exec_lo, v2
	v_not_b32_e32 v5, v7
	v_ashrrev_i32_e32 v4, 31, v4
	v_xor_b32_e32 v3, s12, v3
	v_cmp_gt_i32_e64 s12, 0, v7
	v_and_b32_e32 v2, v2, v33
	v_not_b32_e32 v7, v31
	v_ashrrev_i32_e32 v5, 31, v5
	v_xor_b32_e32 v4, s13, v4
	v_cmp_gt_i32_e64 s13, 0, v31
	v_and_b32_e32 v2, v2, v3
	;; [unrolled: 5-line block ×4, first 2 shown]
	v_ashrrev_i32_e32 v4, 31, v4
	v_xor_b32_e32 v3, s12, v3
	ds_load_u8 v31, v14
	ds_load_u8 v32, v14 offset:32
	ds_load_u8 v33, v14 offset:64
	;; [unrolled: 1-line block ×7, first 2 shown]
	s_waitcnt lgkmcnt(0)
	v_and_b32_e32 v2, v2, v7
	v_xor_b32_e32 v0, s13, v4
	s_barrier
	buffer_gl0_inv
	ds_store_2addr_b64 v13, v[9:10], v[11:12] offset0:4 offset1:5
	ds_store_2addr_b64 v15, v[9:10], v[11:12] offset0:2 offset1:3
	v_and_b32_e32 v1, v2, v3
	s_waitcnt lgkmcnt(0)
	s_barrier
	buffer_gl0_inv
	v_and_b32_e32 v0, v1, v0
	v_and_b32_e32 v1, 0xff, v23
	; wave barrier
	s_delay_alu instid0(VALU_DEP_2) | instskip(NEXT) | instid1(VALU_DEP_2)
	v_mbcnt_lo_u32_b32 v39, v0, 0
	v_lshl_add_u32 v1, v1, 3, v21
	v_cmp_ne_u32_e64 s13, 0, v0
	s_delay_alu instid0(VALU_DEP_3) | instskip(NEXT) | instid1(VALU_DEP_3)
	v_cmp_eq_u32_e64 s12, 0, v39
	v_lshl_add_u32 v40, v1, 2, 32
	s_delay_alu instid0(VALU_DEP_2) | instskip(NEXT) | instid1(SALU_CYCLE_1)
	s_and_b32 s13, s13, s12
	s_and_saveexec_b32 s12, s13
	s_cbranch_execz .LBB79_4
; %bb.3:                                ;   in Loop: Header=BB79_2 Depth=1
	v_bcnt_u32_b32 v0, v0, 0
	ds_store_b32 v40, v0
.LBB79_4:                               ;   in Loop: Header=BB79_2 Depth=1
	s_or_b32 exec_lo, exec_lo, s12
	v_and_b32_e32 v0, 1, v24
	v_lshlrev_b32_e32 v2, 30, v24
	v_lshlrev_b32_e32 v4, 29, v24
	v_lshlrev_b32_e32 v5, 28, v24
	v_lshlrev_b32_e32 v6, 27, v24
	v_add_co_u32 v0, s12, v0, -1
	s_delay_alu instid0(VALU_DEP_1)
	v_cndmask_b32_e64 v3, 0, 1, s12
	v_not_b32_e32 v7, v2
	v_cmp_gt_i32_e64 s13, 0, v2
	v_not_b32_e32 v2, v4
	v_and_b32_e32 v1, 0xff, v24
	v_cmp_ne_u32_e64 s12, 0, v3
	v_ashrrev_i32_e32 v7, 31, v7
	v_lshlrev_b32_e32 v3, 26, v24
	v_ashrrev_i32_e32 v2, 31, v2
	v_lshlrev_b32_e32 v1, 3, v1
	v_xor_b32_e32 v0, s12, v0
	v_cmp_gt_i32_e64 s12, 0, v4
	v_not_b32_e32 v4, v5
	v_xor_b32_e32 v7, s13, v7
	v_cmp_gt_i32_e64 s13, 0, v5
	v_and_b32_e32 v0, exec_lo, v0
	v_not_b32_e32 v5, v6
	v_ashrrev_i32_e32 v4, 31, v4
	v_xor_b32_e32 v2, s12, v2
	v_cmp_gt_i32_e64 s12, 0, v6
	v_and_b32_e32 v0, v0, v7
	v_lshlrev_b32_e32 v7, 25, v24
	v_ashrrev_i32_e32 v5, 31, v5
	v_xor_b32_e32 v4, s13, v4
	v_not_b32_e32 v6, v3
	v_and_b32_e32 v0, v0, v2
	v_lshlrev_b32_e32 v2, 24, v24
	v_not_b32_e32 v41, v7
	v_xor_b32_e32 v5, s12, v5
	v_cmp_gt_i32_e64 s12, 0, v3
	v_and_b32_e32 v0, v0, v4
	v_ashrrev_i32_e32 v3, 31, v6
	v_cmp_gt_i32_e64 s13, 0, v7
	v_ashrrev_i32_e32 v4, 31, v41
	v_add_lshl_u32 v1, v21, v1, 2
	v_and_b32_e32 v0, v0, v5
	v_not_b32_e32 v5, v2
	v_xor_b32_e32 v3, s12, v3
	v_xor_b32_e32 v4, s13, v4
	v_cmp_gt_i32_e64 s12, 0, v2
	s_delay_alu instid0(VALU_DEP_4) | instskip(NEXT) | instid1(VALU_DEP_4)
	v_ashrrev_i32_e32 v2, 31, v5
	v_and_b32_e32 v0, v0, v3
	; wave barrier
	ds_load_b32 v41, v1 offset:32
	v_add_nc_u32_e32 v43, 32, v1
	v_xor_b32_e32 v2, s12, v2
	v_and_b32_e32 v0, v0, v4
	; wave barrier
	s_delay_alu instid0(VALU_DEP_1) | instskip(NEXT) | instid1(VALU_DEP_1)
	v_and_b32_e32 v0, v0, v2
	v_mbcnt_lo_u32_b32 v42, v0, 0
	v_cmp_ne_u32_e64 s13, 0, v0
	s_delay_alu instid0(VALU_DEP_2) | instskip(NEXT) | instid1(VALU_DEP_1)
	v_cmp_eq_u32_e64 s12, 0, v42
	s_and_b32 s13, s13, s12
	s_delay_alu instid0(SALU_CYCLE_1)
	s_and_saveexec_b32 s12, s13
	s_cbranch_execz .LBB79_6
; %bb.5:                                ;   in Loop: Header=BB79_2 Depth=1
	s_waitcnt lgkmcnt(0)
	v_bcnt_u32_b32 v0, v0, v41
	ds_store_b32 v43, v0
.LBB79_6:                               ;   in Loop: Header=BB79_2 Depth=1
	s_or_b32 exec_lo, exec_lo, s12
	v_and_b32_e32 v0, 1, v25
	v_lshlrev_b32_e32 v2, 30, v25
	v_lshlrev_b32_e32 v4, 29, v25
	;; [unrolled: 1-line block ×4, first 2 shown]
	v_add_co_u32 v0, s12, v0, -1
	s_delay_alu instid0(VALU_DEP_1)
	v_cndmask_b32_e64 v3, 0, 1, s12
	v_not_b32_e32 v7, v2
	v_cmp_gt_i32_e64 s13, 0, v2
	v_not_b32_e32 v2, v4
	v_and_b32_e32 v1, 0xff, v25
	v_cmp_ne_u32_e64 s12, 0, v3
	v_ashrrev_i32_e32 v7, 31, v7
	v_lshlrev_b32_e32 v3, 26, v25
	v_ashrrev_i32_e32 v2, 31, v2
	v_lshlrev_b32_e32 v1, 3, v1
	v_xor_b32_e32 v0, s12, v0
	v_cmp_gt_i32_e64 s12, 0, v4
	v_not_b32_e32 v4, v5
	v_xor_b32_e32 v7, s13, v7
	v_cmp_gt_i32_e64 s13, 0, v5
	v_and_b32_e32 v0, exec_lo, v0
	v_not_b32_e32 v5, v6
	v_ashrrev_i32_e32 v4, 31, v4
	v_xor_b32_e32 v2, s12, v2
	v_cmp_gt_i32_e64 s12, 0, v6
	v_and_b32_e32 v0, v0, v7
	v_lshlrev_b32_e32 v7, 25, v25
	v_ashrrev_i32_e32 v5, 31, v5
	v_xor_b32_e32 v4, s13, v4
	v_not_b32_e32 v6, v3
	v_and_b32_e32 v0, v0, v2
	v_lshlrev_b32_e32 v2, 24, v25
	v_not_b32_e32 v44, v7
	v_xor_b32_e32 v5, s12, v5
	v_cmp_gt_i32_e64 s12, 0, v3
	v_and_b32_e32 v0, v0, v4
	v_ashrrev_i32_e32 v3, 31, v6
	v_cmp_gt_i32_e64 s13, 0, v7
	v_ashrrev_i32_e32 v4, 31, v44
	v_add_lshl_u32 v1, v21, v1, 2
	v_and_b32_e32 v0, v0, v5
	v_not_b32_e32 v5, v2
	v_xor_b32_e32 v3, s12, v3
	v_xor_b32_e32 v4, s13, v4
	v_cmp_gt_i32_e64 s12, 0, v2
	s_delay_alu instid0(VALU_DEP_4) | instskip(NEXT) | instid1(VALU_DEP_4)
	v_ashrrev_i32_e32 v2, 31, v5
	v_and_b32_e32 v0, v0, v3
	; wave barrier
	ds_load_b32 v44, v1 offset:32
	v_add_nc_u32_e32 v46, 32, v1
	v_xor_b32_e32 v2, s12, v2
	v_and_b32_e32 v0, v0, v4
	; wave barrier
	s_delay_alu instid0(VALU_DEP_1) | instskip(NEXT) | instid1(VALU_DEP_1)
	v_and_b32_e32 v0, v0, v2
	v_mbcnt_lo_u32_b32 v45, v0, 0
	v_cmp_ne_u32_e64 s13, 0, v0
	s_delay_alu instid0(VALU_DEP_2) | instskip(NEXT) | instid1(VALU_DEP_1)
	v_cmp_eq_u32_e64 s12, 0, v45
	s_and_b32 s13, s13, s12
	s_delay_alu instid0(SALU_CYCLE_1)
	s_and_saveexec_b32 s12, s13
	s_cbranch_execz .LBB79_8
; %bb.7:                                ;   in Loop: Header=BB79_2 Depth=1
	s_waitcnt lgkmcnt(0)
	v_bcnt_u32_b32 v0, v0, v44
	ds_store_b32 v46, v0
.LBB79_8:                               ;   in Loop: Header=BB79_2 Depth=1
	s_or_b32 exec_lo, exec_lo, s12
	v_and_b32_e32 v0, 1, v26
	v_lshlrev_b32_e32 v2, 30, v26
	v_lshlrev_b32_e32 v4, 29, v26
	;; [unrolled: 1-line block ×4, first 2 shown]
	v_add_co_u32 v0, s12, v0, -1
	s_delay_alu instid0(VALU_DEP_1)
	v_cndmask_b32_e64 v3, 0, 1, s12
	v_not_b32_e32 v7, v2
	v_cmp_gt_i32_e64 s13, 0, v2
	v_not_b32_e32 v2, v4
	v_and_b32_e32 v1, 0xff, v26
	v_cmp_ne_u32_e64 s12, 0, v3
	v_ashrrev_i32_e32 v7, 31, v7
	v_lshlrev_b32_e32 v3, 26, v26
	v_ashrrev_i32_e32 v2, 31, v2
	v_lshlrev_b32_e32 v1, 3, v1
	v_xor_b32_e32 v0, s12, v0
	v_cmp_gt_i32_e64 s12, 0, v4
	v_not_b32_e32 v4, v5
	v_xor_b32_e32 v7, s13, v7
	v_cmp_gt_i32_e64 s13, 0, v5
	v_and_b32_e32 v0, exec_lo, v0
	v_not_b32_e32 v5, v6
	v_ashrrev_i32_e32 v4, 31, v4
	v_xor_b32_e32 v2, s12, v2
	v_cmp_gt_i32_e64 s12, 0, v6
	v_and_b32_e32 v0, v0, v7
	v_lshlrev_b32_e32 v7, 25, v26
	v_ashrrev_i32_e32 v5, 31, v5
	v_xor_b32_e32 v4, s13, v4
	v_not_b32_e32 v6, v3
	v_and_b32_e32 v0, v0, v2
	v_lshlrev_b32_e32 v2, 24, v26
	v_not_b32_e32 v47, v7
	v_xor_b32_e32 v5, s12, v5
	v_cmp_gt_i32_e64 s12, 0, v3
	v_and_b32_e32 v0, v0, v4
	v_ashrrev_i32_e32 v3, 31, v6
	v_cmp_gt_i32_e64 s13, 0, v7
	v_ashrrev_i32_e32 v4, 31, v47
	v_add_lshl_u32 v1, v21, v1, 2
	v_and_b32_e32 v0, v0, v5
	v_not_b32_e32 v5, v2
	v_xor_b32_e32 v3, s12, v3
	v_xor_b32_e32 v4, s13, v4
	v_cmp_gt_i32_e64 s12, 0, v2
	s_delay_alu instid0(VALU_DEP_4) | instskip(NEXT) | instid1(VALU_DEP_4)
	v_ashrrev_i32_e32 v2, 31, v5
	v_and_b32_e32 v0, v0, v3
	; wave barrier
	ds_load_b32 v47, v1 offset:32
	v_add_nc_u32_e32 v49, 32, v1
	v_xor_b32_e32 v2, s12, v2
	v_and_b32_e32 v0, v0, v4
	; wave barrier
	s_delay_alu instid0(VALU_DEP_1) | instskip(NEXT) | instid1(VALU_DEP_1)
	v_and_b32_e32 v0, v0, v2
	v_mbcnt_lo_u32_b32 v48, v0, 0
	v_cmp_ne_u32_e64 s13, 0, v0
	s_delay_alu instid0(VALU_DEP_2) | instskip(NEXT) | instid1(VALU_DEP_1)
	v_cmp_eq_u32_e64 s12, 0, v48
	s_and_b32 s13, s13, s12
	s_delay_alu instid0(SALU_CYCLE_1)
	s_and_saveexec_b32 s12, s13
	s_cbranch_execz .LBB79_10
; %bb.9:                                ;   in Loop: Header=BB79_2 Depth=1
	s_waitcnt lgkmcnt(0)
	v_bcnt_u32_b32 v0, v0, v47
	ds_store_b32 v49, v0
.LBB79_10:                              ;   in Loop: Header=BB79_2 Depth=1
	s_or_b32 exec_lo, exec_lo, s12
	v_and_b32_e32 v0, 1, v27
	v_lshlrev_b32_e32 v2, 30, v27
	v_lshlrev_b32_e32 v4, 29, v27
	;; [unrolled: 1-line block ×4, first 2 shown]
	v_add_co_u32 v0, s12, v0, -1
	s_delay_alu instid0(VALU_DEP_1)
	v_cndmask_b32_e64 v3, 0, 1, s12
	v_not_b32_e32 v7, v2
	v_cmp_gt_i32_e64 s13, 0, v2
	v_not_b32_e32 v2, v4
	v_and_b32_e32 v1, 0xff, v27
	v_cmp_ne_u32_e64 s12, 0, v3
	v_ashrrev_i32_e32 v7, 31, v7
	v_lshlrev_b32_e32 v3, 26, v27
	v_ashrrev_i32_e32 v2, 31, v2
	v_lshlrev_b32_e32 v1, 3, v1
	v_xor_b32_e32 v0, s12, v0
	v_cmp_gt_i32_e64 s12, 0, v4
	v_not_b32_e32 v4, v5
	v_xor_b32_e32 v7, s13, v7
	v_cmp_gt_i32_e64 s13, 0, v5
	v_and_b32_e32 v0, exec_lo, v0
	v_not_b32_e32 v5, v6
	v_ashrrev_i32_e32 v4, 31, v4
	v_xor_b32_e32 v2, s12, v2
	v_cmp_gt_i32_e64 s12, 0, v6
	v_and_b32_e32 v0, v0, v7
	v_lshlrev_b32_e32 v7, 25, v27
	v_ashrrev_i32_e32 v5, 31, v5
	v_xor_b32_e32 v4, s13, v4
	v_not_b32_e32 v6, v3
	v_and_b32_e32 v0, v0, v2
	v_lshlrev_b32_e32 v2, 24, v27
	v_not_b32_e32 v50, v7
	v_xor_b32_e32 v5, s12, v5
	v_cmp_gt_i32_e64 s12, 0, v3
	v_and_b32_e32 v0, v0, v4
	v_ashrrev_i32_e32 v3, 31, v6
	v_cmp_gt_i32_e64 s13, 0, v7
	v_ashrrev_i32_e32 v4, 31, v50
	v_add_lshl_u32 v1, v21, v1, 2
	v_and_b32_e32 v0, v0, v5
	v_not_b32_e32 v5, v2
	v_xor_b32_e32 v3, s12, v3
	v_xor_b32_e32 v4, s13, v4
	v_cmp_gt_i32_e64 s12, 0, v2
	s_delay_alu instid0(VALU_DEP_4) | instskip(NEXT) | instid1(VALU_DEP_4)
	v_ashrrev_i32_e32 v2, 31, v5
	v_and_b32_e32 v0, v0, v3
	; wave barrier
	ds_load_b32 v50, v1 offset:32
	v_add_nc_u32_e32 v52, 32, v1
	v_xor_b32_e32 v2, s12, v2
	v_and_b32_e32 v0, v0, v4
	; wave barrier
	s_delay_alu instid0(VALU_DEP_1) | instskip(NEXT) | instid1(VALU_DEP_1)
	v_and_b32_e32 v0, v0, v2
	v_mbcnt_lo_u32_b32 v51, v0, 0
	v_cmp_ne_u32_e64 s13, 0, v0
	s_delay_alu instid0(VALU_DEP_2) | instskip(NEXT) | instid1(VALU_DEP_1)
	v_cmp_eq_u32_e64 s12, 0, v51
	s_and_b32 s13, s13, s12
	s_delay_alu instid0(SALU_CYCLE_1)
	s_and_saveexec_b32 s12, s13
	s_cbranch_execz .LBB79_12
; %bb.11:                               ;   in Loop: Header=BB79_2 Depth=1
	s_waitcnt lgkmcnt(0)
	v_bcnt_u32_b32 v0, v0, v50
	ds_store_b32 v52, v0
.LBB79_12:                              ;   in Loop: Header=BB79_2 Depth=1
	s_or_b32 exec_lo, exec_lo, s12
	v_and_b32_e32 v0, 1, v28
	v_lshlrev_b32_e32 v2, 30, v28
	v_lshlrev_b32_e32 v4, 29, v28
	;; [unrolled: 1-line block ×4, first 2 shown]
	v_add_co_u32 v0, s12, v0, -1
	s_delay_alu instid0(VALU_DEP_1)
	v_cndmask_b32_e64 v3, 0, 1, s12
	v_not_b32_e32 v7, v2
	v_cmp_gt_i32_e64 s13, 0, v2
	v_not_b32_e32 v2, v4
	v_and_b32_e32 v1, 0xff, v28
	v_cmp_ne_u32_e64 s12, 0, v3
	v_ashrrev_i32_e32 v7, 31, v7
	v_lshlrev_b32_e32 v3, 26, v28
	v_ashrrev_i32_e32 v2, 31, v2
	v_lshlrev_b32_e32 v1, 3, v1
	v_xor_b32_e32 v0, s12, v0
	v_cmp_gt_i32_e64 s12, 0, v4
	v_not_b32_e32 v4, v5
	v_xor_b32_e32 v7, s13, v7
	v_cmp_gt_i32_e64 s13, 0, v5
	v_and_b32_e32 v0, exec_lo, v0
	v_not_b32_e32 v5, v6
	v_ashrrev_i32_e32 v4, 31, v4
	v_xor_b32_e32 v2, s12, v2
	v_cmp_gt_i32_e64 s12, 0, v6
	v_and_b32_e32 v0, v0, v7
	v_lshlrev_b32_e32 v7, 25, v28
	v_ashrrev_i32_e32 v5, 31, v5
	v_xor_b32_e32 v4, s13, v4
	v_not_b32_e32 v6, v3
	v_and_b32_e32 v0, v0, v2
	v_lshlrev_b32_e32 v2, 24, v28
	v_not_b32_e32 v53, v7
	v_xor_b32_e32 v5, s12, v5
	v_cmp_gt_i32_e64 s12, 0, v3
	v_and_b32_e32 v0, v0, v4
	v_ashrrev_i32_e32 v3, 31, v6
	v_cmp_gt_i32_e64 s13, 0, v7
	v_ashrrev_i32_e32 v4, 31, v53
	v_add_lshl_u32 v1, v21, v1, 2
	v_and_b32_e32 v0, v0, v5
	v_not_b32_e32 v5, v2
	v_xor_b32_e32 v3, s12, v3
	v_xor_b32_e32 v4, s13, v4
	v_cmp_gt_i32_e64 s12, 0, v2
	s_delay_alu instid0(VALU_DEP_4) | instskip(NEXT) | instid1(VALU_DEP_4)
	v_ashrrev_i32_e32 v2, 31, v5
	v_and_b32_e32 v0, v0, v3
	; wave barrier
	ds_load_b32 v53, v1 offset:32
	v_add_nc_u32_e32 v55, 32, v1
	v_xor_b32_e32 v2, s12, v2
	v_and_b32_e32 v0, v0, v4
	; wave barrier
	s_delay_alu instid0(VALU_DEP_1) | instskip(NEXT) | instid1(VALU_DEP_1)
	v_and_b32_e32 v0, v0, v2
	v_mbcnt_lo_u32_b32 v54, v0, 0
	v_cmp_ne_u32_e64 s13, 0, v0
	s_delay_alu instid0(VALU_DEP_2) | instskip(NEXT) | instid1(VALU_DEP_1)
	v_cmp_eq_u32_e64 s12, 0, v54
	s_and_b32 s13, s13, s12
	s_delay_alu instid0(SALU_CYCLE_1)
	s_and_saveexec_b32 s12, s13
	s_cbranch_execz .LBB79_14
; %bb.13:                               ;   in Loop: Header=BB79_2 Depth=1
	s_waitcnt lgkmcnt(0)
	v_bcnt_u32_b32 v0, v0, v53
	ds_store_b32 v55, v0
.LBB79_14:                              ;   in Loop: Header=BB79_2 Depth=1
	s_or_b32 exec_lo, exec_lo, s12
	v_and_b32_e32 v0, 1, v29
	v_lshlrev_b32_e32 v2, 30, v29
	v_lshlrev_b32_e32 v4, 29, v29
	;; [unrolled: 1-line block ×4, first 2 shown]
	v_add_co_u32 v0, s12, v0, -1
	s_delay_alu instid0(VALU_DEP_1)
	v_cndmask_b32_e64 v3, 0, 1, s12
	v_not_b32_e32 v7, v2
	v_cmp_gt_i32_e64 s13, 0, v2
	v_not_b32_e32 v2, v4
	v_and_b32_e32 v1, 0xff, v29
	v_cmp_ne_u32_e64 s12, 0, v3
	v_ashrrev_i32_e32 v7, 31, v7
	v_lshlrev_b32_e32 v3, 26, v29
	v_ashrrev_i32_e32 v2, 31, v2
	v_lshlrev_b32_e32 v1, 3, v1
	v_xor_b32_e32 v0, s12, v0
	v_cmp_gt_i32_e64 s12, 0, v4
	v_not_b32_e32 v4, v5
	v_xor_b32_e32 v7, s13, v7
	v_cmp_gt_i32_e64 s13, 0, v5
	v_and_b32_e32 v0, exec_lo, v0
	v_not_b32_e32 v5, v6
	v_ashrrev_i32_e32 v4, 31, v4
	v_xor_b32_e32 v2, s12, v2
	v_cmp_gt_i32_e64 s12, 0, v6
	v_and_b32_e32 v0, v0, v7
	v_lshlrev_b32_e32 v7, 25, v29
	v_ashrrev_i32_e32 v5, 31, v5
	v_xor_b32_e32 v4, s13, v4
	v_not_b32_e32 v6, v3
	v_and_b32_e32 v0, v0, v2
	v_lshlrev_b32_e32 v2, 24, v29
	v_not_b32_e32 v56, v7
	v_xor_b32_e32 v5, s12, v5
	v_cmp_gt_i32_e64 s12, 0, v3
	v_and_b32_e32 v0, v0, v4
	v_ashrrev_i32_e32 v3, 31, v6
	v_cmp_gt_i32_e64 s13, 0, v7
	v_ashrrev_i32_e32 v4, 31, v56
	v_add_lshl_u32 v1, v21, v1, 2
	v_and_b32_e32 v0, v0, v5
	v_not_b32_e32 v5, v2
	v_xor_b32_e32 v3, s12, v3
	v_xor_b32_e32 v4, s13, v4
	v_cmp_gt_i32_e64 s12, 0, v2
	s_delay_alu instid0(VALU_DEP_4) | instskip(NEXT) | instid1(VALU_DEP_4)
	v_ashrrev_i32_e32 v2, 31, v5
	v_and_b32_e32 v0, v0, v3
	; wave barrier
	ds_load_b32 v56, v1 offset:32
	v_add_nc_u32_e32 v58, 32, v1
	v_xor_b32_e32 v2, s12, v2
	v_and_b32_e32 v0, v0, v4
	; wave barrier
	s_delay_alu instid0(VALU_DEP_1) | instskip(NEXT) | instid1(VALU_DEP_1)
	v_and_b32_e32 v0, v0, v2
	v_mbcnt_lo_u32_b32 v57, v0, 0
	v_cmp_ne_u32_e64 s13, 0, v0
	s_delay_alu instid0(VALU_DEP_2) | instskip(NEXT) | instid1(VALU_DEP_1)
	v_cmp_eq_u32_e64 s12, 0, v57
	s_and_b32 s13, s13, s12
	s_delay_alu instid0(SALU_CYCLE_1)
	s_and_saveexec_b32 s12, s13
	s_cbranch_execz .LBB79_16
; %bb.15:                               ;   in Loop: Header=BB79_2 Depth=1
	s_waitcnt lgkmcnt(0)
	v_bcnt_u32_b32 v0, v0, v56
	ds_store_b32 v58, v0
.LBB79_16:                              ;   in Loop: Header=BB79_2 Depth=1
	s_or_b32 exec_lo, exec_lo, s12
	v_and_b32_e32 v0, 1, v30
	v_lshlrev_b32_e32 v2, 30, v30
	v_lshlrev_b32_e32 v4, 29, v30
	;; [unrolled: 1-line block ×4, first 2 shown]
	v_add_co_u32 v0, s12, v0, -1
	s_delay_alu instid0(VALU_DEP_1)
	v_cndmask_b32_e64 v3, 0, 1, s12
	v_not_b32_e32 v7, v2
	v_cmp_gt_i32_e64 s13, 0, v2
	v_not_b32_e32 v2, v4
	v_and_b32_e32 v1, 0xff, v30
	v_cmp_ne_u32_e64 s12, 0, v3
	v_ashrrev_i32_e32 v7, 31, v7
	v_lshlrev_b32_e32 v3, 26, v30
	v_ashrrev_i32_e32 v2, 31, v2
	v_lshlrev_b32_e32 v1, 3, v1
	v_xor_b32_e32 v0, s12, v0
	v_cmp_gt_i32_e64 s12, 0, v4
	v_not_b32_e32 v4, v5
	v_xor_b32_e32 v7, s13, v7
	v_cmp_gt_i32_e64 s13, 0, v5
	v_and_b32_e32 v0, exec_lo, v0
	v_not_b32_e32 v5, v6
	v_ashrrev_i32_e32 v4, 31, v4
	v_xor_b32_e32 v2, s12, v2
	v_cmp_gt_i32_e64 s12, 0, v6
	v_and_b32_e32 v0, v0, v7
	v_lshlrev_b32_e32 v7, 25, v30
	v_ashrrev_i32_e32 v5, 31, v5
	v_xor_b32_e32 v4, s13, v4
	v_not_b32_e32 v6, v3
	v_and_b32_e32 v0, v0, v2
	v_lshlrev_b32_e32 v2, 24, v30
	v_not_b32_e32 v59, v7
	v_xor_b32_e32 v5, s12, v5
	v_cmp_gt_i32_e64 s12, 0, v3
	v_and_b32_e32 v0, v0, v4
	v_ashrrev_i32_e32 v3, 31, v6
	v_cmp_gt_i32_e64 s13, 0, v7
	v_ashrrev_i32_e32 v4, 31, v59
	v_add_lshl_u32 v1, v21, v1, 2
	v_and_b32_e32 v0, v0, v5
	v_not_b32_e32 v5, v2
	v_xor_b32_e32 v3, s12, v3
	v_xor_b32_e32 v4, s13, v4
	v_cmp_gt_i32_e64 s12, 0, v2
	s_delay_alu instid0(VALU_DEP_4) | instskip(NEXT) | instid1(VALU_DEP_4)
	v_ashrrev_i32_e32 v2, 31, v5
	v_and_b32_e32 v0, v0, v3
	; wave barrier
	ds_load_b32 v59, v1 offset:32
	v_add_nc_u32_e32 v61, 32, v1
	v_xor_b32_e32 v2, s12, v2
	v_and_b32_e32 v0, v0, v4
	; wave barrier
	s_delay_alu instid0(VALU_DEP_1) | instskip(NEXT) | instid1(VALU_DEP_1)
	v_and_b32_e32 v0, v0, v2
	v_mbcnt_lo_u32_b32 v60, v0, 0
	v_cmp_ne_u32_e64 s13, 0, v0
	s_delay_alu instid0(VALU_DEP_2) | instskip(NEXT) | instid1(VALU_DEP_1)
	v_cmp_eq_u32_e64 s12, 0, v60
	s_and_b32 s13, s13, s12
	s_delay_alu instid0(SALU_CYCLE_1)
	s_and_saveexec_b32 s12, s13
	s_cbranch_execz .LBB79_18
; %bb.17:                               ;   in Loop: Header=BB79_2 Depth=1
	s_waitcnt lgkmcnt(0)
	v_bcnt_u32_b32 v0, v0, v59
	ds_store_b32 v61, v0
.LBB79_18:                              ;   in Loop: Header=BB79_2 Depth=1
	s_or_b32 exec_lo, exec_lo, s12
	; wave barrier
	s_waitcnt lgkmcnt(0)
	s_barrier
	buffer_gl0_inv
	ds_load_2addr_b64 v[4:7], v13 offset0:4 offset1:5
	ds_load_2addr_b64 v[0:3], v15 offset0:2 offset1:3
	s_waitcnt lgkmcnt(1)
	v_add_nc_u32_e32 v62, v5, v4
	s_delay_alu instid0(VALU_DEP_1) | instskip(SKIP_1) | instid1(VALU_DEP_1)
	v_add3_u32 v62, v62, v6, v7
	s_waitcnt lgkmcnt(0)
	v_add3_u32 v62, v62, v0, v1
	s_delay_alu instid0(VALU_DEP_1) | instskip(NEXT) | instid1(VALU_DEP_1)
	v_add3_u32 v3, v62, v2, v3
	v_mov_b32_dpp v62, v3 row_shr:1 row_mask:0xf bank_mask:0xf
	s_delay_alu instid0(VALU_DEP_1) | instskip(NEXT) | instid1(VALU_DEP_1)
	v_cndmask_b32_e64 v62, v62, 0, s0
	v_add_nc_u32_e32 v3, v62, v3
	s_delay_alu instid0(VALU_DEP_1) | instskip(NEXT) | instid1(VALU_DEP_1)
	v_mov_b32_dpp v62, v3 row_shr:2 row_mask:0xf bank_mask:0xf
	v_cndmask_b32_e64 v62, 0, v62, s1
	s_delay_alu instid0(VALU_DEP_1) | instskip(NEXT) | instid1(VALU_DEP_1)
	v_add_nc_u32_e32 v3, v3, v62
	v_mov_b32_dpp v62, v3 row_shr:4 row_mask:0xf bank_mask:0xf
	s_delay_alu instid0(VALU_DEP_1) | instskip(NEXT) | instid1(VALU_DEP_1)
	v_cndmask_b32_e64 v62, 0, v62, s2
	v_add_nc_u32_e32 v3, v3, v62
	s_delay_alu instid0(VALU_DEP_1) | instskip(NEXT) | instid1(VALU_DEP_1)
	v_mov_b32_dpp v62, v3 row_shr:8 row_mask:0xf bank_mask:0xf
	v_cndmask_b32_e64 v62, 0, v62, s3
	s_delay_alu instid0(VALU_DEP_1) | instskip(SKIP_3) | instid1(VALU_DEP_1)
	v_add_nc_u32_e32 v3, v3, v62
	ds_swizzle_b32 v62, v3 offset:swizzle(BROADCAST,32,15)
	s_waitcnt lgkmcnt(0)
	v_cndmask_b32_e64 v62, v62, 0, s4
	v_add_nc_u32_e32 v3, v3, v62
	s_and_saveexec_b32 s12, s11
	s_cbranch_execz .LBB79_20
; %bb.19:                               ;   in Loop: Header=BB79_2 Depth=1
	ds_store_b32 v18, v3
.LBB79_20:                              ;   in Loop: Header=BB79_2 Depth=1
	s_or_b32 exec_lo, exec_lo, s12
	s_waitcnt lgkmcnt(0)
	s_barrier
	buffer_gl0_inv
	s_and_saveexec_b32 s12, s5
	s_cbranch_execz .LBB79_22
; %bb.21:                               ;   in Loop: Header=BB79_2 Depth=1
	ds_load_b32 v62, v22
	s_waitcnt lgkmcnt(0)
	v_mov_b32_dpp v63, v62 row_shr:1 row_mask:0xf bank_mask:0xf
	s_delay_alu instid0(VALU_DEP_1) | instskip(NEXT) | instid1(VALU_DEP_1)
	v_cndmask_b32_e64 v63, v63, 0, s8
	v_add_nc_u32_e32 v62, v63, v62
	s_delay_alu instid0(VALU_DEP_1) | instskip(NEXT) | instid1(VALU_DEP_1)
	v_mov_b32_dpp v63, v62 row_shr:2 row_mask:0xf bank_mask:0xf
	v_cndmask_b32_e64 v63, 0, v63, s9
	s_delay_alu instid0(VALU_DEP_1) | instskip(NEXT) | instid1(VALU_DEP_1)
	v_add_nc_u32_e32 v62, v62, v63
	v_mov_b32_dpp v63, v62 row_shr:4 row_mask:0xf bank_mask:0xf
	s_delay_alu instid0(VALU_DEP_1) | instskip(NEXT) | instid1(VALU_DEP_1)
	v_cndmask_b32_e64 v63, 0, v63, s10
	v_add_nc_u32_e32 v62, v62, v63
	ds_store_b32 v22, v62
.LBB79_22:                              ;   in Loop: Header=BB79_2 Depth=1
	s_or_b32 exec_lo, exec_lo, s12
	v_mov_b32_e32 v62, 0
	s_waitcnt lgkmcnt(0)
	s_barrier
	buffer_gl0_inv
	s_and_saveexec_b32 s12, s6
	s_cbranch_execz .LBB79_1
; %bb.23:                               ;   in Loop: Header=BB79_2 Depth=1
	ds_load_b32 v62, v20
	s_branch .LBB79_1
.LBB79_24:
	s_waitcnt lgkmcnt(0)
	v_lshrrev_b32_e32 v9, 8, v0
	s_add_u32 s0, s18, s14
	v_lshrrev_b32_e32 v10, 16, v0
	v_lshrrev_b32_e32 v11, 24, v0
	v_add_nc_u16 v0, v6, v0
	s_addc_u32 s1, s19, 0
	v_add_co_u32 v6, s0, s0, v8
	v_lshrrev_b32_e32 v12, 8, v1
	v_lshrrev_b32_e32 v13, 16, v1
	;; [unrolled: 1-line block ×3, first 2 shown]
	v_add_nc_u16 v9, v7, v9
	v_add_co_ci_u32_e64 v7, null, s1, 0, s0
	v_add_nc_u16 v10, v23, v10
	v_add_nc_u16 v11, v24, v11
	;; [unrolled: 1-line block ×6, first 2 shown]
	s_clause 0x7
	global_store_b8 v[6:7], v0, off
	global_store_b8 v[6:7], v9, off offset:256
	global_store_b8 v[6:7], v10, off offset:512
	;; [unrolled: 1-line block ×7, first 2 shown]
	s_nop 0
	s_sendmsg sendmsg(MSG_DEALLOC_VGPRS)
	s_endpgm
	.section	.rodata,"a",@progbits
	.p2align	6, 0x0
	.amdhsa_kernel _Z17sort_pairs_kernelI22helper_blocked_blockedaLj256ELj8ELj10EEvPKT0_PS1_
		.amdhsa_group_segment_fixed_size 8224
		.amdhsa_private_segment_fixed_size 0
		.amdhsa_kernarg_size 272
		.amdhsa_user_sgpr_count 15
		.amdhsa_user_sgpr_dispatch_ptr 0
		.amdhsa_user_sgpr_queue_ptr 0
		.amdhsa_user_sgpr_kernarg_segment_ptr 1
		.amdhsa_user_sgpr_dispatch_id 0
		.amdhsa_user_sgpr_private_segment_size 0
		.amdhsa_wavefront_size32 1
		.amdhsa_uses_dynamic_stack 0
		.amdhsa_enable_private_segment 0
		.amdhsa_system_sgpr_workgroup_id_x 1
		.amdhsa_system_sgpr_workgroup_id_y 0
		.amdhsa_system_sgpr_workgroup_id_z 0
		.amdhsa_system_sgpr_workgroup_info 0
		.amdhsa_system_vgpr_workitem_id 2
		.amdhsa_next_free_vgpr 64
		.amdhsa_next_free_sgpr 20
		.amdhsa_reserve_vcc 1
		.amdhsa_float_round_mode_32 0
		.amdhsa_float_round_mode_16_64 0
		.amdhsa_float_denorm_mode_32 3
		.amdhsa_float_denorm_mode_16_64 3
		.amdhsa_dx10_clamp 1
		.amdhsa_ieee_mode 1
		.amdhsa_fp16_overflow 0
		.amdhsa_workgroup_processor_mode 1
		.amdhsa_memory_ordered 1
		.amdhsa_forward_progress 0
		.amdhsa_shared_vgpr_count 0
		.amdhsa_exception_fp_ieee_invalid_op 0
		.amdhsa_exception_fp_denorm_src 0
		.amdhsa_exception_fp_ieee_div_zero 0
		.amdhsa_exception_fp_ieee_overflow 0
		.amdhsa_exception_fp_ieee_underflow 0
		.amdhsa_exception_fp_ieee_inexact 0
		.amdhsa_exception_int_div_zero 0
	.end_amdhsa_kernel
	.section	.text._Z17sort_pairs_kernelI22helper_blocked_blockedaLj256ELj8ELj10EEvPKT0_PS1_,"axG",@progbits,_Z17sort_pairs_kernelI22helper_blocked_blockedaLj256ELj8ELj10EEvPKT0_PS1_,comdat
.Lfunc_end79:
	.size	_Z17sort_pairs_kernelI22helper_blocked_blockedaLj256ELj8ELj10EEvPKT0_PS1_, .Lfunc_end79-_Z17sort_pairs_kernelI22helper_blocked_blockedaLj256ELj8ELj10EEvPKT0_PS1_
                                        ; -- End function
	.section	.AMDGPU.csdata,"",@progbits
; Kernel info:
; codeLenInByte = 5128
; NumSgprs: 22
; NumVgprs: 64
; ScratchSize: 0
; MemoryBound: 0
; FloatMode: 240
; IeeeMode: 1
; LDSByteSize: 8224 bytes/workgroup (compile time only)
; SGPRBlocks: 2
; VGPRBlocks: 7
; NumSGPRsForWavesPerEU: 22
; NumVGPRsForWavesPerEU: 64
; Occupancy: 16
; WaveLimiterHint : 1
; COMPUTE_PGM_RSRC2:SCRATCH_EN: 0
; COMPUTE_PGM_RSRC2:USER_SGPR: 15
; COMPUTE_PGM_RSRC2:TRAP_HANDLER: 0
; COMPUTE_PGM_RSRC2:TGID_X_EN: 1
; COMPUTE_PGM_RSRC2:TGID_Y_EN: 0
; COMPUTE_PGM_RSRC2:TGID_Z_EN: 0
; COMPUTE_PGM_RSRC2:TIDIG_COMP_CNT: 2
	.section	.text._Z16sort_keys_kernelI22helper_blocked_blockedaLj320ELj1ELj10EEvPKT0_PS1_,"axG",@progbits,_Z16sort_keys_kernelI22helper_blocked_blockedaLj320ELj1ELj10EEvPKT0_PS1_,comdat
	.protected	_Z16sort_keys_kernelI22helper_blocked_blockedaLj320ELj1ELj10EEvPKT0_PS1_ ; -- Begin function _Z16sort_keys_kernelI22helper_blocked_blockedaLj320ELj1ELj10EEvPKT0_PS1_
	.globl	_Z16sort_keys_kernelI22helper_blocked_blockedaLj320ELj1ELj10EEvPKT0_PS1_
	.p2align	8
	.type	_Z16sort_keys_kernelI22helper_blocked_blockedaLj320ELj1ELj10EEvPKT0_PS1_,@function
_Z16sort_keys_kernelI22helper_blocked_blockedaLj320ELj1ELj10EEvPKT0_PS1_: ; @_Z16sort_keys_kernelI22helper_blocked_blockedaLj320ELj1ELj10EEvPKT0_PS1_
; %bb.0:
	s_clause 0x1
	s_load_b128 s[16:19], s[0:1], 0x0
	s_load_b32 s8, s[0:1], 0x1c
	s_mul_i32 s12, s15, 0x140
	v_and_b32_e32 v8, 0x3ff, v0
	v_mbcnt_lo_u32_b32 v1, -1, 0
	v_bfe_u32 v3, v0, 10, 10
	v_bfe_u32 v0, v0, 20, 10
	s_mov_b32 s13, 10
	s_delay_alu instid0(VALU_DEP_3) | instskip(SKIP_3) | instid1(VALU_DEP_3)
	v_and_b32_e32 v4, 15, v1
	v_add_nc_u32_e32 v6, -1, v1
	v_cmp_eq_u32_e32 vcc_lo, 0, v1
	v_and_b32_e32 v5, 16, v1
	v_cmp_gt_i32_e64 s7, 0, v6
	s_delay_alu instid0(VALU_DEP_2)
	v_cmp_eq_u32_e64 s4, 0, v5
	s_waitcnt lgkmcnt(0)
	s_add_u32 s0, s16, s12
	s_addc_u32 s1, s17, 0
	s_lshr_b32 s9, s8, 16
	global_load_u8 v2, v8, s[0:1]
	s_mov_b32 s0, 0
	v_mad_u32_u24 v3, v0, s9, v3
	s_mov_b32 s1, s0
	s_mov_b32 s3, s0
	;; [unrolled: 1-line block ×3, first 2 shown]
	v_mov_b32_e32 v10, s1
	v_dual_mov_b32 v12, s3 :: v_dual_mov_b32 v9, s0
	v_mov_b32_e32 v11, s2
	v_cmp_eq_u32_e64 s0, 0, v4
	v_cmp_lt_u32_e64 s1, 1, v4
	v_cmp_lt_u32_e64 s2, 3, v4
	;; [unrolled: 1-line block ×3, first 2 shown]
	v_and_b32_e32 v4, 0x1e0, v8
	v_cndmask_b32_e64 v5, v6, v1, s7
	v_lshrrev_b32_e32 v6, 3, v8
	s_and_b32 s8, s8, 0xffff
	v_lshlrev_b32_e32 v13, 5, v8
	v_min_u32_e32 v4, 0x120, v4
	v_mad_u64_u32 v[0:1], null, v3, s8, v[8:9]
	v_and_b32_e32 v14, 60, v6
	v_mul_u32_u24_e32 v3, 3, v8
	s_delay_alu instid0(VALU_DEP_4)
	v_or_b32_e32 v1, 31, v4
	v_cmp_gt_u32_e64 s5, 10, v8
	v_cmp_lt_u32_e64 s6, 31, v8
	v_cmp_eq_u32_e64 s7, 0, v8
	v_add_nc_u32_e32 v15, 40, v13
	v_lshlrev_b32_e32 v16, 2, v5
	v_add_nc_u32_e32 v17, -4, v14
	v_cmp_eq_u32_e64 s8, v1, v8
	v_lshrrev_b32_e32 v18, 5, v0
	v_add_nc_u32_e32 v19, v8, v3
	s_waitcnt vmcnt(0)
	v_xor_b32_e32 v20, 0xffffff80, v2
	s_branch .LBB80_2
.LBB80_1:                               ;   in Loop: Header=BB80_2 Depth=1
	s_or_b32 exec_lo, exec_lo, s9
	s_waitcnt lgkmcnt(0)
	v_add_nc_u32_e32 v3, v23, v3
	s_add_i32 s13, s13, -1
	s_delay_alu instid0(SALU_CYCLE_1) | instskip(SKIP_3) | instid1(VALU_DEP_1)
	s_cmp_eq_u32 s13, 0
	ds_bpermute_b32 v3, v16, v3
	s_waitcnt lgkmcnt(0)
	v_cndmask_b32_e32 v3, v3, v23, vcc_lo
	v_cndmask_b32_e64 v3, v3, 0, s7
	s_delay_alu instid0(VALU_DEP_1) | instskip(NEXT) | instid1(VALU_DEP_1)
	v_add_nc_u32_e32 v4, v3, v4
	v_add_nc_u32_e32 v5, v4, v5
	s_delay_alu instid0(VALU_DEP_1) | instskip(NEXT) | instid1(VALU_DEP_1)
	v_add_nc_u32_e32 v6, v5, v6
	v_add_nc_u32_e32 v23, v6, v7
	;; [unrolled: 3-line block ×3, first 2 shown]
	s_delay_alu instid0(VALU_DEP_1)
	v_add_nc_u32_e32 v1, v0, v2
	ds_store_2addr_b64 v13, v[3:4], v[5:6] offset0:5 offset1:6
	ds_store_2addr_b64 v15, v[23:24], v[0:1] offset0:2 offset1:3
	s_waitcnt lgkmcnt(0)
	s_barrier
	buffer_gl0_inv
	ds_load_b32 v0, v22
	s_waitcnt lgkmcnt(0)
	s_barrier
	buffer_gl0_inv
	v_add_nc_u32_e32 v0, v0, v21
	ds_store_b8 v0, v20
	s_waitcnt lgkmcnt(0)
	s_barrier
	buffer_gl0_inv
	ds_load_u8 v20, v8
	s_cbranch_scc1 .LBB80_10
.LBB80_2:                               ; =>This Inner Loop Header: Depth=1
	s_waitcnt lgkmcnt(0)
	s_delay_alu instid0(VALU_DEP_1)
	v_and_b32_e32 v0, 1, v20
	v_lshlrev_b32_e32 v1, 30, v20
	v_lshlrev_b32_e32 v2, 29, v20
	;; [unrolled: 1-line block ×4, first 2 shown]
	v_add_co_u32 v0, s9, v0, -1
	s_delay_alu instid0(VALU_DEP_1)
	v_cndmask_b32_e64 v3, 0, 1, s9
	v_not_b32_e32 v7, v1
	v_cmp_gt_i32_e64 s10, 0, v1
	v_not_b32_e32 v1, v2
	v_lshlrev_b32_e32 v6, 26, v20
	v_cmp_ne_u32_e64 s9, 0, v3
	v_ashrrev_i32_e32 v7, 31, v7
	v_lshlrev_b32_e32 v3, 25, v20
	v_ashrrev_i32_e32 v1, 31, v1
	v_cmp_gt_i32_e64 s11, 0, v5
	v_xor_b32_e32 v0, s9, v0
	v_cmp_gt_i32_e64 s9, 0, v2
	v_not_b32_e32 v2, v4
	v_xor_b32_e32 v7, s10, v7
	v_cmp_gt_i32_e64 s10, 0, v4
	v_and_b32_e32 v0, exec_lo, v0
	v_xor_b32_e32 v1, s9, v1
	v_ashrrev_i32_e32 v2, 31, v2
	v_not_b32_e32 v4, v5
	v_not_b32_e32 v5, v6
	v_and_b32_e32 v0, v0, v7
	v_cmp_gt_i32_e64 s9, 0, v6
	v_xor_b32_e32 v2, s10, v2
	v_not_b32_e32 v6, v3
	ds_store_2addr_b64 v13, v[9:10], v[11:12] offset0:5 offset1:6
	ds_store_2addr_b64 v15, v[9:10], v[11:12] offset0:2 offset1:3
	v_and_b32_e32 v0, v0, v1
	v_ashrrev_i32_e32 v1, 31, v4
	v_ashrrev_i32_e32 v4, 31, v5
	v_lshlrev_b32_e32 v5, 24, v20
	s_waitcnt lgkmcnt(0)
	v_and_b32_e32 v0, v0, v2
	v_xor_b32_e32 v1, s11, v1
	v_xor_b32_e32 v2, s9, v4
	v_cmp_gt_i32_e64 s9, 0, v3
	v_not_b32_e32 v3, v5
	v_ashrrev_i32_e32 v4, 31, v6
	v_and_b32_e32 v0, v0, v1
	v_cmp_gt_i32_e64 s10, 0, v5
	s_barrier
	v_ashrrev_i32_e32 v1, 31, v3
	v_xor_b32_e32 v3, s9, v4
	v_and_b32_e32 v0, v0, v2
	buffer_gl0_inv
	v_xor_b32_e32 v1, s10, v1
	; wave barrier
	v_and_b32_e32 v0, v0, v3
	s_delay_alu instid0(VALU_DEP_1) | instskip(SKIP_1) | instid1(VALU_DEP_2)
	v_and_b32_e32 v0, v0, v1
	v_and_b32_e32 v1, 0xff, v20
	v_mbcnt_lo_u32_b32 v21, v0, 0
	s_delay_alu instid0(VALU_DEP_2) | instskip(SKIP_1) | instid1(VALU_DEP_3)
	v_mad_u32_u24 v1, v1, 10, v18
	v_cmp_ne_u32_e64 s10, 0, v0
	v_cmp_eq_u32_e64 s9, 0, v21
	s_delay_alu instid0(VALU_DEP_3) | instskip(NEXT) | instid1(VALU_DEP_2)
	v_lshl_add_u32 v22, v1, 2, 40
	s_and_b32 s10, s10, s9
	s_delay_alu instid0(SALU_CYCLE_1)
	s_and_saveexec_b32 s9, s10
	s_cbranch_execz .LBB80_4
; %bb.3:                                ;   in Loop: Header=BB80_2 Depth=1
	v_bcnt_u32_b32 v0, v0, 0
	ds_store_b32 v22, v0
.LBB80_4:                               ;   in Loop: Header=BB80_2 Depth=1
	s_or_b32 exec_lo, exec_lo, s9
	; wave barrier
	s_waitcnt lgkmcnt(0)
	s_barrier
	buffer_gl0_inv
	ds_load_2addr_b64 v[4:7], v13 offset0:5 offset1:6
	ds_load_2addr_b64 v[0:3], v15 offset0:2 offset1:3
	s_waitcnt lgkmcnt(1)
	v_add_nc_u32_e32 v23, v5, v4
	s_delay_alu instid0(VALU_DEP_1) | instskip(SKIP_1) | instid1(VALU_DEP_1)
	v_add3_u32 v23, v23, v6, v7
	s_waitcnt lgkmcnt(0)
	v_add3_u32 v23, v23, v0, v1
	s_delay_alu instid0(VALU_DEP_1) | instskip(NEXT) | instid1(VALU_DEP_1)
	v_add3_u32 v3, v23, v2, v3
	v_mov_b32_dpp v23, v3 row_shr:1 row_mask:0xf bank_mask:0xf
	s_delay_alu instid0(VALU_DEP_1) | instskip(NEXT) | instid1(VALU_DEP_1)
	v_cndmask_b32_e64 v23, v23, 0, s0
	v_add_nc_u32_e32 v3, v23, v3
	s_delay_alu instid0(VALU_DEP_1) | instskip(NEXT) | instid1(VALU_DEP_1)
	v_mov_b32_dpp v23, v3 row_shr:2 row_mask:0xf bank_mask:0xf
	v_cndmask_b32_e64 v23, 0, v23, s1
	s_delay_alu instid0(VALU_DEP_1) | instskip(NEXT) | instid1(VALU_DEP_1)
	v_add_nc_u32_e32 v3, v3, v23
	v_mov_b32_dpp v23, v3 row_shr:4 row_mask:0xf bank_mask:0xf
	s_delay_alu instid0(VALU_DEP_1) | instskip(NEXT) | instid1(VALU_DEP_1)
	v_cndmask_b32_e64 v23, 0, v23, s2
	v_add_nc_u32_e32 v3, v3, v23
	s_delay_alu instid0(VALU_DEP_1) | instskip(NEXT) | instid1(VALU_DEP_1)
	v_mov_b32_dpp v23, v3 row_shr:8 row_mask:0xf bank_mask:0xf
	v_cndmask_b32_e64 v23, 0, v23, s3
	s_delay_alu instid0(VALU_DEP_1) | instskip(SKIP_3) | instid1(VALU_DEP_1)
	v_add_nc_u32_e32 v3, v3, v23
	ds_swizzle_b32 v23, v3 offset:swizzle(BROADCAST,32,15)
	s_waitcnt lgkmcnt(0)
	v_cndmask_b32_e64 v23, v23, 0, s4
	v_add_nc_u32_e32 v3, v3, v23
	s_and_saveexec_b32 s9, s8
	s_cbranch_execz .LBB80_6
; %bb.5:                                ;   in Loop: Header=BB80_2 Depth=1
	ds_store_b32 v14, v3
.LBB80_6:                               ;   in Loop: Header=BB80_2 Depth=1
	s_or_b32 exec_lo, exec_lo, s9
	s_waitcnt lgkmcnt(0)
	s_barrier
	buffer_gl0_inv
	s_and_saveexec_b32 s9, s5
	s_cbranch_execz .LBB80_8
; %bb.7:                                ;   in Loop: Header=BB80_2 Depth=1
	ds_load_b32 v23, v19
	s_waitcnt lgkmcnt(0)
	v_mov_b32_dpp v24, v23 row_shr:1 row_mask:0xf bank_mask:0xf
	s_delay_alu instid0(VALU_DEP_1) | instskip(NEXT) | instid1(VALU_DEP_1)
	v_cndmask_b32_e64 v24, v24, 0, s0
	v_add_nc_u32_e32 v23, v24, v23
	s_delay_alu instid0(VALU_DEP_1) | instskip(NEXT) | instid1(VALU_DEP_1)
	v_mov_b32_dpp v24, v23 row_shr:2 row_mask:0xf bank_mask:0xf
	v_cndmask_b32_e64 v24, 0, v24, s1
	s_delay_alu instid0(VALU_DEP_1) | instskip(NEXT) | instid1(VALU_DEP_1)
	v_add_nc_u32_e32 v23, v23, v24
	v_mov_b32_dpp v24, v23 row_shr:4 row_mask:0xf bank_mask:0xf
	s_delay_alu instid0(VALU_DEP_1) | instskip(NEXT) | instid1(VALU_DEP_1)
	v_cndmask_b32_e64 v24, 0, v24, s2
	v_add_nc_u32_e32 v23, v23, v24
	s_delay_alu instid0(VALU_DEP_1) | instskip(NEXT) | instid1(VALU_DEP_1)
	v_mov_b32_dpp v24, v23 row_shr:8 row_mask:0xf bank_mask:0xf
	v_cndmask_b32_e64 v24, 0, v24, s3
	s_delay_alu instid0(VALU_DEP_1)
	v_add_nc_u32_e32 v23, v23, v24
	ds_store_b32 v19, v23
.LBB80_8:                               ;   in Loop: Header=BB80_2 Depth=1
	s_or_b32 exec_lo, exec_lo, s9
	v_mov_b32_e32 v23, 0
	s_waitcnt lgkmcnt(0)
	s_barrier
	buffer_gl0_inv
	s_and_saveexec_b32 s9, s6
	s_cbranch_execz .LBB80_1
; %bb.9:                                ;   in Loop: Header=BB80_2 Depth=1
	ds_load_b32 v23, v17
	s_branch .LBB80_1
.LBB80_10:
	s_add_u32 s0, s18, s12
	s_addc_u32 s1, s19, 0
	v_add_co_u32 v0, s0, s0, v8
	s_waitcnt lgkmcnt(0)
	v_xor_b32_e32 v2, 0x80, v20
	v_add_co_ci_u32_e64 v1, null, s1, 0, s0
	global_store_b8 v[0:1], v2, off
	s_nop 0
	s_sendmsg sendmsg(MSG_DEALLOC_VGPRS)
	s_endpgm
	.section	.rodata,"a",@progbits
	.p2align	6, 0x0
	.amdhsa_kernel _Z16sort_keys_kernelI22helper_blocked_blockedaLj320ELj1ELj10EEvPKT0_PS1_
		.amdhsa_group_segment_fixed_size 10288
		.amdhsa_private_segment_fixed_size 0
		.amdhsa_kernarg_size 272
		.amdhsa_user_sgpr_count 15
		.amdhsa_user_sgpr_dispatch_ptr 0
		.amdhsa_user_sgpr_queue_ptr 0
		.amdhsa_user_sgpr_kernarg_segment_ptr 1
		.amdhsa_user_sgpr_dispatch_id 0
		.amdhsa_user_sgpr_private_segment_size 0
		.amdhsa_wavefront_size32 1
		.amdhsa_uses_dynamic_stack 0
		.amdhsa_enable_private_segment 0
		.amdhsa_system_sgpr_workgroup_id_x 1
		.amdhsa_system_sgpr_workgroup_id_y 0
		.amdhsa_system_sgpr_workgroup_id_z 0
		.amdhsa_system_sgpr_workgroup_info 0
		.amdhsa_system_vgpr_workitem_id 2
		.amdhsa_next_free_vgpr 25
		.amdhsa_next_free_sgpr 20
		.amdhsa_reserve_vcc 1
		.amdhsa_float_round_mode_32 0
		.amdhsa_float_round_mode_16_64 0
		.amdhsa_float_denorm_mode_32 3
		.amdhsa_float_denorm_mode_16_64 3
		.amdhsa_dx10_clamp 1
		.amdhsa_ieee_mode 1
		.amdhsa_fp16_overflow 0
		.amdhsa_workgroup_processor_mode 1
		.amdhsa_memory_ordered 1
		.amdhsa_forward_progress 0
		.amdhsa_shared_vgpr_count 0
		.amdhsa_exception_fp_ieee_invalid_op 0
		.amdhsa_exception_fp_denorm_src 0
		.amdhsa_exception_fp_ieee_div_zero 0
		.amdhsa_exception_fp_ieee_overflow 0
		.amdhsa_exception_fp_ieee_underflow 0
		.amdhsa_exception_fp_ieee_inexact 0
		.amdhsa_exception_int_div_zero 0
	.end_amdhsa_kernel
	.section	.text._Z16sort_keys_kernelI22helper_blocked_blockedaLj320ELj1ELj10EEvPKT0_PS1_,"axG",@progbits,_Z16sort_keys_kernelI22helper_blocked_blockedaLj320ELj1ELj10EEvPKT0_PS1_,comdat
.Lfunc_end80:
	.size	_Z16sort_keys_kernelI22helper_blocked_blockedaLj320ELj1ELj10EEvPKT0_PS1_, .Lfunc_end80-_Z16sort_keys_kernelI22helper_blocked_blockedaLj320ELj1ELj10EEvPKT0_PS1_
                                        ; -- End function
	.section	.AMDGPU.csdata,"",@progbits
; Kernel info:
; codeLenInByte = 1364
; NumSgprs: 22
; NumVgprs: 25
; ScratchSize: 0
; MemoryBound: 0
; FloatMode: 240
; IeeeMode: 1
; LDSByteSize: 10288 bytes/workgroup (compile time only)
; SGPRBlocks: 2
; VGPRBlocks: 3
; NumSGPRsForWavesPerEU: 22
; NumVGPRsForWavesPerEU: 25
; Occupancy: 15
; WaveLimiterHint : 0
; COMPUTE_PGM_RSRC2:SCRATCH_EN: 0
; COMPUTE_PGM_RSRC2:USER_SGPR: 15
; COMPUTE_PGM_RSRC2:TRAP_HANDLER: 0
; COMPUTE_PGM_RSRC2:TGID_X_EN: 1
; COMPUTE_PGM_RSRC2:TGID_Y_EN: 0
; COMPUTE_PGM_RSRC2:TGID_Z_EN: 0
; COMPUTE_PGM_RSRC2:TIDIG_COMP_CNT: 2
	.section	.text._Z17sort_pairs_kernelI22helper_blocked_blockedaLj320ELj1ELj10EEvPKT0_PS1_,"axG",@progbits,_Z17sort_pairs_kernelI22helper_blocked_blockedaLj320ELj1ELj10EEvPKT0_PS1_,comdat
	.protected	_Z17sort_pairs_kernelI22helper_blocked_blockedaLj320ELj1ELj10EEvPKT0_PS1_ ; -- Begin function _Z17sort_pairs_kernelI22helper_blocked_blockedaLj320ELj1ELj10EEvPKT0_PS1_
	.globl	_Z17sort_pairs_kernelI22helper_blocked_blockedaLj320ELj1ELj10EEvPKT0_PS1_
	.p2align	8
	.type	_Z17sort_pairs_kernelI22helper_blocked_blockedaLj320ELj1ELj10EEvPKT0_PS1_,@function
_Z17sort_pairs_kernelI22helper_blocked_blockedaLj320ELj1ELj10EEvPKT0_PS1_: ; @_Z17sort_pairs_kernelI22helper_blocked_blockedaLj320ELj1ELj10EEvPKT0_PS1_
; %bb.0:
	s_clause 0x1
	s_load_b128 s[16:19], s[0:1], 0x0
	s_load_b32 s8, s[0:1], 0x1c
	s_mul_i32 s12, s15, 0x140
	v_and_b32_e32 v8, 0x3ff, v0
	v_mbcnt_lo_u32_b32 v1, -1, 0
	v_bfe_u32 v3, v0, 10, 10
	v_bfe_u32 v0, v0, 20, 10
	s_mov_b32 s13, 10
	s_delay_alu instid0(VALU_DEP_3) | instskip(SKIP_3) | instid1(VALU_DEP_3)
	v_and_b32_e32 v4, 15, v1
	v_add_nc_u32_e32 v6, -1, v1
	v_cmp_eq_u32_e32 vcc_lo, 0, v1
	v_and_b32_e32 v5, 16, v1
	v_cmp_gt_i32_e64 s7, 0, v6
	s_delay_alu instid0(VALU_DEP_2)
	v_cmp_eq_u32_e64 s4, 0, v5
	s_waitcnt lgkmcnt(0)
	s_add_u32 s0, s16, s12
	s_addc_u32 s1, s17, 0
	s_lshr_b32 s9, s8, 16
	global_load_u8 v2, v8, s[0:1]
	s_mov_b32 s0, 0
	v_mad_u32_u24 v3, v0, s9, v3
	s_mov_b32 s1, s0
	s_mov_b32 s3, s0
	;; [unrolled: 1-line block ×3, first 2 shown]
	v_mov_b32_e32 v10, s1
	v_dual_mov_b32 v12, s3 :: v_dual_mov_b32 v9, s0
	v_mov_b32_e32 v11, s2
	v_cmp_eq_u32_e64 s0, 0, v4
	v_cmp_lt_u32_e64 s1, 1, v4
	v_cmp_lt_u32_e64 s2, 3, v4
	;; [unrolled: 1-line block ×3, first 2 shown]
	v_and_b32_e32 v4, 0x1e0, v8
	v_cndmask_b32_e64 v5, v6, v1, s7
	v_lshrrev_b32_e32 v6, 3, v8
	s_and_b32 s8, s8, 0xffff
	v_lshlrev_b32_e32 v13, 5, v8
	v_min_u32_e32 v4, 0x120, v4
	v_mad_u64_u32 v[0:1], null, v3, s8, v[8:9]
	v_and_b32_e32 v14, 60, v6
	v_mul_u32_u24_e32 v3, 3, v8
	s_delay_alu instid0(VALU_DEP_4)
	v_or_b32_e32 v1, 31, v4
	v_cmp_gt_u32_e64 s5, 10, v8
	v_cmp_lt_u32_e64 s6, 31, v8
	v_cmp_eq_u32_e64 s7, 0, v8
	v_add_nc_u32_e32 v15, 40, v13
	v_lshlrev_b32_e32 v16, 2, v5
	v_add_nc_u32_e32 v17, -4, v14
	v_cmp_eq_u32_e64 s8, v1, v8
	v_lshrrev_b32_e32 v18, 5, v0
	v_add_nc_u32_e32 v19, v8, v3
	s_waitcnt vmcnt(0)
	v_add_nc_u16 v20, v2, 1
	v_xor_b32_e32 v21, 0xffffff80, v2
	s_branch .LBB81_2
.LBB81_1:                               ;   in Loop: Header=BB81_2 Depth=1
	s_or_b32 exec_lo, exec_lo, s9
	s_waitcnt lgkmcnt(0)
	v_add_nc_u32_e32 v3, v24, v3
	s_add_i32 s13, s13, -1
	s_delay_alu instid0(SALU_CYCLE_1) | instskip(SKIP_3) | instid1(VALU_DEP_1)
	s_cmp_lg_u32 s13, 0
	ds_bpermute_b32 v3, v16, v3
	s_waitcnt lgkmcnt(0)
	v_cndmask_b32_e32 v3, v3, v24, vcc_lo
	v_cndmask_b32_e64 v3, v3, 0, s7
	s_delay_alu instid0(VALU_DEP_1) | instskip(NEXT) | instid1(VALU_DEP_1)
	v_add_nc_u32_e32 v4, v3, v4
	v_add_nc_u32_e32 v5, v4, v5
	s_delay_alu instid0(VALU_DEP_1) | instskip(NEXT) | instid1(VALU_DEP_1)
	v_add_nc_u32_e32 v6, v5, v6
	v_add_nc_u32_e32 v24, v6, v7
	;; [unrolled: 3-line block ×3, first 2 shown]
	s_delay_alu instid0(VALU_DEP_1)
	v_add_nc_u32_e32 v1, v0, v2
	ds_store_2addr_b64 v13, v[3:4], v[5:6] offset0:5 offset1:6
	ds_store_2addr_b64 v15, v[24:25], v[0:1] offset0:2 offset1:3
	s_waitcnt lgkmcnt(0)
	s_barrier
	buffer_gl0_inv
	ds_load_b32 v0, v23
	s_waitcnt lgkmcnt(0)
	s_barrier
	buffer_gl0_inv
	v_add_nc_u32_e32 v0, v0, v22
	ds_store_b8 v0, v21
	s_waitcnt lgkmcnt(0)
	s_barrier
	buffer_gl0_inv
	ds_load_u8 v21, v8
	s_waitcnt lgkmcnt(0)
	s_barrier
	buffer_gl0_inv
	ds_store_b8 v0, v20
	s_waitcnt lgkmcnt(0)
	s_barrier
	buffer_gl0_inv
	ds_load_u8 v20, v8
	s_cbranch_scc0 .LBB81_10
.LBB81_2:                               ; =>This Inner Loop Header: Depth=1
	s_delay_alu instid0(VALU_DEP_1)
	v_and_b32_e32 v0, 1, v21
	v_lshlrev_b32_e32 v1, 30, v21
	v_lshlrev_b32_e32 v2, 29, v21
	;; [unrolled: 1-line block ×4, first 2 shown]
	v_add_co_u32 v0, s9, v0, -1
	s_delay_alu instid0(VALU_DEP_1)
	v_cndmask_b32_e64 v3, 0, 1, s9
	v_not_b32_e32 v7, v1
	v_cmp_gt_i32_e64 s10, 0, v1
	v_not_b32_e32 v1, v2
	v_lshlrev_b32_e32 v6, 26, v21
	v_cmp_ne_u32_e64 s9, 0, v3
	v_ashrrev_i32_e32 v7, 31, v7
	v_lshlrev_b32_e32 v3, 25, v21
	v_ashrrev_i32_e32 v1, 31, v1
	v_cmp_gt_i32_e64 s11, 0, v5
	v_xor_b32_e32 v0, s9, v0
	v_cmp_gt_i32_e64 s9, 0, v2
	v_not_b32_e32 v2, v4
	v_xor_b32_e32 v7, s10, v7
	v_cmp_gt_i32_e64 s10, 0, v4
	v_and_b32_e32 v0, exec_lo, v0
	v_xor_b32_e32 v1, s9, v1
	v_ashrrev_i32_e32 v2, 31, v2
	v_not_b32_e32 v4, v5
	v_not_b32_e32 v5, v6
	v_and_b32_e32 v0, v0, v7
	v_cmp_gt_i32_e64 s9, 0, v6
	v_xor_b32_e32 v2, s10, v2
	v_not_b32_e32 v6, v3
	ds_store_2addr_b64 v13, v[9:10], v[11:12] offset0:5 offset1:6
	ds_store_2addr_b64 v15, v[9:10], v[11:12] offset0:2 offset1:3
	v_and_b32_e32 v0, v0, v1
	v_ashrrev_i32_e32 v1, 31, v4
	v_ashrrev_i32_e32 v4, 31, v5
	v_lshlrev_b32_e32 v5, 24, v21
	s_waitcnt lgkmcnt(0)
	v_and_b32_e32 v0, v0, v2
	v_xor_b32_e32 v1, s11, v1
	v_xor_b32_e32 v2, s9, v4
	v_cmp_gt_i32_e64 s9, 0, v3
	v_not_b32_e32 v3, v5
	v_ashrrev_i32_e32 v4, 31, v6
	v_and_b32_e32 v0, v0, v1
	v_cmp_gt_i32_e64 s10, 0, v5
	s_barrier
	v_ashrrev_i32_e32 v1, 31, v3
	v_xor_b32_e32 v3, s9, v4
	v_and_b32_e32 v0, v0, v2
	buffer_gl0_inv
	v_xor_b32_e32 v1, s10, v1
	; wave barrier
	v_and_b32_e32 v0, v0, v3
	s_delay_alu instid0(VALU_DEP_1) | instskip(SKIP_1) | instid1(VALU_DEP_2)
	v_and_b32_e32 v0, v0, v1
	v_and_b32_e32 v1, 0xff, v21
	v_mbcnt_lo_u32_b32 v22, v0, 0
	s_delay_alu instid0(VALU_DEP_2) | instskip(SKIP_1) | instid1(VALU_DEP_3)
	v_mad_u32_u24 v1, v1, 10, v18
	v_cmp_ne_u32_e64 s10, 0, v0
	v_cmp_eq_u32_e64 s9, 0, v22
	s_delay_alu instid0(VALU_DEP_3) | instskip(NEXT) | instid1(VALU_DEP_2)
	v_lshl_add_u32 v23, v1, 2, 40
	s_and_b32 s10, s10, s9
	s_delay_alu instid0(SALU_CYCLE_1)
	s_and_saveexec_b32 s9, s10
	s_cbranch_execz .LBB81_4
; %bb.3:                                ;   in Loop: Header=BB81_2 Depth=1
	v_bcnt_u32_b32 v0, v0, 0
	ds_store_b32 v23, v0
.LBB81_4:                               ;   in Loop: Header=BB81_2 Depth=1
	s_or_b32 exec_lo, exec_lo, s9
	; wave barrier
	s_waitcnt lgkmcnt(0)
	s_barrier
	buffer_gl0_inv
	ds_load_2addr_b64 v[4:7], v13 offset0:5 offset1:6
	ds_load_2addr_b64 v[0:3], v15 offset0:2 offset1:3
	s_waitcnt lgkmcnt(1)
	v_add_nc_u32_e32 v24, v5, v4
	s_delay_alu instid0(VALU_DEP_1) | instskip(SKIP_1) | instid1(VALU_DEP_1)
	v_add3_u32 v24, v24, v6, v7
	s_waitcnt lgkmcnt(0)
	v_add3_u32 v24, v24, v0, v1
	s_delay_alu instid0(VALU_DEP_1) | instskip(NEXT) | instid1(VALU_DEP_1)
	v_add3_u32 v3, v24, v2, v3
	v_mov_b32_dpp v24, v3 row_shr:1 row_mask:0xf bank_mask:0xf
	s_delay_alu instid0(VALU_DEP_1) | instskip(NEXT) | instid1(VALU_DEP_1)
	v_cndmask_b32_e64 v24, v24, 0, s0
	v_add_nc_u32_e32 v3, v24, v3
	s_delay_alu instid0(VALU_DEP_1) | instskip(NEXT) | instid1(VALU_DEP_1)
	v_mov_b32_dpp v24, v3 row_shr:2 row_mask:0xf bank_mask:0xf
	v_cndmask_b32_e64 v24, 0, v24, s1
	s_delay_alu instid0(VALU_DEP_1) | instskip(NEXT) | instid1(VALU_DEP_1)
	v_add_nc_u32_e32 v3, v3, v24
	v_mov_b32_dpp v24, v3 row_shr:4 row_mask:0xf bank_mask:0xf
	s_delay_alu instid0(VALU_DEP_1) | instskip(NEXT) | instid1(VALU_DEP_1)
	v_cndmask_b32_e64 v24, 0, v24, s2
	v_add_nc_u32_e32 v3, v3, v24
	s_delay_alu instid0(VALU_DEP_1) | instskip(NEXT) | instid1(VALU_DEP_1)
	v_mov_b32_dpp v24, v3 row_shr:8 row_mask:0xf bank_mask:0xf
	v_cndmask_b32_e64 v24, 0, v24, s3
	s_delay_alu instid0(VALU_DEP_1) | instskip(SKIP_3) | instid1(VALU_DEP_1)
	v_add_nc_u32_e32 v3, v3, v24
	ds_swizzle_b32 v24, v3 offset:swizzle(BROADCAST,32,15)
	s_waitcnt lgkmcnt(0)
	v_cndmask_b32_e64 v24, v24, 0, s4
	v_add_nc_u32_e32 v3, v3, v24
	s_and_saveexec_b32 s9, s8
	s_cbranch_execz .LBB81_6
; %bb.5:                                ;   in Loop: Header=BB81_2 Depth=1
	ds_store_b32 v14, v3
.LBB81_6:                               ;   in Loop: Header=BB81_2 Depth=1
	s_or_b32 exec_lo, exec_lo, s9
	s_waitcnt lgkmcnt(0)
	s_barrier
	buffer_gl0_inv
	s_and_saveexec_b32 s9, s5
	s_cbranch_execz .LBB81_8
; %bb.7:                                ;   in Loop: Header=BB81_2 Depth=1
	ds_load_b32 v24, v19
	s_waitcnt lgkmcnt(0)
	v_mov_b32_dpp v25, v24 row_shr:1 row_mask:0xf bank_mask:0xf
	s_delay_alu instid0(VALU_DEP_1) | instskip(NEXT) | instid1(VALU_DEP_1)
	v_cndmask_b32_e64 v25, v25, 0, s0
	v_add_nc_u32_e32 v24, v25, v24
	s_delay_alu instid0(VALU_DEP_1) | instskip(NEXT) | instid1(VALU_DEP_1)
	v_mov_b32_dpp v25, v24 row_shr:2 row_mask:0xf bank_mask:0xf
	v_cndmask_b32_e64 v25, 0, v25, s1
	s_delay_alu instid0(VALU_DEP_1) | instskip(NEXT) | instid1(VALU_DEP_1)
	v_add_nc_u32_e32 v24, v24, v25
	v_mov_b32_dpp v25, v24 row_shr:4 row_mask:0xf bank_mask:0xf
	s_delay_alu instid0(VALU_DEP_1) | instskip(NEXT) | instid1(VALU_DEP_1)
	v_cndmask_b32_e64 v25, 0, v25, s2
	v_add_nc_u32_e32 v24, v24, v25
	s_delay_alu instid0(VALU_DEP_1) | instskip(NEXT) | instid1(VALU_DEP_1)
	v_mov_b32_dpp v25, v24 row_shr:8 row_mask:0xf bank_mask:0xf
	v_cndmask_b32_e64 v25, 0, v25, s3
	s_delay_alu instid0(VALU_DEP_1)
	v_add_nc_u32_e32 v24, v24, v25
	ds_store_b32 v19, v24
.LBB81_8:                               ;   in Loop: Header=BB81_2 Depth=1
	s_or_b32 exec_lo, exec_lo, s9
	v_mov_b32_e32 v24, 0
	s_waitcnt lgkmcnt(0)
	s_barrier
	buffer_gl0_inv
	s_and_saveexec_b32 s9, s6
	s_cbranch_execz .LBB81_1
; %bb.9:                                ;   in Loop: Header=BB81_2 Depth=1
	ds_load_b32 v24, v17
	s_branch .LBB81_1
.LBB81_10:
	s_waitcnt lgkmcnt(0)
	v_add_nc_u16 v0, v20, v21
	s_add_u32 s0, s18, s12
	s_addc_u32 s1, s19, 0
	s_delay_alu instid0(VALU_DEP_1) | instskip(SKIP_1) | instid1(VALU_DEP_1)
	v_add_nc_u16 v2, v0, 0xff80
	v_add_co_u32 v0, s0, s0, v8
	v_add_co_ci_u32_e64 v1, null, s1, 0, s0
	global_store_b8 v[0:1], v2, off
	s_nop 0
	s_sendmsg sendmsg(MSG_DEALLOC_VGPRS)
	s_endpgm
	.section	.rodata,"a",@progbits
	.p2align	6, 0x0
	.amdhsa_kernel _Z17sort_pairs_kernelI22helper_blocked_blockedaLj320ELj1ELj10EEvPKT0_PS1_
		.amdhsa_group_segment_fixed_size 10288
		.amdhsa_private_segment_fixed_size 0
		.amdhsa_kernarg_size 272
		.amdhsa_user_sgpr_count 15
		.amdhsa_user_sgpr_dispatch_ptr 0
		.amdhsa_user_sgpr_queue_ptr 0
		.amdhsa_user_sgpr_kernarg_segment_ptr 1
		.amdhsa_user_sgpr_dispatch_id 0
		.amdhsa_user_sgpr_private_segment_size 0
		.amdhsa_wavefront_size32 1
		.amdhsa_uses_dynamic_stack 0
		.amdhsa_enable_private_segment 0
		.amdhsa_system_sgpr_workgroup_id_x 1
		.amdhsa_system_sgpr_workgroup_id_y 0
		.amdhsa_system_sgpr_workgroup_id_z 0
		.amdhsa_system_sgpr_workgroup_info 0
		.amdhsa_system_vgpr_workitem_id 2
		.amdhsa_next_free_vgpr 26
		.amdhsa_next_free_sgpr 20
		.amdhsa_reserve_vcc 1
		.amdhsa_float_round_mode_32 0
		.amdhsa_float_round_mode_16_64 0
		.amdhsa_float_denorm_mode_32 3
		.amdhsa_float_denorm_mode_16_64 3
		.amdhsa_dx10_clamp 1
		.amdhsa_ieee_mode 1
		.amdhsa_fp16_overflow 0
		.amdhsa_workgroup_processor_mode 1
		.amdhsa_memory_ordered 1
		.amdhsa_forward_progress 0
		.amdhsa_shared_vgpr_count 0
		.amdhsa_exception_fp_ieee_invalid_op 0
		.amdhsa_exception_fp_denorm_src 0
		.amdhsa_exception_fp_ieee_div_zero 0
		.amdhsa_exception_fp_ieee_overflow 0
		.amdhsa_exception_fp_ieee_underflow 0
		.amdhsa_exception_fp_ieee_inexact 0
		.amdhsa_exception_int_div_zero 0
	.end_amdhsa_kernel
	.section	.text._Z17sort_pairs_kernelI22helper_blocked_blockedaLj320ELj1ELj10EEvPKT0_PS1_,"axG",@progbits,_Z17sort_pairs_kernelI22helper_blocked_blockedaLj320ELj1ELj10EEvPKT0_PS1_,comdat
.Lfunc_end81:
	.size	_Z17sort_pairs_kernelI22helper_blocked_blockedaLj320ELj1ELj10EEvPKT0_PS1_, .Lfunc_end81-_Z17sort_pairs_kernelI22helper_blocked_blockedaLj320ELj1ELj10EEvPKT0_PS1_
                                        ; -- End function
	.section	.AMDGPU.csdata,"",@progbits
; Kernel info:
; codeLenInByte = 1432
; NumSgprs: 22
; NumVgprs: 26
; ScratchSize: 0
; MemoryBound: 0
; FloatMode: 240
; IeeeMode: 1
; LDSByteSize: 10288 bytes/workgroup (compile time only)
; SGPRBlocks: 2
; VGPRBlocks: 3
; NumSGPRsForWavesPerEU: 22
; NumVGPRsForWavesPerEU: 26
; Occupancy: 15
; WaveLimiterHint : 0
; COMPUTE_PGM_RSRC2:SCRATCH_EN: 0
; COMPUTE_PGM_RSRC2:USER_SGPR: 15
; COMPUTE_PGM_RSRC2:TRAP_HANDLER: 0
; COMPUTE_PGM_RSRC2:TGID_X_EN: 1
; COMPUTE_PGM_RSRC2:TGID_Y_EN: 0
; COMPUTE_PGM_RSRC2:TGID_Z_EN: 0
; COMPUTE_PGM_RSRC2:TIDIG_COMP_CNT: 2
	.section	.text._Z16sort_keys_kernelI22helper_blocked_blockedaLj320ELj3ELj10EEvPKT0_PS1_,"axG",@progbits,_Z16sort_keys_kernelI22helper_blocked_blockedaLj320ELj3ELj10EEvPKT0_PS1_,comdat
	.protected	_Z16sort_keys_kernelI22helper_blocked_blockedaLj320ELj3ELj10EEvPKT0_PS1_ ; -- Begin function _Z16sort_keys_kernelI22helper_blocked_blockedaLj320ELj3ELj10EEvPKT0_PS1_
	.globl	_Z16sort_keys_kernelI22helper_blocked_blockedaLj320ELj3ELj10EEvPKT0_PS1_
	.p2align	8
	.type	_Z16sort_keys_kernelI22helper_blocked_blockedaLj320ELj3ELj10EEvPKT0_PS1_,@function
_Z16sort_keys_kernelI22helper_blocked_blockedaLj320ELj3ELj10EEvPKT0_PS1_: ; @_Z16sort_keys_kernelI22helper_blocked_blockedaLj320ELj3ELj10EEvPKT0_PS1_
; %bb.0:
	s_clause 0x1
	s_load_b128 s[16:19], s[0:1], 0x0
	s_load_b32 s8, s[0:1], 0x1c
	s_mul_i32 s11, s15, 0x3c0
	v_and_b32_e32 v8, 0x3ff, v0
	v_mbcnt_lo_u32_b32 v4, -1, 0
	v_bfe_u32 v6, v0, 10, 10
	v_bfe_u32 v0, v0, 20, 10
	s_mov_b32 s12, 10
	s_delay_alu instid0(VALU_DEP_3)
	v_add_nc_u32_e32 v15, -1, v4
	v_mul_u32_u24_e32 v5, 3, v4
	v_and_b32_e32 v14, 16, v4
	v_cmp_eq_u32_e32 vcc_lo, 0, v4
	v_and_b32_e32 v7, 15, v4
	v_cmp_gt_i32_e64 s7, 0, v15
	s_delay_alu instid0(VALU_DEP_4) | instskip(NEXT) | instid1(VALU_DEP_2)
	v_cmp_eq_u32_e64 s4, 0, v14
	v_cndmask_b32_e64 v15, v15, v4, s7
	s_waitcnt lgkmcnt(0)
	s_add_u32 s0, s16, s11
	s_addc_u32 s1, s17, 0
	s_clause 0x2
	global_load_u8 v1, v8, s[0:1] offset:320
	global_load_u8 v2, v8, s[0:1]
	global_load_u8 v3, v8, s[0:1] offset:640
	s_mov_b32 s0, 0
	s_lshr_b32 s9, s8, 16
	s_mov_b32 s3, s0
	s_mov_b32 s2, s0
	v_mov_b32_e32 v12, s3
	s_mov_b32 s1, s0
	s_delay_alu instid0(SALU_CYCLE_1)
	v_dual_mov_b32 v11, s2 :: v_dual_mov_b32 v10, s1
	v_mov_b32_e32 v9, s0
	v_cmp_eq_u32_e64 s0, 0, v7
	v_cmp_lt_u32_e64 s1, 1, v7
	v_cmp_lt_u32_e64 s2, 3, v7
	;; [unrolled: 1-line block ×3, first 2 shown]
	v_and_b32_e32 v7, 0x1e0, v8
	v_mad_u32_u24 v6, v0, s9, v6
	v_lshrrev_b32_e32 v16, 5, v8
	v_lshlrev_b32_e32 v13, 5, v8
	s_and_b32 s8, s8, 0xffff
	v_min_u32_e32 v7, 0x120, v7
	v_cmp_gt_u32_e64 s5, 10, v8
	v_mul_u32_u24_e32 v20, 0x60, v16
	v_lshlrev_b32_e32 v16, 2, v16
	v_mad_i32_i24 v17, 0xffffffe3, v8, v13
	v_cmp_lt_u32_e64 s6, 31, v8
	v_cmp_eq_u32_e64 s7, 0, v8
	v_add_nc_u32_e32 v14, 40, v13
	v_lshlrev_b32_e32 v15, 2, v15
	v_or_b32_e32 v18, v4, v20
	v_add_nc_u32_e32 v19, -4, v16
	v_add_nc_u32_e32 v20, v5, v20
	v_add_nc_u32_e32 v22, v17, v8
	s_waitcnt vmcnt(2)
	v_lshlrev_b16 v1, 8, v1
	s_waitcnt vmcnt(1)
	s_delay_alu instid0(VALU_DEP_1) | instskip(SKIP_2) | instid1(VALU_DEP_3)
	v_or_b32_e32 v2, v2, v1
	v_mad_u64_u32 v[0:1], null, v6, s8, v[8:9]
	v_or_b32_e32 v1, 31, v7
	v_and_b32_e32 v2, 0xffff, v2
	s_delay_alu instid0(VALU_DEP_2) | instskip(NEXT) | instid1(VALU_DEP_4)
	v_cmp_eq_u32_e64 s8, v1, v8
	v_lshrrev_b32_e32 v21, 5, v0
	s_waitcnt vmcnt(0)
	s_delay_alu instid0(VALU_DEP_3)
	v_lshl_or_b32 v3, v3, 16, v2
	s_branch .LBB82_2
.LBB82_1:                               ;   in Loop: Header=BB82_2 Depth=1
	s_or_b32 exec_lo, exec_lo, s9
	s_waitcnt lgkmcnt(0)
	v_add_nc_u32_e32 v3, v34, v3
	s_add_i32 s12, s12, -1
	s_delay_alu instid0(SALU_CYCLE_1) | instskip(SKIP_3) | instid1(VALU_DEP_1)
	s_cmp_eq_u32 s12, 0
	ds_bpermute_b32 v3, v15, v3
	s_waitcnt lgkmcnt(0)
	v_cndmask_b32_e32 v3, v3, v34, vcc_lo
	v_cndmask_b32_e64 v3, v3, 0, s7
	s_delay_alu instid0(VALU_DEP_1) | instskip(NEXT) | instid1(VALU_DEP_1)
	v_add_nc_u32_e32 v4, v3, v4
	v_add_nc_u32_e32 v5, v4, v5
	s_delay_alu instid0(VALU_DEP_1) | instskip(NEXT) | instid1(VALU_DEP_1)
	v_add_nc_u32_e32 v6, v5, v6
	v_add_nc_u32_e32 v34, v6, v7
	;; [unrolled: 3-line block ×3, first 2 shown]
	s_delay_alu instid0(VALU_DEP_1)
	v_add_nc_u32_e32 v1, v0, v2
	ds_store_2addr_b64 v13, v[3:4], v[5:6] offset0:5 offset1:6
	ds_store_2addr_b64 v14, v[34:35], v[0:1] offset0:2 offset1:3
	s_waitcnt lgkmcnt(0)
	s_barrier
	buffer_gl0_inv
	ds_load_b32 v0, v27
	ds_load_b32 v1, v30
	ds_load_b32 v2, v33
	s_waitcnt lgkmcnt(0)
	s_barrier
	buffer_gl0_inv
	v_add_nc_u32_e32 v0, v0, v26
	v_add3_u32 v1, v29, v28, v1
	v_add3_u32 v2, v32, v31, v2
	ds_store_b8 v0, v23
	ds_store_b8 v1, v24
	;; [unrolled: 1-line block ×3, first 2 shown]
	s_waitcnt lgkmcnt(0)
	s_barrier
	buffer_gl0_inv
	ds_load_u8 v0, v17 offset:1
	ds_load_u8 v1, v17
	ds_load_u8 v3, v17 offset:2
	s_waitcnt lgkmcnt(2)
	v_xor_b32_e32 v0, 0xffffff80, v0
	s_waitcnt lgkmcnt(1)
	v_xor_b32_e32 v2, 0xffffff80, v1
	;; [unrolled: 2-line block ×3, first 2 shown]
	v_lshlrev_b16 v3, 8, v0
	s_delay_alu instid0(VALU_DEP_3) | instskip(NEXT) | instid1(VALU_DEP_3)
	v_and_b32_e32 v4, 0xff, v2
	v_and_b32_e32 v5, 0xff, v1
	s_delay_alu instid0(VALU_DEP_2) | instskip(NEXT) | instid1(VALU_DEP_2)
	v_or_b32_e32 v3, v4, v3
	v_lshlrev_b32_e32 v4, 16, v5
	s_delay_alu instid0(VALU_DEP_2) | instskip(NEXT) | instid1(VALU_DEP_1)
	v_and_b32_e32 v3, 0xffff, v3
	v_or_b32_e32 v3, v3, v4
	s_cbranch_scc1 .LBB82_14
.LBB82_2:                               ; =>This Inner Loop Header: Depth=1
	s_delay_alu instid0(VALU_DEP_1) | instskip(SKIP_2) | instid1(VALU_DEP_3)
	v_lshrrev_b32_e32 v0, 8, v3
	v_lshrrev_b32_e32 v1, 16, v3
	v_xor_b32_e32 v2, 0x80, v3
	v_xor_b32_e32 v0, 0x80, v0
	s_delay_alu instid0(VALU_DEP_3)
	v_xor_b32_e32 v1, 0x80, v1
	ds_store_b8 v20, v2
	ds_store_b8 v20, v0 offset:1
	ds_store_b8 v20, v1 offset:2
	; wave barrier
	ds_load_u8 v23, v18
	ds_load_u8 v24, v18 offset:32
	ds_load_u8 v25, v18 offset:64
	; wave barrier
	; wave barrier
	s_waitcnt lgkmcnt(0)
	s_barrier
	buffer_gl0_inv
	ds_store_2addr_b64 v13, v[9:10], v[11:12] offset0:5 offset1:6
	ds_store_2addr_b64 v14, v[9:10], v[11:12] offset0:2 offset1:3
	s_waitcnt lgkmcnt(0)
	s_barrier
	buffer_gl0_inv
	; wave barrier
	v_and_b32_e32 v0, 1, v23
	v_lshlrev_b32_e32 v1, 30, v23
	v_lshlrev_b32_e32 v2, 29, v23
	;; [unrolled: 1-line block ×4, first 2 shown]
	v_add_co_u32 v0, s9, v0, -1
	s_delay_alu instid0(VALU_DEP_1)
	v_cndmask_b32_e64 v4, 0, 1, s9
	v_not_b32_e32 v26, v1
	v_cmp_gt_i32_e64 s10, 0, v1
	v_not_b32_e32 v1, v2
	v_lshlrev_b32_e32 v6, 26, v23
	v_cmp_ne_u32_e64 s9, 0, v4
	v_ashrrev_i32_e32 v26, 31, v26
	v_lshlrev_b32_e32 v7, 25, v23
	v_ashrrev_i32_e32 v1, 31, v1
	v_lshlrev_b32_e32 v4, 24, v23
	v_xor_b32_e32 v0, s9, v0
	v_cmp_gt_i32_e64 s9, 0, v2
	v_not_b32_e32 v2, v3
	v_xor_b32_e32 v26, s10, v26
	v_cmp_gt_i32_e64 s10, 0, v3
	v_and_b32_e32 v0, exec_lo, v0
	v_not_b32_e32 v3, v5
	v_ashrrev_i32_e32 v2, 31, v2
	v_xor_b32_e32 v1, s9, v1
	v_cmp_gt_i32_e64 s9, 0, v5
	v_and_b32_e32 v0, v0, v26
	v_not_b32_e32 v5, v6
	v_ashrrev_i32_e32 v3, 31, v3
	v_xor_b32_e32 v2, s10, v2
	v_cmp_gt_i32_e64 s10, 0, v6
	v_and_b32_e32 v0, v0, v1
	;; [unrolled: 5-line block ×4, first 2 shown]
	v_ashrrev_i32_e32 v2, 31, v2
	v_xor_b32_e32 v1, s9, v1
	s_delay_alu instid0(VALU_DEP_3) | instskip(NEXT) | instid1(VALU_DEP_3)
	v_and_b32_e32 v0, v0, v5
	v_xor_b32_e32 v2, s10, v2
	s_delay_alu instid0(VALU_DEP_2) | instskip(SKIP_1) | instid1(VALU_DEP_2)
	v_and_b32_e32 v0, v0, v1
	v_and_b32_e32 v1, 0xff, v23
	;; [unrolled: 1-line block ×3, first 2 shown]
	s_delay_alu instid0(VALU_DEP_2) | instskip(NEXT) | instid1(VALU_DEP_2)
	v_mad_u32_u24 v1, v1, 10, v21
	v_mbcnt_lo_u32_b32 v26, v0, 0
	v_cmp_ne_u32_e64 s10, 0, v0
	s_delay_alu instid0(VALU_DEP_3) | instskip(NEXT) | instid1(VALU_DEP_3)
	v_lshl_add_u32 v27, v1, 2, 40
	v_cmp_eq_u32_e64 s9, 0, v26
	s_delay_alu instid0(VALU_DEP_1) | instskip(NEXT) | instid1(SALU_CYCLE_1)
	s_and_b32 s10, s10, s9
	s_and_saveexec_b32 s9, s10
	s_cbranch_execz .LBB82_4
; %bb.3:                                ;   in Loop: Header=BB82_2 Depth=1
	v_bcnt_u32_b32 v0, v0, 0
	ds_store_b32 v27, v0
.LBB82_4:                               ;   in Loop: Header=BB82_2 Depth=1
	s_or_b32 exec_lo, exec_lo, s9
	v_and_b32_e32 v0, 1, v24
	v_lshlrev_b32_e32 v2, 30, v24
	v_lshlrev_b32_e32 v4, 29, v24
	;; [unrolled: 1-line block ×4, first 2 shown]
	v_add_co_u32 v0, s9, v0, -1
	s_delay_alu instid0(VALU_DEP_1)
	v_cndmask_b32_e64 v3, 0, 1, s9
	v_not_b32_e32 v7, v2
	v_cmp_gt_i32_e64 s10, 0, v2
	v_not_b32_e32 v2, v4
	v_and_b32_e32 v1, 0xff, v24
	v_cmp_ne_u32_e64 s9, 0, v3
	v_ashrrev_i32_e32 v7, 31, v7
	v_lshlrev_b32_e32 v3, 26, v24
	v_ashrrev_i32_e32 v2, 31, v2
	v_mul_u32_u24_e32 v1, 10, v1
	v_xor_b32_e32 v0, s9, v0
	v_cmp_gt_i32_e64 s9, 0, v4
	v_not_b32_e32 v4, v5
	v_xor_b32_e32 v7, s10, v7
	v_cmp_gt_i32_e64 s10, 0, v5
	v_and_b32_e32 v0, exec_lo, v0
	v_not_b32_e32 v5, v6
	v_ashrrev_i32_e32 v4, 31, v4
	v_xor_b32_e32 v2, s9, v2
	v_cmp_gt_i32_e64 s9, 0, v6
	v_and_b32_e32 v0, v0, v7
	v_lshlrev_b32_e32 v7, 25, v24
	v_ashrrev_i32_e32 v5, 31, v5
	v_xor_b32_e32 v4, s10, v4
	v_not_b32_e32 v6, v3
	v_and_b32_e32 v0, v0, v2
	v_lshlrev_b32_e32 v2, 24, v24
	v_not_b32_e32 v28, v7
	v_xor_b32_e32 v5, s9, v5
	v_cmp_gt_i32_e64 s9, 0, v3
	v_and_b32_e32 v0, v0, v4
	v_ashrrev_i32_e32 v3, 31, v6
	v_cmp_gt_i32_e64 s10, 0, v7
	v_ashrrev_i32_e32 v4, 31, v28
	v_add_lshl_u32 v1, v21, v1, 2
	v_and_b32_e32 v0, v0, v5
	v_not_b32_e32 v5, v2
	v_xor_b32_e32 v3, s9, v3
	v_xor_b32_e32 v4, s10, v4
	v_cmp_gt_i32_e64 s9, 0, v2
	s_delay_alu instid0(VALU_DEP_4) | instskip(NEXT) | instid1(VALU_DEP_4)
	v_ashrrev_i32_e32 v2, 31, v5
	v_and_b32_e32 v0, v0, v3
	; wave barrier
	ds_load_b32 v28, v1 offset:40
	v_add_nc_u32_e32 v30, 40, v1
	v_xor_b32_e32 v2, s9, v2
	v_and_b32_e32 v0, v0, v4
	; wave barrier
	s_delay_alu instid0(VALU_DEP_1) | instskip(NEXT) | instid1(VALU_DEP_1)
	v_and_b32_e32 v0, v0, v2
	v_mbcnt_lo_u32_b32 v29, v0, 0
	v_cmp_ne_u32_e64 s10, 0, v0
	s_delay_alu instid0(VALU_DEP_2) | instskip(NEXT) | instid1(VALU_DEP_1)
	v_cmp_eq_u32_e64 s9, 0, v29
	s_and_b32 s10, s10, s9
	s_delay_alu instid0(SALU_CYCLE_1)
	s_and_saveexec_b32 s9, s10
	s_cbranch_execz .LBB82_6
; %bb.5:                                ;   in Loop: Header=BB82_2 Depth=1
	s_waitcnt lgkmcnt(0)
	v_bcnt_u32_b32 v0, v0, v28
	ds_store_b32 v30, v0
.LBB82_6:                               ;   in Loop: Header=BB82_2 Depth=1
	s_or_b32 exec_lo, exec_lo, s9
	v_and_b32_e32 v0, 1, v25
	v_lshlrev_b32_e32 v2, 30, v25
	v_lshlrev_b32_e32 v4, 29, v25
	;; [unrolled: 1-line block ×4, first 2 shown]
	v_add_co_u32 v0, s9, v0, -1
	s_delay_alu instid0(VALU_DEP_1)
	v_cndmask_b32_e64 v3, 0, 1, s9
	v_not_b32_e32 v7, v2
	v_cmp_gt_i32_e64 s10, 0, v2
	v_not_b32_e32 v2, v4
	v_and_b32_e32 v1, 0xff, v25
	v_cmp_ne_u32_e64 s9, 0, v3
	v_ashrrev_i32_e32 v7, 31, v7
	v_lshlrev_b32_e32 v3, 26, v25
	v_ashrrev_i32_e32 v2, 31, v2
	v_mul_u32_u24_e32 v1, 10, v1
	v_xor_b32_e32 v0, s9, v0
	v_cmp_gt_i32_e64 s9, 0, v4
	v_not_b32_e32 v4, v5
	v_xor_b32_e32 v7, s10, v7
	v_cmp_gt_i32_e64 s10, 0, v5
	v_and_b32_e32 v0, exec_lo, v0
	v_not_b32_e32 v5, v6
	v_ashrrev_i32_e32 v4, 31, v4
	v_xor_b32_e32 v2, s9, v2
	v_cmp_gt_i32_e64 s9, 0, v6
	v_and_b32_e32 v0, v0, v7
	v_lshlrev_b32_e32 v7, 25, v25
	v_ashrrev_i32_e32 v5, 31, v5
	v_xor_b32_e32 v4, s10, v4
	v_not_b32_e32 v6, v3
	v_and_b32_e32 v0, v0, v2
	v_lshlrev_b32_e32 v2, 24, v25
	v_not_b32_e32 v31, v7
	v_xor_b32_e32 v5, s9, v5
	v_cmp_gt_i32_e64 s9, 0, v3
	v_and_b32_e32 v0, v0, v4
	v_ashrrev_i32_e32 v3, 31, v6
	v_cmp_gt_i32_e64 s10, 0, v7
	v_ashrrev_i32_e32 v4, 31, v31
	v_add_lshl_u32 v1, v21, v1, 2
	v_and_b32_e32 v0, v0, v5
	v_not_b32_e32 v5, v2
	v_xor_b32_e32 v3, s9, v3
	v_xor_b32_e32 v4, s10, v4
	v_cmp_gt_i32_e64 s9, 0, v2
	s_delay_alu instid0(VALU_DEP_4) | instskip(NEXT) | instid1(VALU_DEP_4)
	v_ashrrev_i32_e32 v2, 31, v5
	v_and_b32_e32 v0, v0, v3
	; wave barrier
	ds_load_b32 v31, v1 offset:40
	v_add_nc_u32_e32 v33, 40, v1
	v_xor_b32_e32 v2, s9, v2
	v_and_b32_e32 v0, v0, v4
	; wave barrier
	s_delay_alu instid0(VALU_DEP_1) | instskip(NEXT) | instid1(VALU_DEP_1)
	v_and_b32_e32 v0, v0, v2
	v_mbcnt_lo_u32_b32 v32, v0, 0
	v_cmp_ne_u32_e64 s10, 0, v0
	s_delay_alu instid0(VALU_DEP_2) | instskip(NEXT) | instid1(VALU_DEP_1)
	v_cmp_eq_u32_e64 s9, 0, v32
	s_and_b32 s10, s10, s9
	s_delay_alu instid0(SALU_CYCLE_1)
	s_and_saveexec_b32 s9, s10
	s_cbranch_execz .LBB82_8
; %bb.7:                                ;   in Loop: Header=BB82_2 Depth=1
	s_waitcnt lgkmcnt(0)
	v_bcnt_u32_b32 v0, v0, v31
	ds_store_b32 v33, v0
.LBB82_8:                               ;   in Loop: Header=BB82_2 Depth=1
	s_or_b32 exec_lo, exec_lo, s9
	; wave barrier
	s_waitcnt lgkmcnt(0)
	s_barrier
	buffer_gl0_inv
	ds_load_2addr_b64 v[4:7], v13 offset0:5 offset1:6
	ds_load_2addr_b64 v[0:3], v14 offset0:2 offset1:3
	s_waitcnt lgkmcnt(1)
	v_add_nc_u32_e32 v34, v5, v4
	s_delay_alu instid0(VALU_DEP_1) | instskip(SKIP_1) | instid1(VALU_DEP_1)
	v_add3_u32 v34, v34, v6, v7
	s_waitcnt lgkmcnt(0)
	v_add3_u32 v34, v34, v0, v1
	s_delay_alu instid0(VALU_DEP_1) | instskip(NEXT) | instid1(VALU_DEP_1)
	v_add3_u32 v3, v34, v2, v3
	v_mov_b32_dpp v34, v3 row_shr:1 row_mask:0xf bank_mask:0xf
	s_delay_alu instid0(VALU_DEP_1) | instskip(NEXT) | instid1(VALU_DEP_1)
	v_cndmask_b32_e64 v34, v34, 0, s0
	v_add_nc_u32_e32 v3, v34, v3
	s_delay_alu instid0(VALU_DEP_1) | instskip(NEXT) | instid1(VALU_DEP_1)
	v_mov_b32_dpp v34, v3 row_shr:2 row_mask:0xf bank_mask:0xf
	v_cndmask_b32_e64 v34, 0, v34, s1
	s_delay_alu instid0(VALU_DEP_1) | instskip(NEXT) | instid1(VALU_DEP_1)
	v_add_nc_u32_e32 v3, v3, v34
	v_mov_b32_dpp v34, v3 row_shr:4 row_mask:0xf bank_mask:0xf
	s_delay_alu instid0(VALU_DEP_1) | instskip(NEXT) | instid1(VALU_DEP_1)
	v_cndmask_b32_e64 v34, 0, v34, s2
	v_add_nc_u32_e32 v3, v3, v34
	s_delay_alu instid0(VALU_DEP_1) | instskip(NEXT) | instid1(VALU_DEP_1)
	v_mov_b32_dpp v34, v3 row_shr:8 row_mask:0xf bank_mask:0xf
	v_cndmask_b32_e64 v34, 0, v34, s3
	s_delay_alu instid0(VALU_DEP_1) | instskip(SKIP_3) | instid1(VALU_DEP_1)
	v_add_nc_u32_e32 v3, v3, v34
	ds_swizzle_b32 v34, v3 offset:swizzle(BROADCAST,32,15)
	s_waitcnt lgkmcnt(0)
	v_cndmask_b32_e64 v34, v34, 0, s4
	v_add_nc_u32_e32 v3, v3, v34
	s_and_saveexec_b32 s9, s8
	s_cbranch_execz .LBB82_10
; %bb.9:                                ;   in Loop: Header=BB82_2 Depth=1
	ds_store_b32 v16, v3
.LBB82_10:                              ;   in Loop: Header=BB82_2 Depth=1
	s_or_b32 exec_lo, exec_lo, s9
	s_waitcnt lgkmcnt(0)
	s_barrier
	buffer_gl0_inv
	s_and_saveexec_b32 s9, s5
	s_cbranch_execz .LBB82_12
; %bb.11:                               ;   in Loop: Header=BB82_2 Depth=1
	ds_load_b32 v34, v22
	s_waitcnt lgkmcnt(0)
	v_mov_b32_dpp v35, v34 row_shr:1 row_mask:0xf bank_mask:0xf
	s_delay_alu instid0(VALU_DEP_1) | instskip(NEXT) | instid1(VALU_DEP_1)
	v_cndmask_b32_e64 v35, v35, 0, s0
	v_add_nc_u32_e32 v34, v35, v34
	s_delay_alu instid0(VALU_DEP_1) | instskip(NEXT) | instid1(VALU_DEP_1)
	v_mov_b32_dpp v35, v34 row_shr:2 row_mask:0xf bank_mask:0xf
	v_cndmask_b32_e64 v35, 0, v35, s1
	s_delay_alu instid0(VALU_DEP_1) | instskip(NEXT) | instid1(VALU_DEP_1)
	v_add_nc_u32_e32 v34, v34, v35
	v_mov_b32_dpp v35, v34 row_shr:4 row_mask:0xf bank_mask:0xf
	s_delay_alu instid0(VALU_DEP_1) | instskip(NEXT) | instid1(VALU_DEP_1)
	v_cndmask_b32_e64 v35, 0, v35, s2
	v_add_nc_u32_e32 v34, v34, v35
	s_delay_alu instid0(VALU_DEP_1) | instskip(NEXT) | instid1(VALU_DEP_1)
	v_mov_b32_dpp v35, v34 row_shr:8 row_mask:0xf bank_mask:0xf
	v_cndmask_b32_e64 v35, 0, v35, s3
	s_delay_alu instid0(VALU_DEP_1)
	v_add_nc_u32_e32 v34, v34, v35
	ds_store_b32 v22, v34
.LBB82_12:                              ;   in Loop: Header=BB82_2 Depth=1
	s_or_b32 exec_lo, exec_lo, s9
	v_mov_b32_e32 v34, 0
	s_waitcnt lgkmcnt(0)
	s_barrier
	buffer_gl0_inv
	s_and_saveexec_b32 s9, s6
	s_cbranch_execz .LBB82_1
; %bb.13:                               ;   in Loop: Header=BB82_2 Depth=1
	ds_load_b32 v34, v19
	s_branch .LBB82_1
.LBB82_14:
	s_add_u32 s0, s18, s11
	s_addc_u32 s1, s19, 0
	v_add_co_u32 v3, s0, s0, v8
	s_delay_alu instid0(VALU_DEP_1)
	v_add_co_ci_u32_e64 v4, null, s1, 0, s0
	s_clause 0x2
	global_store_b8 v[3:4], v2, off
	global_store_b8 v[3:4], v0, off offset:320
	global_store_b8 v[3:4], v1, off offset:640
	s_nop 0
	s_sendmsg sendmsg(MSG_DEALLOC_VGPRS)
	s_endpgm
	.section	.rodata,"a",@progbits
	.p2align	6, 0x0
	.amdhsa_kernel _Z16sort_keys_kernelI22helper_blocked_blockedaLj320ELj3ELj10EEvPKT0_PS1_
		.amdhsa_group_segment_fixed_size 10288
		.amdhsa_private_segment_fixed_size 0
		.amdhsa_kernarg_size 272
		.amdhsa_user_sgpr_count 15
		.amdhsa_user_sgpr_dispatch_ptr 0
		.amdhsa_user_sgpr_queue_ptr 0
		.amdhsa_user_sgpr_kernarg_segment_ptr 1
		.amdhsa_user_sgpr_dispatch_id 0
		.amdhsa_user_sgpr_private_segment_size 0
		.amdhsa_wavefront_size32 1
		.amdhsa_uses_dynamic_stack 0
		.amdhsa_enable_private_segment 0
		.amdhsa_system_sgpr_workgroup_id_x 1
		.amdhsa_system_sgpr_workgroup_id_y 0
		.amdhsa_system_sgpr_workgroup_id_z 0
		.amdhsa_system_sgpr_workgroup_info 0
		.amdhsa_system_vgpr_workitem_id 2
		.amdhsa_next_free_vgpr 36
		.amdhsa_next_free_sgpr 20
		.amdhsa_reserve_vcc 1
		.amdhsa_float_round_mode_32 0
		.amdhsa_float_round_mode_16_64 0
		.amdhsa_float_denorm_mode_32 3
		.amdhsa_float_denorm_mode_16_64 3
		.amdhsa_dx10_clamp 1
		.amdhsa_ieee_mode 1
		.amdhsa_fp16_overflow 0
		.amdhsa_workgroup_processor_mode 1
		.amdhsa_memory_ordered 1
		.amdhsa_forward_progress 0
		.amdhsa_shared_vgpr_count 0
		.amdhsa_exception_fp_ieee_invalid_op 0
		.amdhsa_exception_fp_denorm_src 0
		.amdhsa_exception_fp_ieee_div_zero 0
		.amdhsa_exception_fp_ieee_overflow 0
		.amdhsa_exception_fp_ieee_underflow 0
		.amdhsa_exception_fp_ieee_inexact 0
		.amdhsa_exception_int_div_zero 0
	.end_amdhsa_kernel
	.section	.text._Z16sort_keys_kernelI22helper_blocked_blockedaLj320ELj3ELj10EEvPKT0_PS1_,"axG",@progbits,_Z16sort_keys_kernelI22helper_blocked_blockedaLj320ELj3ELj10EEvPKT0_PS1_,comdat
.Lfunc_end82:
	.size	_Z16sort_keys_kernelI22helper_blocked_blockedaLj320ELj3ELj10EEvPKT0_PS1_, .Lfunc_end82-_Z16sort_keys_kernelI22helper_blocked_blockedaLj320ELj3ELj10EEvPKT0_PS1_
                                        ; -- End function
	.section	.AMDGPU.csdata,"",@progbits
; Kernel info:
; codeLenInByte = 2408
; NumSgprs: 22
; NumVgprs: 36
; ScratchSize: 0
; MemoryBound: 0
; FloatMode: 240
; IeeeMode: 1
; LDSByteSize: 10288 bytes/workgroup (compile time only)
; SGPRBlocks: 2
; VGPRBlocks: 4
; NumSGPRsForWavesPerEU: 22
; NumVGPRsForWavesPerEU: 36
; Occupancy: 15
; WaveLimiterHint : 1
; COMPUTE_PGM_RSRC2:SCRATCH_EN: 0
; COMPUTE_PGM_RSRC2:USER_SGPR: 15
; COMPUTE_PGM_RSRC2:TRAP_HANDLER: 0
; COMPUTE_PGM_RSRC2:TGID_X_EN: 1
; COMPUTE_PGM_RSRC2:TGID_Y_EN: 0
; COMPUTE_PGM_RSRC2:TGID_Z_EN: 0
; COMPUTE_PGM_RSRC2:TIDIG_COMP_CNT: 2
	.section	.text._Z17sort_pairs_kernelI22helper_blocked_blockedaLj320ELj3ELj10EEvPKT0_PS1_,"axG",@progbits,_Z17sort_pairs_kernelI22helper_blocked_blockedaLj320ELj3ELj10EEvPKT0_PS1_,comdat
	.protected	_Z17sort_pairs_kernelI22helper_blocked_blockedaLj320ELj3ELj10EEvPKT0_PS1_ ; -- Begin function _Z17sort_pairs_kernelI22helper_blocked_blockedaLj320ELj3ELj10EEvPKT0_PS1_
	.globl	_Z17sort_pairs_kernelI22helper_blocked_blockedaLj320ELj3ELj10EEvPKT0_PS1_
	.p2align	8
	.type	_Z17sort_pairs_kernelI22helper_blocked_blockedaLj320ELj3ELj10EEvPKT0_PS1_,@function
_Z17sort_pairs_kernelI22helper_blocked_blockedaLj320ELj3ELj10EEvPKT0_PS1_: ; @_Z17sort_pairs_kernelI22helper_blocked_blockedaLj320ELj3ELj10EEvPKT0_PS1_
; %bb.0:
	s_clause 0x1
	s_load_b128 s[16:19], s[0:1], 0x0
	s_load_b32 s8, s[0:1], 0x1c
	s_mul_i32 s11, s15, 0x3c0
	v_and_b32_e32 v8, 0x3ff, v0
	v_mbcnt_lo_u32_b32 v4, -1, 0
	v_bfe_u32 v6, v0, 10, 10
	v_bfe_u32 v0, v0, 20, 10
	s_mov_b32 s12, 10
	s_delay_alu instid0(VALU_DEP_3)
	v_add_nc_u32_e32 v15, -1, v4
	v_mul_u32_u24_e32 v5, 3, v4
	v_and_b32_e32 v14, 16, v4
	v_cmp_eq_u32_e32 vcc_lo, 0, v4
	v_and_b32_e32 v7, 15, v4
	v_cmp_gt_i32_e64 s7, 0, v15
	s_delay_alu instid0(VALU_DEP_4) | instskip(NEXT) | instid1(VALU_DEP_2)
	v_cmp_eq_u32_e64 s4, 0, v14
	v_cndmask_b32_e64 v15, v15, v4, s7
	s_waitcnt lgkmcnt(0)
	s_add_u32 s0, s16, s11
	s_addc_u32 s1, s17, 0
	s_clause 0x2
	global_load_u8 v2, v8, s[0:1]
	global_load_u8 v1, v8, s[0:1] offset:320
	global_load_u8 v3, v8, s[0:1] offset:640
	s_mov_b32 s0, 0
	s_lshr_b32 s9, s8, 16
	s_mov_b32 s1, s0
	s_mov_b32 s2, s0
	;; [unrolled: 1-line block ×3, first 2 shown]
	v_dual_mov_b32 v10, s1 :: v_dual_mov_b32 v9, s0
	v_lshrrev_b32_e32 v17, 5, v8
	v_mov_b32_e32 v12, s3
	v_mad_u32_u24 v6, v0, s9, v6
	v_mov_b32_e32 v11, s2
	v_cmp_eq_u32_e64 s0, 0, v7
	v_mul_u32_u24_e32 v20, 0x60, v17
	v_cmp_lt_u32_e64 s1, 1, v7
	v_cmp_lt_u32_e64 s2, 3, v7
	;; [unrolled: 1-line block ×3, first 2 shown]
	v_and_b32_e32 v7, 0x1e0, v8
	v_or_b32_e32 v18, v4, v20
	s_and_b32 s8, s8, 0xffff
	v_lshlrev_b32_e32 v13, 5, v8
	v_lshlrev_b32_e32 v17, 2, v17
	v_min_u32_e32 v7, 0x120, v7
	v_cmp_gt_u32_e64 s5, 10, v8
	v_cmp_lt_u32_e64 s6, 31, v8
	v_mad_i32_i24 v16, 0xffffffe3, v8, v13
	v_cmp_eq_u32_e64 s7, 0, v8
	v_or_b32_e32 v7, 31, v7
	v_add_nc_u32_e32 v14, 40, v13
	v_lshlrev_b32_e32 v15, 2, v15
	v_add_nc_u32_e32 v20, v5, v20
	v_add_nc_u32_e32 v22, v16, v8
	s_waitcnt vmcnt(2)
	v_add_nc_u16 v19, v2, 1
	s_waitcnt vmcnt(1)
	v_lshlrev_b16 v4, 8, v1
	s_delay_alu instid0(VALU_DEP_2) | instskip(SKIP_3) | instid1(VALU_DEP_3)
	v_and_b32_e32 v1, 0xff, v19
	s_waitcnt vmcnt(0)
	v_add_nc_u16 v19, v3, 1
	v_lshlrev_b32_e32 v3, 16, v3
	v_or_b32_e32 v21, v4, v1
	v_mad_u64_u32 v[0:1], null, v6, s8, v[8:9]
	v_or_b32_e32 v1, v2, v4
	v_and_b32_e32 v2, 0xff, v19
	s_delay_alu instid0(VALU_DEP_4)
	v_add_nc_u16 v4, v21, 0x100
	v_add_nc_u32_e32 v19, -4, v17
	v_cmp_eq_u32_e64 s8, v7, v8
	v_and_b32_e32 v1, 0xffff, v1
	v_lshlrev_b32_e32 v2, 16, v2
	v_and_b32_e32 v4, 0xffff, v4
	v_lshrrev_b32_e32 v21, 5, v0
	s_delay_alu instid0(VALU_DEP_4) | instskip(NEXT) | instid1(VALU_DEP_3)
	v_or_b32_e32 v7, v1, v3
	v_or_b32_e32 v0, v4, v2
	s_branch .LBB83_2
.LBB83_1:                               ;   in Loop: Header=BB83_2 Depth=1
	s_or_b32 exec_lo, exec_lo, s9
	s_waitcnt lgkmcnt(0)
	v_add_nc_u32_e32 v3, v37, v3
	s_add_i32 s12, s12, -1
	s_delay_alu instid0(SALU_CYCLE_1) | instskip(SKIP_3) | instid1(VALU_DEP_1)
	s_cmp_eq_u32 s12, 0
	ds_bpermute_b32 v3, v15, v3
	s_waitcnt lgkmcnt(0)
	v_cndmask_b32_e32 v3, v3, v37, vcc_lo
	v_cndmask_b32_e64 v3, v3, 0, s7
	s_delay_alu instid0(VALU_DEP_1) | instskip(NEXT) | instid1(VALU_DEP_1)
	v_add_nc_u32_e32 v4, v3, v4
	v_add_nc_u32_e32 v5, v4, v5
	s_delay_alu instid0(VALU_DEP_1) | instskip(NEXT) | instid1(VALU_DEP_1)
	v_add_nc_u32_e32 v6, v5, v6
	v_add_nc_u32_e32 v37, v6, v7
	;; [unrolled: 3-line block ×3, first 2 shown]
	s_delay_alu instid0(VALU_DEP_1)
	v_add_nc_u32_e32 v1, v0, v2
	ds_store_2addr_b64 v13, v[3:4], v[5:6] offset0:5 offset1:6
	ds_store_2addr_b64 v14, v[37:38], v[0:1] offset0:2 offset1:3
	s_waitcnt lgkmcnt(0)
	s_barrier
	buffer_gl0_inv
	ds_load_b32 v0, v30
	ds_load_b32 v1, v33
	;; [unrolled: 1-line block ×3, first 2 shown]
	s_waitcnt lgkmcnt(0)
	s_barrier
	buffer_gl0_inv
	v_add_nc_u32_e32 v0, v0, v29
	v_add3_u32 v1, v32, v31, v1
	v_add3_u32 v2, v35, v34, v2
	ds_store_b8 v0, v23
	ds_store_b8 v1, v24
	;; [unrolled: 1-line block ×3, first 2 shown]
	s_waitcnt lgkmcnt(0)
	s_barrier
	buffer_gl0_inv
	ds_load_u8 v5, v16
	ds_load_u8 v4, v16 offset:1
	ds_load_u8 v7, v16 offset:2
	s_waitcnt lgkmcnt(0)
	s_barrier
	buffer_gl0_inv
	ds_store_b8 v0, v26
	ds_store_b8 v1, v27
	;; [unrolled: 1-line block ×3, first 2 shown]
	s_waitcnt lgkmcnt(0)
	s_barrier
	buffer_gl0_inv
	ds_load_u8 v1, v16 offset:1
	ds_load_u8 v3, v16
	ds_load_u8 v2, v16 offset:2
	v_xor_b32_e32 v6, 0xffffff80, v5
	v_xor_b32_e32 v4, 0xffffff80, v4
	;; [unrolled: 1-line block ×3, first 2 shown]
	s_delay_alu instid0(VALU_DEP_3) | instskip(NEXT) | instid1(VALU_DEP_3)
	v_and_b32_e32 v23, 0xff, v6
	v_lshlrev_b16 v7, 8, v4
	s_delay_alu instid0(VALU_DEP_3) | instskip(SKIP_2) | instid1(VALU_DEP_3)
	v_and_b32_e32 v24, 0xff, v5
	s_waitcnt lgkmcnt(2)
	v_lshlrev_b16 v0, 8, v1
	v_or_b32_e32 v7, v23, v7
	s_waitcnt lgkmcnt(0)
	v_lshlrev_b32_e32 v23, 16, v2
	s_delay_alu instid0(VALU_DEP_3) | instskip(SKIP_2) | instid1(VALU_DEP_3)
	v_or_b32_e32 v0, v3, v0
	v_lshlrev_b32_e32 v24, 16, v24
	v_and_b32_e32 v7, 0xffff, v7
	v_and_b32_e32 v0, 0xffff, v0
	s_delay_alu instid0(VALU_DEP_2) | instskip(NEXT) | instid1(VALU_DEP_2)
	v_or_b32_e32 v7, v7, v24
	v_or_b32_e32 v0, v0, v23
	s_cbranch_scc1 .LBB83_14
.LBB83_2:                               ; =>This Inner Loop Header: Depth=1
	s_delay_alu instid0(VALU_DEP_2) | instskip(SKIP_2) | instid1(VALU_DEP_3)
	v_lshrrev_b32_e32 v1, 8, v7
	v_lshrrev_b32_e32 v2, 16, v7
	v_xor_b32_e32 v3, 0x80, v7
	v_xor_b32_e32 v1, 0x80, v1
	s_delay_alu instid0(VALU_DEP_3)
	v_xor_b32_e32 v2, 0x80, v2
	ds_store_b8 v20, v3
	ds_store_b8 v20, v1 offset:1
	ds_store_b8 v20, v2 offset:2
	; wave barrier
	ds_load_u8 v23, v18
	v_lshrrev_b32_e32 v1, 8, v0
	ds_load_u8 v24, v18 offset:32
	ds_load_u8 v25, v18 offset:64
	; wave barrier
	ds_store_b8 v20, v0
	ds_store_b8 v20, v1 offset:1
	ds_store_b8_d16_hi v20, v0 offset:2
	; wave barrier
	s_waitcnt lgkmcnt(5)
	v_and_b32_e32 v2, 1, v23
	v_lshlrev_b32_e32 v3, 30, v23
	v_lshlrev_b32_e32 v4, 29, v23
	;; [unrolled: 1-line block ×4, first 2 shown]
	v_add_co_u32 v2, s9, v2, -1
	s_delay_alu instid0(VALU_DEP_1)
	v_cndmask_b32_e64 v6, 0, 1, s9
	v_not_b32_e32 v28, v3
	v_cmp_gt_i32_e64 s10, 0, v3
	v_not_b32_e32 v3, v4
	v_lshlrev_b32_e32 v26, 26, v23
	v_cmp_ne_u32_e64 s9, 0, v6
	v_ashrrev_i32_e32 v28, 31, v28
	v_lshlrev_b32_e32 v27, 25, v23
	v_ashrrev_i32_e32 v3, 31, v3
	v_lshlrev_b32_e32 v6, 24, v23
	v_xor_b32_e32 v2, s9, v2
	v_cmp_gt_i32_e64 s9, 0, v4
	v_not_b32_e32 v4, v5
	v_xor_b32_e32 v28, s10, v28
	v_cmp_gt_i32_e64 s10, 0, v5
	v_and_b32_e32 v2, exec_lo, v2
	v_not_b32_e32 v5, v7
	v_ashrrev_i32_e32 v4, 31, v4
	v_xor_b32_e32 v3, s9, v3
	v_cmp_gt_i32_e64 s9, 0, v7
	v_and_b32_e32 v2, v2, v28
	v_not_b32_e32 v7, v26
	v_ashrrev_i32_e32 v5, 31, v5
	v_xor_b32_e32 v4, s10, v4
	v_cmp_gt_i32_e64 s10, 0, v26
	v_and_b32_e32 v2, v2, v3
	;; [unrolled: 5-line block ×4, first 2 shown]
	v_ashrrev_i32_e32 v4, 31, v4
	v_xor_b32_e32 v3, s9, v3
	ds_load_u8 v26, v18
	ds_load_u8 v27, v18 offset:32
	ds_load_u8 v28, v18 offset:64
	s_waitcnt lgkmcnt(0)
	v_and_b32_e32 v2, v2, v7
	v_xor_b32_e32 v0, s10, v4
	s_barrier
	buffer_gl0_inv
	ds_store_2addr_b64 v13, v[9:10], v[11:12] offset0:5 offset1:6
	ds_store_2addr_b64 v14, v[9:10], v[11:12] offset0:2 offset1:3
	v_and_b32_e32 v1, v2, v3
	s_waitcnt lgkmcnt(0)
	s_barrier
	buffer_gl0_inv
	v_and_b32_e32 v0, v1, v0
	v_and_b32_e32 v1, 0xff, v23
	; wave barrier
	s_delay_alu instid0(VALU_DEP_2) | instskip(NEXT) | instid1(VALU_DEP_2)
	v_mbcnt_lo_u32_b32 v29, v0, 0
	v_mad_u32_u24 v1, v1, 10, v21
	v_cmp_ne_u32_e64 s10, 0, v0
	s_delay_alu instid0(VALU_DEP_3) | instskip(NEXT) | instid1(VALU_DEP_3)
	v_cmp_eq_u32_e64 s9, 0, v29
	v_lshl_add_u32 v30, v1, 2, 40
	s_delay_alu instid0(VALU_DEP_2) | instskip(NEXT) | instid1(SALU_CYCLE_1)
	s_and_b32 s10, s10, s9
	s_and_saveexec_b32 s9, s10
	s_cbranch_execz .LBB83_4
; %bb.3:                                ;   in Loop: Header=BB83_2 Depth=1
	v_bcnt_u32_b32 v0, v0, 0
	ds_store_b32 v30, v0
.LBB83_4:                               ;   in Loop: Header=BB83_2 Depth=1
	s_or_b32 exec_lo, exec_lo, s9
	v_and_b32_e32 v0, 1, v24
	v_lshlrev_b32_e32 v2, 30, v24
	v_lshlrev_b32_e32 v4, 29, v24
	;; [unrolled: 1-line block ×4, first 2 shown]
	v_add_co_u32 v0, s9, v0, -1
	s_delay_alu instid0(VALU_DEP_1)
	v_cndmask_b32_e64 v3, 0, 1, s9
	v_not_b32_e32 v7, v2
	v_cmp_gt_i32_e64 s10, 0, v2
	v_not_b32_e32 v2, v4
	v_and_b32_e32 v1, 0xff, v24
	v_cmp_ne_u32_e64 s9, 0, v3
	v_ashrrev_i32_e32 v7, 31, v7
	v_lshlrev_b32_e32 v3, 26, v24
	v_ashrrev_i32_e32 v2, 31, v2
	v_mul_u32_u24_e32 v1, 10, v1
	v_xor_b32_e32 v0, s9, v0
	v_cmp_gt_i32_e64 s9, 0, v4
	v_not_b32_e32 v4, v5
	v_xor_b32_e32 v7, s10, v7
	v_cmp_gt_i32_e64 s10, 0, v5
	v_and_b32_e32 v0, exec_lo, v0
	v_not_b32_e32 v5, v6
	v_ashrrev_i32_e32 v4, 31, v4
	v_xor_b32_e32 v2, s9, v2
	v_cmp_gt_i32_e64 s9, 0, v6
	v_and_b32_e32 v0, v0, v7
	v_lshlrev_b32_e32 v7, 25, v24
	v_ashrrev_i32_e32 v5, 31, v5
	v_xor_b32_e32 v4, s10, v4
	v_not_b32_e32 v6, v3
	v_and_b32_e32 v0, v0, v2
	v_lshlrev_b32_e32 v2, 24, v24
	v_not_b32_e32 v31, v7
	v_xor_b32_e32 v5, s9, v5
	v_cmp_gt_i32_e64 s9, 0, v3
	v_and_b32_e32 v0, v0, v4
	v_ashrrev_i32_e32 v3, 31, v6
	v_cmp_gt_i32_e64 s10, 0, v7
	v_ashrrev_i32_e32 v4, 31, v31
	v_add_lshl_u32 v1, v21, v1, 2
	v_and_b32_e32 v0, v0, v5
	v_not_b32_e32 v5, v2
	v_xor_b32_e32 v3, s9, v3
	v_xor_b32_e32 v4, s10, v4
	v_cmp_gt_i32_e64 s9, 0, v2
	s_delay_alu instid0(VALU_DEP_4) | instskip(NEXT) | instid1(VALU_DEP_4)
	v_ashrrev_i32_e32 v2, 31, v5
	v_and_b32_e32 v0, v0, v3
	; wave barrier
	ds_load_b32 v31, v1 offset:40
	v_add_nc_u32_e32 v33, 40, v1
	v_xor_b32_e32 v2, s9, v2
	v_and_b32_e32 v0, v0, v4
	; wave barrier
	s_delay_alu instid0(VALU_DEP_1) | instskip(NEXT) | instid1(VALU_DEP_1)
	v_and_b32_e32 v0, v0, v2
	v_mbcnt_lo_u32_b32 v32, v0, 0
	v_cmp_ne_u32_e64 s10, 0, v0
	s_delay_alu instid0(VALU_DEP_2) | instskip(NEXT) | instid1(VALU_DEP_1)
	v_cmp_eq_u32_e64 s9, 0, v32
	s_and_b32 s10, s10, s9
	s_delay_alu instid0(SALU_CYCLE_1)
	s_and_saveexec_b32 s9, s10
	s_cbranch_execz .LBB83_6
; %bb.5:                                ;   in Loop: Header=BB83_2 Depth=1
	s_waitcnt lgkmcnt(0)
	v_bcnt_u32_b32 v0, v0, v31
	ds_store_b32 v33, v0
.LBB83_6:                               ;   in Loop: Header=BB83_2 Depth=1
	s_or_b32 exec_lo, exec_lo, s9
	v_and_b32_e32 v0, 1, v25
	v_lshlrev_b32_e32 v2, 30, v25
	v_lshlrev_b32_e32 v4, 29, v25
	;; [unrolled: 1-line block ×4, first 2 shown]
	v_add_co_u32 v0, s9, v0, -1
	s_delay_alu instid0(VALU_DEP_1)
	v_cndmask_b32_e64 v3, 0, 1, s9
	v_not_b32_e32 v7, v2
	v_cmp_gt_i32_e64 s10, 0, v2
	v_not_b32_e32 v2, v4
	v_and_b32_e32 v1, 0xff, v25
	v_cmp_ne_u32_e64 s9, 0, v3
	v_ashrrev_i32_e32 v7, 31, v7
	v_lshlrev_b32_e32 v3, 26, v25
	v_ashrrev_i32_e32 v2, 31, v2
	v_mul_u32_u24_e32 v1, 10, v1
	v_xor_b32_e32 v0, s9, v0
	v_cmp_gt_i32_e64 s9, 0, v4
	v_not_b32_e32 v4, v5
	v_xor_b32_e32 v7, s10, v7
	v_cmp_gt_i32_e64 s10, 0, v5
	v_and_b32_e32 v0, exec_lo, v0
	v_not_b32_e32 v5, v6
	v_ashrrev_i32_e32 v4, 31, v4
	v_xor_b32_e32 v2, s9, v2
	v_cmp_gt_i32_e64 s9, 0, v6
	v_and_b32_e32 v0, v0, v7
	v_lshlrev_b32_e32 v7, 25, v25
	v_ashrrev_i32_e32 v5, 31, v5
	v_xor_b32_e32 v4, s10, v4
	v_not_b32_e32 v6, v3
	v_and_b32_e32 v0, v0, v2
	v_lshlrev_b32_e32 v2, 24, v25
	v_not_b32_e32 v34, v7
	v_xor_b32_e32 v5, s9, v5
	v_cmp_gt_i32_e64 s9, 0, v3
	v_and_b32_e32 v0, v0, v4
	v_ashrrev_i32_e32 v3, 31, v6
	v_cmp_gt_i32_e64 s10, 0, v7
	v_ashrrev_i32_e32 v4, 31, v34
	v_add_lshl_u32 v1, v21, v1, 2
	v_and_b32_e32 v0, v0, v5
	v_not_b32_e32 v5, v2
	v_xor_b32_e32 v3, s9, v3
	v_xor_b32_e32 v4, s10, v4
	v_cmp_gt_i32_e64 s9, 0, v2
	s_delay_alu instid0(VALU_DEP_4) | instskip(NEXT) | instid1(VALU_DEP_4)
	v_ashrrev_i32_e32 v2, 31, v5
	v_and_b32_e32 v0, v0, v3
	; wave barrier
	ds_load_b32 v34, v1 offset:40
	v_add_nc_u32_e32 v36, 40, v1
	v_xor_b32_e32 v2, s9, v2
	v_and_b32_e32 v0, v0, v4
	; wave barrier
	s_delay_alu instid0(VALU_DEP_1) | instskip(NEXT) | instid1(VALU_DEP_1)
	v_and_b32_e32 v0, v0, v2
	v_mbcnt_lo_u32_b32 v35, v0, 0
	v_cmp_ne_u32_e64 s10, 0, v0
	s_delay_alu instid0(VALU_DEP_2) | instskip(NEXT) | instid1(VALU_DEP_1)
	v_cmp_eq_u32_e64 s9, 0, v35
	s_and_b32 s10, s10, s9
	s_delay_alu instid0(SALU_CYCLE_1)
	s_and_saveexec_b32 s9, s10
	s_cbranch_execz .LBB83_8
; %bb.7:                                ;   in Loop: Header=BB83_2 Depth=1
	s_waitcnt lgkmcnt(0)
	v_bcnt_u32_b32 v0, v0, v34
	ds_store_b32 v36, v0
.LBB83_8:                               ;   in Loop: Header=BB83_2 Depth=1
	s_or_b32 exec_lo, exec_lo, s9
	; wave barrier
	s_waitcnt lgkmcnt(0)
	s_barrier
	buffer_gl0_inv
	ds_load_2addr_b64 v[4:7], v13 offset0:5 offset1:6
	ds_load_2addr_b64 v[0:3], v14 offset0:2 offset1:3
	s_waitcnt lgkmcnt(1)
	v_add_nc_u32_e32 v37, v5, v4
	s_delay_alu instid0(VALU_DEP_1) | instskip(SKIP_1) | instid1(VALU_DEP_1)
	v_add3_u32 v37, v37, v6, v7
	s_waitcnt lgkmcnt(0)
	v_add3_u32 v37, v37, v0, v1
	s_delay_alu instid0(VALU_DEP_1) | instskip(NEXT) | instid1(VALU_DEP_1)
	v_add3_u32 v3, v37, v2, v3
	v_mov_b32_dpp v37, v3 row_shr:1 row_mask:0xf bank_mask:0xf
	s_delay_alu instid0(VALU_DEP_1) | instskip(NEXT) | instid1(VALU_DEP_1)
	v_cndmask_b32_e64 v37, v37, 0, s0
	v_add_nc_u32_e32 v3, v37, v3
	s_delay_alu instid0(VALU_DEP_1) | instskip(NEXT) | instid1(VALU_DEP_1)
	v_mov_b32_dpp v37, v3 row_shr:2 row_mask:0xf bank_mask:0xf
	v_cndmask_b32_e64 v37, 0, v37, s1
	s_delay_alu instid0(VALU_DEP_1) | instskip(NEXT) | instid1(VALU_DEP_1)
	v_add_nc_u32_e32 v3, v3, v37
	v_mov_b32_dpp v37, v3 row_shr:4 row_mask:0xf bank_mask:0xf
	s_delay_alu instid0(VALU_DEP_1) | instskip(NEXT) | instid1(VALU_DEP_1)
	v_cndmask_b32_e64 v37, 0, v37, s2
	v_add_nc_u32_e32 v3, v3, v37
	s_delay_alu instid0(VALU_DEP_1) | instskip(NEXT) | instid1(VALU_DEP_1)
	v_mov_b32_dpp v37, v3 row_shr:8 row_mask:0xf bank_mask:0xf
	v_cndmask_b32_e64 v37, 0, v37, s3
	s_delay_alu instid0(VALU_DEP_1) | instskip(SKIP_3) | instid1(VALU_DEP_1)
	v_add_nc_u32_e32 v3, v3, v37
	ds_swizzle_b32 v37, v3 offset:swizzle(BROADCAST,32,15)
	s_waitcnt lgkmcnt(0)
	v_cndmask_b32_e64 v37, v37, 0, s4
	v_add_nc_u32_e32 v3, v3, v37
	s_and_saveexec_b32 s9, s8
	s_cbranch_execz .LBB83_10
; %bb.9:                                ;   in Loop: Header=BB83_2 Depth=1
	ds_store_b32 v17, v3
.LBB83_10:                              ;   in Loop: Header=BB83_2 Depth=1
	s_or_b32 exec_lo, exec_lo, s9
	s_waitcnt lgkmcnt(0)
	s_barrier
	buffer_gl0_inv
	s_and_saveexec_b32 s9, s5
	s_cbranch_execz .LBB83_12
; %bb.11:                               ;   in Loop: Header=BB83_2 Depth=1
	ds_load_b32 v37, v22
	s_waitcnt lgkmcnt(0)
	v_mov_b32_dpp v38, v37 row_shr:1 row_mask:0xf bank_mask:0xf
	s_delay_alu instid0(VALU_DEP_1) | instskip(NEXT) | instid1(VALU_DEP_1)
	v_cndmask_b32_e64 v38, v38, 0, s0
	v_add_nc_u32_e32 v37, v38, v37
	s_delay_alu instid0(VALU_DEP_1) | instskip(NEXT) | instid1(VALU_DEP_1)
	v_mov_b32_dpp v38, v37 row_shr:2 row_mask:0xf bank_mask:0xf
	v_cndmask_b32_e64 v38, 0, v38, s1
	s_delay_alu instid0(VALU_DEP_1) | instskip(NEXT) | instid1(VALU_DEP_1)
	v_add_nc_u32_e32 v37, v37, v38
	v_mov_b32_dpp v38, v37 row_shr:4 row_mask:0xf bank_mask:0xf
	s_delay_alu instid0(VALU_DEP_1) | instskip(NEXT) | instid1(VALU_DEP_1)
	v_cndmask_b32_e64 v38, 0, v38, s2
	v_add_nc_u32_e32 v37, v37, v38
	s_delay_alu instid0(VALU_DEP_1) | instskip(NEXT) | instid1(VALU_DEP_1)
	v_mov_b32_dpp v38, v37 row_shr:8 row_mask:0xf bank_mask:0xf
	v_cndmask_b32_e64 v38, 0, v38, s3
	s_delay_alu instid0(VALU_DEP_1)
	v_add_nc_u32_e32 v37, v37, v38
	ds_store_b32 v22, v37
.LBB83_12:                              ;   in Loop: Header=BB83_2 Depth=1
	s_or_b32 exec_lo, exec_lo, s9
	v_mov_b32_e32 v37, 0
	s_waitcnt lgkmcnt(0)
	s_barrier
	buffer_gl0_inv
	s_and_saveexec_b32 s9, s6
	s_cbranch_execz .LBB83_1
; %bb.13:                               ;   in Loop: Header=BB83_2 Depth=1
	ds_load_b32 v37, v19
	s_branch .LBB83_1
.LBB83_14:
	s_add_u32 s0, s18, s11
	v_add_nc_u16 v0, v6, v3
	s_addc_u32 s1, s19, 0
	v_add_co_u32 v6, s0, s0, v8
	s_delay_alu instid0(VALU_DEP_1)
	v_add_co_ci_u32_e64 v7, null, s1, 0, s0
	v_add_nc_u16 v1, v4, v1
	v_add_nc_u16 v2, v5, v2
	s_clause 0x2
	global_store_b8 v[6:7], v0, off
	global_store_b8 v[6:7], v1, off offset:320
	global_store_b8 v[6:7], v2, off offset:640
	s_nop 0
	s_sendmsg sendmsg(MSG_DEALLOC_VGPRS)
	s_endpgm
	.section	.rodata,"a",@progbits
	.p2align	6, 0x0
	.amdhsa_kernel _Z17sort_pairs_kernelI22helper_blocked_blockedaLj320ELj3ELj10EEvPKT0_PS1_
		.amdhsa_group_segment_fixed_size 10288
		.amdhsa_private_segment_fixed_size 0
		.amdhsa_kernarg_size 272
		.amdhsa_user_sgpr_count 15
		.amdhsa_user_sgpr_dispatch_ptr 0
		.amdhsa_user_sgpr_queue_ptr 0
		.amdhsa_user_sgpr_kernarg_segment_ptr 1
		.amdhsa_user_sgpr_dispatch_id 0
		.amdhsa_user_sgpr_private_segment_size 0
		.amdhsa_wavefront_size32 1
		.amdhsa_uses_dynamic_stack 0
		.amdhsa_enable_private_segment 0
		.amdhsa_system_sgpr_workgroup_id_x 1
		.amdhsa_system_sgpr_workgroup_id_y 0
		.amdhsa_system_sgpr_workgroup_id_z 0
		.amdhsa_system_sgpr_workgroup_info 0
		.amdhsa_system_vgpr_workitem_id 2
		.amdhsa_next_free_vgpr 39
		.amdhsa_next_free_sgpr 20
		.amdhsa_reserve_vcc 1
		.amdhsa_float_round_mode_32 0
		.amdhsa_float_round_mode_16_64 0
		.amdhsa_float_denorm_mode_32 3
		.amdhsa_float_denorm_mode_16_64 3
		.amdhsa_dx10_clamp 1
		.amdhsa_ieee_mode 1
		.amdhsa_fp16_overflow 0
		.amdhsa_workgroup_processor_mode 1
		.amdhsa_memory_ordered 1
		.amdhsa_forward_progress 0
		.amdhsa_shared_vgpr_count 0
		.amdhsa_exception_fp_ieee_invalid_op 0
		.amdhsa_exception_fp_denorm_src 0
		.amdhsa_exception_fp_ieee_div_zero 0
		.amdhsa_exception_fp_ieee_overflow 0
		.amdhsa_exception_fp_ieee_underflow 0
		.amdhsa_exception_fp_ieee_inexact 0
		.amdhsa_exception_int_div_zero 0
	.end_amdhsa_kernel
	.section	.text._Z17sort_pairs_kernelI22helper_blocked_blockedaLj320ELj3ELj10EEvPKT0_PS1_,"axG",@progbits,_Z17sort_pairs_kernelI22helper_blocked_blockedaLj320ELj3ELj10EEvPKT0_PS1_,comdat
.Lfunc_end83:
	.size	_Z17sort_pairs_kernelI22helper_blocked_blockedaLj320ELj3ELj10EEvPKT0_PS1_, .Lfunc_end83-_Z17sort_pairs_kernelI22helper_blocked_blockedaLj320ELj3ELj10EEvPKT0_PS1_
                                        ; -- End function
	.section	.AMDGPU.csdata,"",@progbits
; Kernel info:
; codeLenInByte = 2648
; NumSgprs: 22
; NumVgprs: 39
; ScratchSize: 0
; MemoryBound: 0
; FloatMode: 240
; IeeeMode: 1
; LDSByteSize: 10288 bytes/workgroup (compile time only)
; SGPRBlocks: 2
; VGPRBlocks: 4
; NumSGPRsForWavesPerEU: 22
; NumVGPRsForWavesPerEU: 39
; Occupancy: 15
; WaveLimiterHint : 1
; COMPUTE_PGM_RSRC2:SCRATCH_EN: 0
; COMPUTE_PGM_RSRC2:USER_SGPR: 15
; COMPUTE_PGM_RSRC2:TRAP_HANDLER: 0
; COMPUTE_PGM_RSRC2:TGID_X_EN: 1
; COMPUTE_PGM_RSRC2:TGID_Y_EN: 0
; COMPUTE_PGM_RSRC2:TGID_Z_EN: 0
; COMPUTE_PGM_RSRC2:TIDIG_COMP_CNT: 2
	.section	.text._Z16sort_keys_kernelI22helper_blocked_blockedaLj320ELj4ELj10EEvPKT0_PS1_,"axG",@progbits,_Z16sort_keys_kernelI22helper_blocked_blockedaLj320ELj4ELj10EEvPKT0_PS1_,comdat
	.protected	_Z16sort_keys_kernelI22helper_blocked_blockedaLj320ELj4ELj10EEvPKT0_PS1_ ; -- Begin function _Z16sort_keys_kernelI22helper_blocked_blockedaLj320ELj4ELj10EEvPKT0_PS1_
	.globl	_Z16sort_keys_kernelI22helper_blocked_blockedaLj320ELj4ELj10EEvPKT0_PS1_
	.p2align	8
	.type	_Z16sort_keys_kernelI22helper_blocked_blockedaLj320ELj4ELj10EEvPKT0_PS1_,@function
_Z16sort_keys_kernelI22helper_blocked_blockedaLj320ELj4ELj10EEvPKT0_PS1_: ; @_Z16sort_keys_kernelI22helper_blocked_blockedaLj320ELj4ELj10EEvPKT0_PS1_
; %bb.0:
	s_clause 0x1
	s_load_b128 s[16:19], s[0:1], 0x0
	s_load_b32 s12, s[0:1], 0x1c
	s_mulk_i32 s15, 0x500
	v_and_b32_e32 v8, 0x3ff, v0
	v_mbcnt_lo_u32_b32 v5, -1, 0
	v_bfe_u32 v7, v0, 10, 10
	v_bfe_u32 v0, v0, 20, 10
	s_delay_alu instid0(VALU_DEP_3)
	v_and_b32_e32 v6, 3, v5
	v_and_b32_e32 v19, 16, v5
	v_add_nc_u32_e32 v20, -1, v5
	v_and_b32_e32 v18, 15, v5
	v_cmp_eq_u32_e32 vcc_lo, 0, v5
	v_and_b32_e32 v13, 28, v5
	v_cmp_eq_u32_e64 s8, 0, v19
	v_cmp_gt_i32_e64 s11, 0, v20
	v_cmp_eq_u32_e64 s4, 0, v18
	v_cmp_lt_u32_e64 s5, 1, v18
	v_cmp_lt_u32_e64 s6, 3, v18
	s_waitcnt lgkmcnt(0)
	s_add_u32 s0, s16, s15
	s_addc_u32 s1, s17, 0
	s_clause 0x3
	global_load_u8 v1, v8, s[0:1] offset:320
	global_load_u8 v2, v8, s[0:1] offset:960
	global_load_u8 v3, v8, s[0:1]
	global_load_u8 v4, v8, s[0:1] offset:640
	s_mov_b32 s0, 0
	s_lshr_b32 s13, s12, 16
	s_mov_b32 s1, s0
	s_mov_b32 s3, s0
	;; [unrolled: 1-line block ×3, first 2 shown]
	v_mov_b32_e32 v10, s1
	v_dual_mov_b32 v12, s3 :: v_dual_mov_b32 v9, s0
	v_mov_b32_e32 v11, s2
	v_cmp_eq_u32_e64 s0, 3, v6
	v_cmp_eq_u32_e64 s1, 2, v6
	;; [unrolled: 1-line block ×4, first 2 shown]
	v_and_b32_e32 v6, 0x1e0, v8
	v_mad_u32_u24 v7, v0, s13, v7
	v_lshrrev_b32_e32 v19, 3, v8
	s_and_b32 s12, s12, 0xffff
	v_lshlrev_b32_e32 v17, 5, v8
	v_min_u32_e32 v6, 0x120, v6
	v_cndmask_b32_e64 v5, v20, v5, s11
	v_mul_i32_i24_e32 v23, 0xffffffe4, v8
	v_and_b32_e32 v19, 60, v19
	v_or_b32_e32 v14, 32, v13
	v_or_b32_e32 v15, 64, v13
	;; [unrolled: 1-line block ×3, first 2 shown]
	v_cmp_lt_u32_e64 s7, 7, v18
	v_cmp_gt_u32_e64 s9, 10, v8
	v_cmp_lt_u32_e64 s10, 31, v8
	v_cmp_eq_u32_e64 s11, 0, v8
	v_add_nc_u32_e32 v18, 40, v17
	v_lshlrev_b32_e32 v20, 2, v5
	v_add_nc_u32_e32 v21, -4, v19
	v_add_nc_u32_e32 v23, v17, v23
	s_mov_b32 s16, 10
	s_waitcnt vmcnt(3)
	v_lshlrev_b16 v1, 8, v1
	s_waitcnt vmcnt(2)
	v_lshlrev_b16 v2, 8, v2
	s_waitcnt vmcnt(1)
	s_delay_alu instid0(VALU_DEP_2) | instskip(SKIP_1) | instid1(VALU_DEP_2)
	v_or_b32_e32 v3, v3, v1
	s_waitcnt vmcnt(0)
	v_or_b32_e32 v2, v4, v2
	v_mad_u64_u32 v[0:1], null, v7, s12, v[8:9]
	v_or_b32_e32 v1, 31, v6
	v_and_b32_e32 v3, 0xffff, v3
	s_delay_alu instid0(VALU_DEP_4) | instskip(NEXT) | instid1(VALU_DEP_3)
	v_lshlrev_b32_e32 v2, 16, v2
	v_cmp_eq_u32_e64 s12, v1, v8
	v_lshrrev_b32_e32 v22, 5, v0
	s_delay_alu instid0(VALU_DEP_3)
	v_or_b32_e32 v0, v3, v2
	s_branch .LBB84_2
.LBB84_1:                               ;   in Loop: Header=BB84_2 Depth=1
	s_or_b32 exec_lo, exec_lo, s13
	s_waitcnt lgkmcnt(0)
	v_add_nc_u32_e32 v3, v39, v3
	s_add_i32 s16, s16, -1
	s_delay_alu instid0(SALU_CYCLE_1) | instskip(SKIP_3) | instid1(VALU_DEP_1)
	s_cmp_eq_u32 s16, 0
	ds_bpermute_b32 v3, v20, v3
	s_waitcnt lgkmcnt(0)
	v_cndmask_b32_e32 v3, v3, v39, vcc_lo
	v_cndmask_b32_e64 v3, v3, 0, s11
	s_delay_alu instid0(VALU_DEP_1) | instskip(NEXT) | instid1(VALU_DEP_1)
	v_add_nc_u32_e32 v4, v3, v4
	v_add_nc_u32_e32 v5, v4, v5
	s_delay_alu instid0(VALU_DEP_1) | instskip(NEXT) | instid1(VALU_DEP_1)
	v_add_nc_u32_e32 v6, v5, v6
	v_add_nc_u32_e32 v39, v6, v7
	;; [unrolled: 3-line block ×3, first 2 shown]
	s_delay_alu instid0(VALU_DEP_1)
	v_add_nc_u32_e32 v1, v0, v2
	ds_store_2addr_b64 v17, v[3:4], v[5:6] offset0:5 offset1:6
	ds_store_2addr_b64 v18, v[39:40], v[0:1] offset0:2 offset1:3
	s_waitcnt lgkmcnt(0)
	s_barrier
	buffer_gl0_inv
	ds_load_b32 v0, v26
	ds_load_b32 v1, v30
	;; [unrolled: 1-line block ×4, first 2 shown]
	s_waitcnt lgkmcnt(0)
	s_barrier
	buffer_gl0_inv
	v_add_nc_u32_e32 v0, v0, v25
	v_add3_u32 v1, v29, v28, v1
	v_add3_u32 v2, v33, v32, v2
	;; [unrolled: 1-line block ×3, first 2 shown]
	ds_store_b8 v0, v24
	ds_store_b8 v1, v27
	;; [unrolled: 1-line block ×4, first 2 shown]
	s_waitcnt lgkmcnt(0)
	s_barrier
	buffer_gl0_inv
	ds_load_b32 v0, v23
	s_waitcnt lgkmcnt(0)
	v_lshrrev_b32_e32 v2, 8, v0
	v_lshrrev_b32_e32 v3, 24, v0
	;; [unrolled: 1-line block ×3, first 2 shown]
	v_xor_b32_e32 v1, 0xffffff80, v0
	s_delay_alu instid0(VALU_DEP_4) | instskip(NEXT) | instid1(VALU_DEP_4)
	v_xor_b32_e32 v2, 0xffffff80, v2
	v_xor_b32_e32 v3, 0xffffff80, v3
	s_delay_alu instid0(VALU_DEP_4) | instskip(NEXT) | instid1(VALU_DEP_4)
	v_xor_b32_e32 v4, 0xffffff80, v4
	v_and_b32_e32 v0, 0xff, v1
	s_delay_alu instid0(VALU_DEP_4) | instskip(NEXT) | instid1(VALU_DEP_4)
	v_lshlrev_b16 v5, 8, v2
	v_lshlrev_b16 v6, 8, v3
	s_delay_alu instid0(VALU_DEP_4) | instskip(NEXT) | instid1(VALU_DEP_3)
	v_and_b32_e32 v7, 0xff, v4
	v_or_b32_e32 v0, v0, v5
	s_delay_alu instid0(VALU_DEP_2) | instskip(NEXT) | instid1(VALU_DEP_2)
	v_or_b32_e32 v5, v7, v6
	v_and_b32_e32 v0, 0xffff, v0
	s_delay_alu instid0(VALU_DEP_2) | instskip(NEXT) | instid1(VALU_DEP_1)
	v_lshlrev_b32_e32 v5, 16, v5
	v_or_b32_e32 v0, v0, v5
	s_cbranch_scc1 .LBB84_16
.LBB84_2:                               ; =>This Inner Loop Header: Depth=1
	s_delay_alu instid0(VALU_DEP_1) | instskip(SKIP_3) | instid1(VALU_DEP_4)
	v_lshrrev_b32_e32 v1, 8, v0
	v_xor_b32_e32 v2, 0x80, v0
	v_lshrrev_b32_e32 v3, 16, v0
	v_lshrrev_b32_e32 v0, 24, v0
	v_xor_b32_e32 v1, 0x80, v1
	s_delay_alu instid0(VALU_DEP_4) | instskip(NEXT) | instid1(VALU_DEP_4)
	v_and_b32_e32 v2, 0xff, v2
	v_xor_b32_e32 v3, 0x80, v3
	s_delay_alu instid0(VALU_DEP_4)
	v_xor_b32_e32 v0, 0x80, v0
	s_barrier
	v_and_b32_e32 v1, 0xff, v1
	ds_bpermute_b32 v4, v13, v2
	v_and_b32_e32 v3, 0xff, v3
	v_and_b32_e32 v0, 0xffff, v0
	s_waitcnt lgkmcnt(0)
	buffer_gl0_inv
	ds_bpermute_b32 v5, v13, v1
	ds_store_2addr_b64 v17, v[9:10], v[11:12] offset0:5 offset1:6
	ds_store_2addr_b64 v18, v[9:10], v[11:12] offset0:2 offset1:3
	ds_bpermute_b32 v6, v13, v3
	ds_bpermute_b32 v7, v13, v0
	s_waitcnt lgkmcnt(0)
	s_barrier
	buffer_gl0_inv
	; wave barrier
	v_perm_b32 v5, v5, v4, 0x3020104
	s_delay_alu instid0(VALU_DEP_1) | instskip(SKIP_2) | instid1(VALU_DEP_1)
	v_cndmask_b32_e64 v4, v4, v5, s2
	ds_bpermute_b32 v5, v14, v2
	v_perm_b32 v6, v6, v4, 0x3020104
	v_cndmask_b32_e64 v4, v4, v6, s1
	s_delay_alu instid0(VALU_DEP_1) | instskip(SKIP_4) | instid1(VALU_DEP_2)
	v_perm_b32 v6, v7, v4, 0x3020104
	ds_bpermute_b32 v7, v14, v1
	v_cndmask_b32_e64 v4, v4, v6, s0
	s_waitcnt lgkmcnt(1)
	v_lshlrev_b16 v5, 8, v5
	v_and_b32_e32 v6, 0xff, v4
	s_delay_alu instid0(VALU_DEP_1) | instskip(NEXT) | instid1(VALU_DEP_1)
	v_or_b32_e32 v5, v6, v5
	v_and_b32_e32 v5, 0xffff, v5
	s_delay_alu instid0(VALU_DEP_1) | instskip(NEXT) | instid1(VALU_DEP_1)
	v_and_or_b32 v5, 0xffff0000, v4, v5
	v_cndmask_b32_e64 v4, v4, v5, s3
	s_waitcnt lgkmcnt(0)
	v_lshlrev_b16 v5, 8, v7
	ds_bpermute_b32 v7, v14, v3
	v_and_b32_e32 v6, 0xff, v4
	s_delay_alu instid0(VALU_DEP_1) | instskip(NEXT) | instid1(VALU_DEP_1)
	v_or_b32_e32 v5, v6, v5
	v_and_b32_e32 v5, 0xffff, v5
	s_delay_alu instid0(VALU_DEP_1) | instskip(NEXT) | instid1(VALU_DEP_1)
	v_and_or_b32 v5, 0xffff0000, v4, v5
	v_cndmask_b32_e64 v4, v4, v5, s2
	s_waitcnt lgkmcnt(0)
	v_lshlrev_b16 v5, 8, v7
	ds_bpermute_b32 v7, v14, v0
	v_and_b32_e32 v6, 0xff, v4
	s_delay_alu instid0(VALU_DEP_1) | instskip(NEXT) | instid1(VALU_DEP_1)
	v_or_b32_e32 v5, v6, v5
	v_and_b32_e32 v5, 0xffff, v5
	s_delay_alu instid0(VALU_DEP_1) | instskip(NEXT) | instid1(VALU_DEP_1)
	v_and_or_b32 v5, 0xffff0000, v4, v5
	v_cndmask_b32_e64 v4, v4, v5, s1
	s_waitcnt lgkmcnt(0)
	v_lshlrev_b16 v5, 8, v7
	s_delay_alu instid0(VALU_DEP_2) | instskip(NEXT) | instid1(VALU_DEP_1)
	v_and_b32_e32 v6, 0xff, v4
	v_or_b32_e32 v5, v6, v5
	ds_bpermute_b32 v6, v15, v2
	ds_bpermute_b32 v2, v16, v2
	v_and_b32_e32 v5, 0xffff, v5
	s_delay_alu instid0(VALU_DEP_1) | instskip(NEXT) | instid1(VALU_DEP_1)
	v_and_or_b32 v5, 0xffff0000, v4, v5
	v_cndmask_b32_e64 v4, v4, v5, s0
	s_delay_alu instid0(VALU_DEP_1)
	v_lshrrev_b32_e32 v5, 16, v4
	s_waitcnt lgkmcnt(1)
	v_and_b32_e32 v6, 0xff, v6
	s_waitcnt lgkmcnt(0)
	v_lshlrev_b16 v2, 8, v2
	v_and_b32_e32 v5, 0xffffff00, v5
	s_delay_alu instid0(VALU_DEP_1) | instskip(SKIP_3) | instid1(VALU_DEP_1)
	v_or_b32_e32 v5, v6, v5
	ds_bpermute_b32 v6, v15, v1
	ds_bpermute_b32 v1, v16, v1
	v_lshlrev_b32_e32 v5, 16, v5
	v_and_or_b32 v5, 0xffff, v4, v5
	s_delay_alu instid0(VALU_DEP_1) | instskip(NEXT) | instid1(VALU_DEP_1)
	v_cndmask_b32_e64 v4, v4, v5, s3
	v_lshrrev_b32_e32 v5, 16, v4
	s_waitcnt lgkmcnt(1)
	v_and_b32_e32 v6, 0xff, v6
	s_waitcnt lgkmcnt(0)
	v_lshlrev_b16 v1, 8, v1
	v_and_b32_e32 v5, 0xffffff00, v5
	s_delay_alu instid0(VALU_DEP_1) | instskip(SKIP_3) | instid1(VALU_DEP_1)
	v_or_b32_e32 v5, v6, v5
	ds_bpermute_b32 v6, v15, v3
	ds_bpermute_b32 v3, v16, v3
	v_lshlrev_b32_e32 v5, 16, v5
	v_and_or_b32 v5, 0xffff, v4, v5
	s_delay_alu instid0(VALU_DEP_1) | instskip(NEXT) | instid1(VALU_DEP_1)
	v_cndmask_b32_e64 v4, v4, v5, s2
	;; [unrolled: 14-line block ×3, first 2 shown]
	v_lshrrev_b32_e32 v5, 16, v4
	s_waitcnt lgkmcnt(1)
	v_and_b32_e32 v6, 0xff, v6
	s_waitcnt lgkmcnt(0)
	v_lshlrev_b16 v0, 8, v0
	v_and_b32_e32 v5, 0xffffff00, v5
	s_delay_alu instid0(VALU_DEP_1) | instskip(NEXT) | instid1(VALU_DEP_1)
	v_or_b32_e32 v5, v6, v5
	v_lshlrev_b32_e32 v5, 16, v5
	s_delay_alu instid0(VALU_DEP_1) | instskip(NEXT) | instid1(VALU_DEP_1)
	v_and_or_b32 v5, 0xffff, v4, v5
	v_cndmask_b32_e64 v4, v4, v5, s0
	s_delay_alu instid0(VALU_DEP_1) | instskip(NEXT) | instid1(VALU_DEP_1)
	v_lshrrev_b32_e32 v5, 16, v4
	v_and_b32_e32 v5, 0xff, v5
	s_delay_alu instid0(VALU_DEP_1) | instskip(NEXT) | instid1(VALU_DEP_1)
	v_or_b32_e32 v2, v5, v2
	v_lshlrev_b32_e32 v2, 16, v2
	s_delay_alu instid0(VALU_DEP_1) | instskip(NEXT) | instid1(VALU_DEP_1)
	v_and_or_b32 v2, 0xffff, v4, v2
	v_cndmask_b32_e64 v2, v4, v2, s3
	s_delay_alu instid0(VALU_DEP_1) | instskip(NEXT) | instid1(VALU_DEP_1)
	v_lshrrev_b32_e32 v4, 16, v2
	;; [unrolled: 9-line block ×4, first 2 shown]
	v_and_b32_e32 v2, 0xff, v2
	s_delay_alu instid0(VALU_DEP_1) | instskip(NEXT) | instid1(VALU_DEP_1)
	v_or_b32_e32 v0, v2, v0
	v_lshlrev_b32_e32 v0, 16, v0
	s_delay_alu instid0(VALU_DEP_1) | instskip(NEXT) | instid1(VALU_DEP_1)
	v_and_or_b32 v0, 0xffff, v1, v0
	v_cndmask_b32_e64 v24, v1, v0, s0
	s_delay_alu instid0(VALU_DEP_1)
	v_and_b32_e32 v0, 1, v24
	v_lshlrev_b32_e32 v1, 30, v24
	v_lshlrev_b32_e32 v2, 29, v24
	;; [unrolled: 1-line block ×4, first 2 shown]
	v_add_co_u32 v0, s13, v0, -1
	s_delay_alu instid0(VALU_DEP_1)
	v_cndmask_b32_e64 v4, 0, 1, s13
	v_not_b32_e32 v25, v1
	v_cmp_gt_i32_e64 s14, 0, v1
	v_not_b32_e32 v1, v2
	v_lshlrev_b32_e32 v6, 26, v24
	v_cmp_ne_u32_e64 s13, 0, v4
	v_ashrrev_i32_e32 v25, 31, v25
	v_lshlrev_b32_e32 v7, 25, v24
	v_ashrrev_i32_e32 v1, 31, v1
	v_lshlrev_b32_e32 v4, 24, v24
	v_xor_b32_e32 v0, s13, v0
	v_cmp_gt_i32_e64 s13, 0, v2
	v_not_b32_e32 v2, v3
	v_xor_b32_e32 v25, s14, v25
	v_cmp_gt_i32_e64 s14, 0, v3
	v_and_b32_e32 v0, exec_lo, v0
	v_not_b32_e32 v3, v5
	v_ashrrev_i32_e32 v2, 31, v2
	v_xor_b32_e32 v1, s13, v1
	v_cmp_gt_i32_e64 s13, 0, v5
	v_and_b32_e32 v0, v0, v25
	v_not_b32_e32 v5, v6
	v_ashrrev_i32_e32 v3, 31, v3
	v_xor_b32_e32 v2, s14, v2
	v_cmp_gt_i32_e64 s14, 0, v6
	v_and_b32_e32 v0, v0, v1
	;; [unrolled: 5-line block ×4, first 2 shown]
	v_ashrrev_i32_e32 v2, 31, v2
	v_xor_b32_e32 v1, s13, v1
	s_delay_alu instid0(VALU_DEP_3) | instskip(NEXT) | instid1(VALU_DEP_3)
	v_and_b32_e32 v0, v0, v5
	v_xor_b32_e32 v2, s14, v2
	s_delay_alu instid0(VALU_DEP_2) | instskip(SKIP_1) | instid1(VALU_DEP_2)
	v_and_b32_e32 v0, v0, v1
	v_and_b32_e32 v1, 0xff, v24
	;; [unrolled: 1-line block ×3, first 2 shown]
	s_delay_alu instid0(VALU_DEP_2) | instskip(NEXT) | instid1(VALU_DEP_2)
	v_mad_u32_u24 v1, v1, 10, v22
	v_mbcnt_lo_u32_b32 v25, v0, 0
	v_cmp_ne_u32_e64 s14, 0, v0
	s_delay_alu instid0(VALU_DEP_3) | instskip(NEXT) | instid1(VALU_DEP_3)
	v_lshl_add_u32 v26, v1, 2, 40
	v_cmp_eq_u32_e64 s13, 0, v25
	s_delay_alu instid0(VALU_DEP_1) | instskip(NEXT) | instid1(SALU_CYCLE_1)
	s_and_b32 s14, s13, s14
	s_and_saveexec_b32 s13, s14
	s_cbranch_execz .LBB84_4
; %bb.3:                                ;   in Loop: Header=BB84_2 Depth=1
	v_bcnt_u32_b32 v0, v0, 0
	ds_store_b32 v26, v0
.LBB84_4:                               ;   in Loop: Header=BB84_2 Depth=1
	s_or_b32 exec_lo, exec_lo, s13
	v_bfe_u32 v0, v24, 8, 1
	v_lshrrev_b32_e32 v27, 8, v24
	; wave barrier
	s_delay_alu instid0(VALU_DEP_2) | instskip(NEXT) | instid1(VALU_DEP_1)
	v_add_co_u32 v0, s13, v0, -1
	v_cndmask_b32_e64 v1, 0, 1, s13
	s_delay_alu instid0(VALU_DEP_3)
	v_lshlrev_b32_e32 v2, 30, v27
	v_lshlrev_b32_e32 v3, 29, v27
	;; [unrolled: 1-line block ×4, first 2 shown]
	v_cmp_ne_u32_e64 s13, 0, v1
	v_not_b32_e32 v1, v2
	v_cmp_gt_i32_e64 s14, 0, v2
	v_not_b32_e32 v2, v3
	v_lshlrev_b32_e32 v6, 26, v27
	v_xor_b32_e32 v0, s13, v0
	v_ashrrev_i32_e32 v1, 31, v1
	v_cmp_gt_i32_e64 s13, 0, v3
	v_not_b32_e32 v3, v4
	v_ashrrev_i32_e32 v2, 31, v2
	v_and_b32_e32 v0, exec_lo, v0
	v_xor_b32_e32 v1, s14, v1
	v_cmp_gt_i32_e64 s14, 0, v4
	v_not_b32_e32 v4, v5
	v_ashrrev_i32_e32 v3, 31, v3
	v_xor_b32_e32 v2, s13, v2
	v_and_b32_e32 v0, v0, v1
	v_cmp_gt_i32_e64 s13, 0, v5
	v_not_b32_e32 v1, v6
	v_ashrrev_i32_e32 v4, 31, v4
	v_xor_b32_e32 v3, s14, v3
	v_and_b32_e32 v0, v0, v2
	v_lshlrev_b32_e32 v2, 25, v27
	v_cmp_gt_i32_e64 s14, 0, v6
	v_ashrrev_i32_e32 v1, 31, v1
	v_xor_b32_e32 v4, s13, v4
	v_and_b32_e32 v0, v0, v3
	v_not_b32_e32 v5, v2
	v_lshlrev_b32_e32 v6, 24, v27
	v_bfe_u32 v3, v24, 8, 8
	v_xor_b32_e32 v1, s14, v1
	v_and_b32_e32 v0, v0, v4
	v_cmp_gt_i32_e64 s13, 0, v2
	v_ashrrev_i32_e32 v2, 31, v5
	v_not_b32_e32 v4, v6
	v_mul_u32_u24_e32 v3, 10, v3
	v_and_b32_e32 v0, v0, v1
	s_delay_alu instid0(VALU_DEP_4) | instskip(SKIP_3) | instid1(VALU_DEP_4)
	v_xor_b32_e32 v1, s13, v2
	v_cmp_gt_i32_e64 s13, 0, v6
	v_ashrrev_i32_e32 v2, 31, v4
	v_add_lshl_u32 v3, v3, v22, 2
	v_and_b32_e32 v0, v0, v1
	s_delay_alu instid0(VALU_DEP_3) | instskip(SKIP_3) | instid1(VALU_DEP_1)
	v_xor_b32_e32 v1, s13, v2
	ds_load_b32 v28, v3 offset:40
	v_add_nc_u32_e32 v30, 40, v3
	; wave barrier
	v_and_b32_e32 v0, v0, v1
	v_mbcnt_lo_u32_b32 v29, v0, 0
	v_cmp_ne_u32_e64 s14, 0, v0
	s_delay_alu instid0(VALU_DEP_2) | instskip(NEXT) | instid1(VALU_DEP_1)
	v_cmp_eq_u32_e64 s13, 0, v29
	s_and_b32 s14, s14, s13
	s_delay_alu instid0(SALU_CYCLE_1)
	s_and_saveexec_b32 s13, s14
	s_cbranch_execz .LBB84_6
; %bb.5:                                ;   in Loop: Header=BB84_2 Depth=1
	s_waitcnt lgkmcnt(0)
	v_bcnt_u32_b32 v0, v0, v28
	ds_store_b32 v30, v0
.LBB84_6:                               ;   in Loop: Header=BB84_2 Depth=1
	s_or_b32 exec_lo, exec_lo, s13
	v_bfe_u32 v0, v24, 16, 1
	v_lshrrev_b32_e32 v31, 16, v24
	; wave barrier
	s_delay_alu instid0(VALU_DEP_2) | instskip(NEXT) | instid1(VALU_DEP_1)
	v_add_co_u32 v0, s13, v0, -1
	v_cndmask_b32_e64 v1, 0, 1, s13
	s_delay_alu instid0(VALU_DEP_3)
	v_lshlrev_b32_e32 v2, 30, v31
	v_lshlrev_b32_e32 v3, 29, v31
	;; [unrolled: 1-line block ×4, first 2 shown]
	v_cmp_ne_u32_e64 s13, 0, v1
	v_not_b32_e32 v1, v2
	v_cmp_gt_i32_e64 s14, 0, v2
	v_not_b32_e32 v2, v3
	v_lshlrev_b32_e32 v6, 26, v31
	v_xor_b32_e32 v0, s13, v0
	v_ashrrev_i32_e32 v1, 31, v1
	v_cmp_gt_i32_e64 s13, 0, v3
	v_not_b32_e32 v3, v4
	v_ashrrev_i32_e32 v2, 31, v2
	v_and_b32_e32 v0, exec_lo, v0
	v_xor_b32_e32 v1, s14, v1
	v_cmp_gt_i32_e64 s14, 0, v4
	v_not_b32_e32 v4, v5
	v_ashrrev_i32_e32 v3, 31, v3
	v_xor_b32_e32 v2, s13, v2
	v_and_b32_e32 v0, v0, v1
	v_cmp_gt_i32_e64 s13, 0, v5
	v_not_b32_e32 v1, v6
	v_ashrrev_i32_e32 v4, 31, v4
	v_xor_b32_e32 v3, s14, v3
	v_and_b32_e32 v0, v0, v2
	v_lshlrev_b32_e32 v2, 25, v31
	v_cmp_gt_i32_e64 s14, 0, v6
	v_ashrrev_i32_e32 v1, 31, v1
	v_xor_b32_e32 v4, s13, v4
	v_and_b32_e32 v0, v0, v3
	v_not_b32_e32 v5, v2
	v_lshlrev_b32_e32 v6, 24, v31
	v_bfe_u32 v3, v24, 16, 8
	v_xor_b32_e32 v1, s14, v1
	v_and_b32_e32 v0, v0, v4
	v_cmp_gt_i32_e64 s13, 0, v2
	v_ashrrev_i32_e32 v2, 31, v5
	v_not_b32_e32 v4, v6
	v_mul_u32_u24_e32 v3, 10, v3
	v_and_b32_e32 v0, v0, v1
	s_delay_alu instid0(VALU_DEP_4) | instskip(SKIP_3) | instid1(VALU_DEP_4)
	v_xor_b32_e32 v1, s13, v2
	v_cmp_gt_i32_e64 s13, 0, v6
	v_ashrrev_i32_e32 v2, 31, v4
	v_add_lshl_u32 v3, v3, v22, 2
	v_and_b32_e32 v0, v0, v1
	s_delay_alu instid0(VALU_DEP_3) | instskip(SKIP_3) | instid1(VALU_DEP_1)
	v_xor_b32_e32 v1, s13, v2
	ds_load_b32 v32, v3 offset:40
	v_add_nc_u32_e32 v34, 40, v3
	; wave barrier
	v_and_b32_e32 v0, v0, v1
	v_mbcnt_lo_u32_b32 v33, v0, 0
	v_cmp_ne_u32_e64 s14, 0, v0
	s_delay_alu instid0(VALU_DEP_2) | instskip(NEXT) | instid1(VALU_DEP_1)
	v_cmp_eq_u32_e64 s13, 0, v33
	s_and_b32 s14, s14, s13
	s_delay_alu instid0(SALU_CYCLE_1)
	s_and_saveexec_b32 s13, s14
	s_cbranch_execz .LBB84_8
; %bb.7:                                ;   in Loop: Header=BB84_2 Depth=1
	s_waitcnt lgkmcnt(0)
	v_bcnt_u32_b32 v0, v0, v32
	ds_store_b32 v34, v0
.LBB84_8:                               ;   in Loop: Header=BB84_2 Depth=1
	s_or_b32 exec_lo, exec_lo, s13
	v_bfe_u32 v0, v24, 24, 1
	v_lshrrev_b32_e32 v35, 24, v24
	; wave barrier
	s_delay_alu instid0(VALU_DEP_2) | instskip(NEXT) | instid1(VALU_DEP_1)
	v_add_co_u32 v0, s13, v0, -1
	v_cndmask_b32_e64 v1, 0, 1, s13
	s_delay_alu instid0(VALU_DEP_3)
	v_lshlrev_b32_e32 v2, 30, v35
	v_lshlrev_b32_e32 v3, 29, v35
	;; [unrolled: 1-line block ×4, first 2 shown]
	v_cmp_ne_u32_e64 s13, 0, v1
	v_not_b32_e32 v1, v2
	v_cmp_gt_i32_e64 s14, 0, v2
	v_not_b32_e32 v2, v3
	v_lshlrev_b32_e32 v6, 26, v35
	v_xor_b32_e32 v0, s13, v0
	v_ashrrev_i32_e32 v1, 31, v1
	v_cmp_gt_i32_e64 s13, 0, v3
	v_not_b32_e32 v3, v4
	v_ashrrev_i32_e32 v2, 31, v2
	v_and_b32_e32 v0, exec_lo, v0
	v_xor_b32_e32 v1, s14, v1
	v_cmp_gt_i32_e64 s14, 0, v4
	v_not_b32_e32 v4, v5
	v_ashrrev_i32_e32 v3, 31, v3
	v_xor_b32_e32 v2, s13, v2
	v_and_b32_e32 v0, v0, v1
	v_lshlrev_b32_e32 v1, 25, v35
	v_cmp_gt_i32_e64 s13, 0, v5
	v_ashrrev_i32_e32 v4, 31, v4
	v_xor_b32_e32 v3, s14, v3
	v_and_b32_e32 v0, v0, v2
	v_not_b32_e32 v5, v6
	v_not_b32_e32 v7, v1
	v_xor_b32_e32 v4, s13, v4
	v_cmp_gt_i32_e64 s13, 0, v6
	v_and_b32_e32 v0, v0, v3
	v_ashrrev_i32_e32 v3, 31, v5
	v_and_b32_e32 v2, 0xff000000, v24
	v_cmp_gt_i32_e64 s14, 0, v1
	v_ashrrev_i32_e32 v1, 31, v7
	v_and_b32_e32 v0, v0, v4
	v_not_b32_e32 v4, v24
	v_xor_b32_e32 v3, s13, v3
	v_mul_u32_u24_e32 v5, 10, v35
	v_xor_b32_e32 v1, s14, v1
	v_cmp_gt_i32_e64 s13, 0, v2
	v_ashrrev_i32_e32 v2, 31, v4
	v_and_b32_e32 v0, v0, v3
	v_add_lshl_u32 v3, v5, v22, 2
	s_delay_alu instid0(VALU_DEP_3) | instskip(NEXT) | instid1(VALU_DEP_3)
	v_xor_b32_e32 v2, s13, v2
	v_and_b32_e32 v0, v0, v1
	ds_load_b32 v36, v3 offset:40
	v_add_nc_u32_e32 v38, 40, v3
	; wave barrier
	v_and_b32_e32 v0, v0, v2
	s_delay_alu instid0(VALU_DEP_1) | instskip(SKIP_1) | instid1(VALU_DEP_2)
	v_mbcnt_lo_u32_b32 v37, v0, 0
	v_cmp_ne_u32_e64 s14, 0, v0
	v_cmp_eq_u32_e64 s13, 0, v37
	s_delay_alu instid0(VALU_DEP_1) | instskip(NEXT) | instid1(SALU_CYCLE_1)
	s_and_b32 s14, s14, s13
	s_and_saveexec_b32 s13, s14
	s_cbranch_execz .LBB84_10
; %bb.9:                                ;   in Loop: Header=BB84_2 Depth=1
	s_waitcnt lgkmcnt(0)
	v_bcnt_u32_b32 v0, v0, v36
	ds_store_b32 v38, v0
.LBB84_10:                              ;   in Loop: Header=BB84_2 Depth=1
	s_or_b32 exec_lo, exec_lo, s13
	; wave barrier
	s_waitcnt lgkmcnt(0)
	s_barrier
	buffer_gl0_inv
	ds_load_2addr_b64 v[4:7], v17 offset0:5 offset1:6
	ds_load_2addr_b64 v[0:3], v18 offset0:2 offset1:3
	s_waitcnt lgkmcnt(1)
	v_add_nc_u32_e32 v39, v5, v4
	s_delay_alu instid0(VALU_DEP_1) | instskip(SKIP_1) | instid1(VALU_DEP_1)
	v_add3_u32 v39, v39, v6, v7
	s_waitcnt lgkmcnt(0)
	v_add3_u32 v39, v39, v0, v1
	s_delay_alu instid0(VALU_DEP_1) | instskip(NEXT) | instid1(VALU_DEP_1)
	v_add3_u32 v3, v39, v2, v3
	v_mov_b32_dpp v39, v3 row_shr:1 row_mask:0xf bank_mask:0xf
	s_delay_alu instid0(VALU_DEP_1) | instskip(NEXT) | instid1(VALU_DEP_1)
	v_cndmask_b32_e64 v39, v39, 0, s4
	v_add_nc_u32_e32 v3, v39, v3
	s_delay_alu instid0(VALU_DEP_1) | instskip(NEXT) | instid1(VALU_DEP_1)
	v_mov_b32_dpp v39, v3 row_shr:2 row_mask:0xf bank_mask:0xf
	v_cndmask_b32_e64 v39, 0, v39, s5
	s_delay_alu instid0(VALU_DEP_1) | instskip(NEXT) | instid1(VALU_DEP_1)
	v_add_nc_u32_e32 v3, v3, v39
	v_mov_b32_dpp v39, v3 row_shr:4 row_mask:0xf bank_mask:0xf
	s_delay_alu instid0(VALU_DEP_1) | instskip(NEXT) | instid1(VALU_DEP_1)
	v_cndmask_b32_e64 v39, 0, v39, s6
	v_add_nc_u32_e32 v3, v3, v39
	s_delay_alu instid0(VALU_DEP_1) | instskip(NEXT) | instid1(VALU_DEP_1)
	v_mov_b32_dpp v39, v3 row_shr:8 row_mask:0xf bank_mask:0xf
	v_cndmask_b32_e64 v39, 0, v39, s7
	s_delay_alu instid0(VALU_DEP_1) | instskip(SKIP_3) | instid1(VALU_DEP_1)
	v_add_nc_u32_e32 v3, v3, v39
	ds_swizzle_b32 v39, v3 offset:swizzle(BROADCAST,32,15)
	s_waitcnt lgkmcnt(0)
	v_cndmask_b32_e64 v39, v39, 0, s8
	v_add_nc_u32_e32 v3, v3, v39
	s_and_saveexec_b32 s13, s12
	s_cbranch_execz .LBB84_12
; %bb.11:                               ;   in Loop: Header=BB84_2 Depth=1
	ds_store_b32 v19, v3
.LBB84_12:                              ;   in Loop: Header=BB84_2 Depth=1
	s_or_b32 exec_lo, exec_lo, s13
	s_waitcnt lgkmcnt(0)
	s_barrier
	buffer_gl0_inv
	s_and_saveexec_b32 s13, s9
	s_cbranch_execz .LBB84_14
; %bb.13:                               ;   in Loop: Header=BB84_2 Depth=1
	ds_load_b32 v39, v23
	s_waitcnt lgkmcnt(0)
	v_mov_b32_dpp v40, v39 row_shr:1 row_mask:0xf bank_mask:0xf
	s_delay_alu instid0(VALU_DEP_1) | instskip(NEXT) | instid1(VALU_DEP_1)
	v_cndmask_b32_e64 v40, v40, 0, s4
	v_add_nc_u32_e32 v39, v40, v39
	s_delay_alu instid0(VALU_DEP_1) | instskip(NEXT) | instid1(VALU_DEP_1)
	v_mov_b32_dpp v40, v39 row_shr:2 row_mask:0xf bank_mask:0xf
	v_cndmask_b32_e64 v40, 0, v40, s5
	s_delay_alu instid0(VALU_DEP_1) | instskip(NEXT) | instid1(VALU_DEP_1)
	v_add_nc_u32_e32 v39, v39, v40
	v_mov_b32_dpp v40, v39 row_shr:4 row_mask:0xf bank_mask:0xf
	s_delay_alu instid0(VALU_DEP_1) | instskip(NEXT) | instid1(VALU_DEP_1)
	v_cndmask_b32_e64 v40, 0, v40, s6
	v_add_nc_u32_e32 v39, v39, v40
	s_delay_alu instid0(VALU_DEP_1) | instskip(NEXT) | instid1(VALU_DEP_1)
	v_mov_b32_dpp v40, v39 row_shr:8 row_mask:0xf bank_mask:0xf
	v_cndmask_b32_e64 v40, 0, v40, s7
	s_delay_alu instid0(VALU_DEP_1)
	v_add_nc_u32_e32 v39, v39, v40
	ds_store_b32 v23, v39
.LBB84_14:                              ;   in Loop: Header=BB84_2 Depth=1
	s_or_b32 exec_lo, exec_lo, s13
	v_mov_b32_e32 v39, 0
	s_waitcnt lgkmcnt(0)
	s_barrier
	buffer_gl0_inv
	s_and_saveexec_b32 s13, s10
	s_cbranch_execz .LBB84_1
; %bb.15:                               ;   in Loop: Header=BB84_2 Depth=1
	ds_load_b32 v39, v21
	s_branch .LBB84_1
.LBB84_16:
	s_add_u32 s0, s18, s15
	s_addc_u32 s1, s19, 0
	v_add_co_u32 v5, s0, s0, v8
	s_delay_alu instid0(VALU_DEP_1)
	v_add_co_ci_u32_e64 v6, null, s1, 0, s0
	s_clause 0x3
	global_store_b8 v[5:6], v1, off
	global_store_b8 v[5:6], v2, off offset:320
	global_store_b8 v[5:6], v4, off offset:640
	;; [unrolled: 1-line block ×3, first 2 shown]
	s_nop 0
	s_sendmsg sendmsg(MSG_DEALLOC_VGPRS)
	s_endpgm
	.section	.rodata,"a",@progbits
	.p2align	6, 0x0
	.amdhsa_kernel _Z16sort_keys_kernelI22helper_blocked_blockedaLj320ELj4ELj10EEvPKT0_PS1_
		.amdhsa_group_segment_fixed_size 10288
		.amdhsa_private_segment_fixed_size 0
		.amdhsa_kernarg_size 272
		.amdhsa_user_sgpr_count 15
		.amdhsa_user_sgpr_dispatch_ptr 0
		.amdhsa_user_sgpr_queue_ptr 0
		.amdhsa_user_sgpr_kernarg_segment_ptr 1
		.amdhsa_user_sgpr_dispatch_id 0
		.amdhsa_user_sgpr_private_segment_size 0
		.amdhsa_wavefront_size32 1
		.amdhsa_uses_dynamic_stack 0
		.amdhsa_enable_private_segment 0
		.amdhsa_system_sgpr_workgroup_id_x 1
		.amdhsa_system_sgpr_workgroup_id_y 0
		.amdhsa_system_sgpr_workgroup_id_z 0
		.amdhsa_system_sgpr_workgroup_info 0
		.amdhsa_system_vgpr_workitem_id 2
		.amdhsa_next_free_vgpr 41
		.amdhsa_next_free_sgpr 20
		.amdhsa_reserve_vcc 1
		.amdhsa_float_round_mode_32 0
		.amdhsa_float_round_mode_16_64 0
		.amdhsa_float_denorm_mode_32 3
		.amdhsa_float_denorm_mode_16_64 3
		.amdhsa_dx10_clamp 1
		.amdhsa_ieee_mode 1
		.amdhsa_fp16_overflow 0
		.amdhsa_workgroup_processor_mode 1
		.amdhsa_memory_ordered 1
		.amdhsa_forward_progress 0
		.amdhsa_shared_vgpr_count 0
		.amdhsa_exception_fp_ieee_invalid_op 0
		.amdhsa_exception_fp_denorm_src 0
		.amdhsa_exception_fp_ieee_div_zero 0
		.amdhsa_exception_fp_ieee_overflow 0
		.amdhsa_exception_fp_ieee_underflow 0
		.amdhsa_exception_fp_ieee_inexact 0
		.amdhsa_exception_int_div_zero 0
	.end_amdhsa_kernel
	.section	.text._Z16sort_keys_kernelI22helper_blocked_blockedaLj320ELj4ELj10EEvPKT0_PS1_,"axG",@progbits,_Z16sort_keys_kernelI22helper_blocked_blockedaLj320ELj4ELj10EEvPKT0_PS1_,comdat
.Lfunc_end84:
	.size	_Z16sort_keys_kernelI22helper_blocked_blockedaLj320ELj4ELj10EEvPKT0_PS1_, .Lfunc_end84-_Z16sort_keys_kernelI22helper_blocked_blockedaLj320ELj4ELj10EEvPKT0_PS1_
                                        ; -- End function
	.section	.AMDGPU.csdata,"",@progbits
; Kernel info:
; codeLenInByte = 3816
; NumSgprs: 22
; NumVgprs: 41
; ScratchSize: 0
; MemoryBound: 0
; FloatMode: 240
; IeeeMode: 1
; LDSByteSize: 10288 bytes/workgroup (compile time only)
; SGPRBlocks: 2
; VGPRBlocks: 5
; NumSGPRsForWavesPerEU: 22
; NumVGPRsForWavesPerEU: 41
; Occupancy: 15
; WaveLimiterHint : 1
; COMPUTE_PGM_RSRC2:SCRATCH_EN: 0
; COMPUTE_PGM_RSRC2:USER_SGPR: 15
; COMPUTE_PGM_RSRC2:TRAP_HANDLER: 0
; COMPUTE_PGM_RSRC2:TGID_X_EN: 1
; COMPUTE_PGM_RSRC2:TGID_Y_EN: 0
; COMPUTE_PGM_RSRC2:TGID_Z_EN: 0
; COMPUTE_PGM_RSRC2:TIDIG_COMP_CNT: 2
	.section	.text._Z17sort_pairs_kernelI22helper_blocked_blockedaLj320ELj4ELj10EEvPKT0_PS1_,"axG",@progbits,_Z17sort_pairs_kernelI22helper_blocked_blockedaLj320ELj4ELj10EEvPKT0_PS1_,comdat
	.protected	_Z17sort_pairs_kernelI22helper_blocked_blockedaLj320ELj4ELj10EEvPKT0_PS1_ ; -- Begin function _Z17sort_pairs_kernelI22helper_blocked_blockedaLj320ELj4ELj10EEvPKT0_PS1_
	.globl	_Z17sort_pairs_kernelI22helper_blocked_blockedaLj320ELj4ELj10EEvPKT0_PS1_
	.p2align	8
	.type	_Z17sort_pairs_kernelI22helper_blocked_blockedaLj320ELj4ELj10EEvPKT0_PS1_,@function
_Z17sort_pairs_kernelI22helper_blocked_blockedaLj320ELj4ELj10EEvPKT0_PS1_: ; @_Z17sort_pairs_kernelI22helper_blocked_blockedaLj320ELj4ELj10EEvPKT0_PS1_
; %bb.0:
	s_clause 0x1
	s_load_b128 s[16:19], s[0:1], 0x0
	s_load_b32 s12, s[0:1], 0x1c
	s_mulk_i32 s15, 0x500
	v_and_b32_e32 v8, 0x3ff, v0
	v_mbcnt_lo_u32_b32 v5, -1, 0
	v_bfe_u32 v7, v0, 10, 10
	v_bfe_u32 v0, v0, 20, 10
	s_delay_alu instid0(VALU_DEP_3)
	v_add_nc_u32_e32 v20, -1, v5
	v_and_b32_e32 v6, 3, v5
	v_and_b32_e32 v18, 15, v5
	;; [unrolled: 1-line block ×3, first 2 shown]
	v_cmp_eq_u32_e32 vcc_lo, 0, v5
	v_cmp_gt_i32_e64 s11, 0, v20
	v_and_b32_e32 v13, 28, v5
	v_cmp_eq_u32_e64 s4, 0, v18
	v_cmp_eq_u32_e64 s8, 0, v19
	v_cmp_lt_u32_e64 s5, 1, v18
	v_cndmask_b32_e64 v5, v20, v5, s11
	s_waitcnt lgkmcnt(0)
	s_add_u32 s0, s16, s15
	s_addc_u32 s1, s17, 0
	s_clause 0x3
	global_load_u8 v2, v8, s[0:1]
	global_load_u8 v3, v8, s[0:1] offset:640
	global_load_u8 v1, v8, s[0:1] offset:320
	;; [unrolled: 1-line block ×3, first 2 shown]
	s_mov_b32 s0, 0
	s_lshr_b32 s13, s12, 16
	s_mov_b32 s3, s0
	s_mov_b32 s2, s0
	v_mov_b32_e32 v12, s3
	s_mov_b32 s1, s0
	v_mad_u32_u24 v7, v0, s13, v7
	v_dual_mov_b32 v10, s1 :: v_dual_mov_b32 v11, s2
	v_lshlrev_b32_e32 v19, 2, v5
	v_mov_b32_e32 v9, s0
	v_cmp_eq_u32_e64 s0, 3, v6
	v_cmp_eq_u32_e64 s1, 2, v6
	;; [unrolled: 1-line block ×4, first 2 shown]
	v_and_b32_e32 v6, 0x1e0, v8
	s_and_b32 s12, s12, 0xffff
	v_lshrrev_b32_e32 v20, 3, v8
	v_lshlrev_b32_e32 v17, 5, v8
	v_mul_i32_i24_e32 v23, 0xffffffe4, v8
	v_min_u32_e32 v6, 0x120, v6
	v_or_b32_e32 v14, 32, v13
	v_and_b32_e32 v20, 60, v20
	v_or_b32_e32 v15, 64, v13
	v_or_b32_e32 v16, 0x60, v13
	v_cmp_lt_u32_e64 s6, 3, v18
	v_cmp_lt_u32_e64 s7, 7, v18
	v_cmp_gt_u32_e64 s9, 10, v8
	v_cmp_lt_u32_e64 s10, 31, v8
	v_cmp_eq_u32_e64 s11, 0, v8
	v_add_nc_u32_e32 v18, 40, v17
	v_add_nc_u32_e32 v23, v17, v23
	s_mov_b32 s16, 10
	s_waitcnt vmcnt(3)
	v_add_nc_u16 v5, v2, 1
	s_waitcnt vmcnt(2)
	v_add_nc_u16 v21, v3, 1
	s_waitcnt vmcnt(1)
	v_lshlrev_b16 v22, 8, v1
	s_waitcnt vmcnt(0)
	v_lshlrev_b16 v4, 8, v4
	v_and_b32_e32 v1, 0xff, v5
	v_and_b32_e32 v5, 0xff, v21
	s_delay_alu instid0(VALU_DEP_2) | instskip(NEXT) | instid1(VALU_DEP_2)
	v_or_b32_e32 v21, v22, v1
	v_or_b32_e32 v5, v4, v5
	v_mad_u64_u32 v[0:1], null, v7, s12, v[8:9]
	v_or_b32_e32 v1, v2, v22
	v_or_b32_e32 v2, v3, v4
	v_add_nc_u16 v3, v21, 0x100
	v_add_nc_u16 v4, v5, 0x100
	v_or_b32_e32 v5, 31, v6
	v_and_b32_e32 v1, 0xffff, v1
	v_lshlrev_b32_e32 v2, 16, v2
	v_and_b32_e32 v3, 0xffff, v3
	v_lshlrev_b32_e32 v6, 16, v4
	v_add_nc_u32_e32 v21, -4, v20
	v_cmp_eq_u32_e64 s12, v5, v8
	v_lshrrev_b32_e32 v22, 5, v0
	v_or_b32_e32 v4, v1, v2
	v_or_b32_e32 v0, v3, v6
	s_branch .LBB85_2
.LBB85_1:                               ;   in Loop: Header=BB85_2 Depth=1
	s_or_b32 exec_lo, exec_lo, s13
	v_perm_b32 v36, v36, v30, 0x3020104
	s_waitcnt lgkmcnt(0)
	v_add_nc_u32_e32 v3, v55, v3
	s_add_i32 s16, s16, -1
	s_delay_alu instid0(SALU_CYCLE_1) | instskip(SKIP_4) | instid1(VALU_DEP_1)
	s_cmp_eq_u32 s16, 0
	v_cndmask_b32_e64 v30, v30, v36, s2
	ds_bpermute_b32 v3, v19, v3
	v_and_b32_e32 v26, 0xff, v26
	v_perm_b32 v35, v35, v30, 0x3020104
	v_cndmask_b32_e64 v30, v30, v35, s1
	s_delay_alu instid0(VALU_DEP_1) | instskip(NEXT) | instid1(VALU_DEP_1)
	v_perm_b32 v34, v34, v30, 0x3020104
	v_cndmask_b32_e64 v30, v30, v34, s0
	s_waitcnt lgkmcnt(0)
	v_cndmask_b32_e32 v3, v3, v55, vcc_lo
	s_delay_alu instid0(VALU_DEP_2) | instskip(NEXT) | instid1(VALU_DEP_2)
	v_perm_b32 v31, v30, v31, 0x7060004
	v_cndmask_b32_e64 v3, v3, 0, s11
	s_delay_alu instid0(VALU_DEP_2) | instskip(NEXT) | instid1(VALU_DEP_2)
	v_cndmask_b32_e64 v30, v30, v31, s3
	v_add_nc_u32_e32 v4, v3, v4
	s_delay_alu instid0(VALU_DEP_2) | instskip(NEXT) | instid1(VALU_DEP_2)
	v_perm_b32 v31, v30, v32, 0x7060004
	v_add_nc_u32_e32 v5, v4, v5
	s_delay_alu instid0(VALU_DEP_2) | instskip(NEXT) | instid1(VALU_DEP_2)
	v_cndmask_b32_e64 v30, v30, v31, s2
	v_add_nc_u32_e32 v6, v5, v6
	s_delay_alu instid0(VALU_DEP_2) | instskip(NEXT) | instid1(VALU_DEP_1)
	v_perm_b32 v29, v30, v29, 0x7060004
	v_cndmask_b32_e64 v29, v30, v29, s1
	s_delay_alu instid0(VALU_DEP_1) | instskip(NEXT) | instid1(VALU_DEP_1)
	v_perm_b32 v28, v29, v28, 0x7060004
	v_cndmask_b32_e64 v28, v29, v28, s0
	s_delay_alu instid0(VALU_DEP_1) | instskip(NEXT) | instid1(VALU_DEP_1)
	v_lshrrev_b32_e32 v29, 16, v28
	v_and_b32_e32 v29, 0xffffff00, v29
	s_delay_alu instid0(VALU_DEP_1) | instskip(SKIP_1) | instid1(VALU_DEP_2)
	v_or_b32_e32 v26, v26, v29
	v_and_b32_e32 v29, 0xff, v43
	v_lshlrev_b32_e32 v26, 16, v26
	s_delay_alu instid0(VALU_DEP_1) | instskip(NEXT) | instid1(VALU_DEP_1)
	v_and_or_b32 v26, 0xffff, v28, v26
	v_cndmask_b32_e64 v26, v28, v26, s3
	s_delay_alu instid0(VALU_DEP_1) | instskip(NEXT) | instid1(VALU_DEP_1)
	v_lshrrev_b32_e32 v28, 16, v26
	v_and_b32_e32 v28, 0xffffff00, v28
	s_delay_alu instid0(VALU_DEP_1) | instskip(SKIP_1) | instid1(VALU_DEP_2)
	v_or_b32_e32 v28, v29, v28
	v_and_b32_e32 v29, 0xff, v42
	v_lshlrev_b32_e32 v28, 16, v28
	s_delay_alu instid0(VALU_DEP_1) | instskip(NEXT) | instid1(VALU_DEP_1)
	v_and_or_b32 v28, 0xffff, v26, v28
	;; [unrolled: 10-line block ×3, first 2 shown]
	v_cndmask_b32_e64 v26, v26, v28, s1
	s_delay_alu instid0(VALU_DEP_1) | instskip(NEXT) | instid1(VALU_DEP_1)
	v_lshrrev_b32_e32 v28, 16, v26
	v_and_b32_e32 v28, 0xffffff00, v28
	s_delay_alu instid0(VALU_DEP_1) | instskip(SKIP_1) | instid1(VALU_DEP_2)
	v_or_b32_e32 v28, v29, v28
	v_lshlrev_b16 v29, 8, v40
	v_lshlrev_b32_e32 v28, 16, v28
	s_delay_alu instid0(VALU_DEP_1) | instskip(NEXT) | instid1(VALU_DEP_1)
	v_and_or_b32 v28, 0xffff, v26, v28
	v_cndmask_b32_e64 v26, v26, v28, s0
	s_delay_alu instid0(VALU_DEP_1) | instskip(NEXT) | instid1(VALU_DEP_1)
	v_lshrrev_b32_e32 v28, 16, v26
	v_and_b32_e32 v28, 0xff, v28
	s_delay_alu instid0(VALU_DEP_1) | instskip(NEXT) | instid1(VALU_DEP_1)
	v_or_b32_e32 v28, v28, v29
	v_lshlrev_b32_e32 v28, 16, v28
	s_delay_alu instid0(VALU_DEP_1) | instskip(NEXT) | instid1(VALU_DEP_1)
	v_and_or_b32 v28, 0xffff, v26, v28
	v_cndmask_b32_e64 v26, v26, v28, s3
	v_add_nc_u32_e32 v28, v6, v7
	v_lshlrev_b16 v7, 8, v38
	s_delay_alu instid0(VALU_DEP_3) | instskip(NEXT) | instid1(VALU_DEP_1)
	v_lshrrev_b32_e32 v29, 16, v26
	v_and_b32_e32 v30, 0xff, v29
	s_delay_alu instid0(VALU_DEP_4) | instskip(NEXT) | instid1(VALU_DEP_2)
	v_add_nc_u32_e32 v29, v28, v0
	v_or_b32_e32 v7, v30, v7
	s_delay_alu instid0(VALU_DEP_2) | instskip(NEXT) | instid1(VALU_DEP_2)
	v_add_nc_u32_e32 v0, v29, v1
	v_lshlrev_b32_e32 v7, 16, v7
	s_delay_alu instid0(VALU_DEP_2)
	v_add_nc_u32_e32 v1, v0, v2
	ds_store_2addr_b64 v17, v[3:4], v[5:6] offset0:5 offset1:6
	ds_store_2addr_b64 v18, v[28:29], v[0:1] offset0:2 offset1:3
	v_and_or_b32 v2, 0xffff, v26, v7
	s_waitcnt lgkmcnt(0)
	s_barrier
	buffer_gl0_inv
	v_lshlrev_b16 v6, 8, v27
	v_cndmask_b32_e64 v0, v26, v2, s2
	ds_load_b32 v1, v37
	ds_load_b32 v2, v46
	;; [unrolled: 1-line block ×4, first 2 shown]
	s_waitcnt lgkmcnt(0)
	s_barrier
	buffer_gl0_inv
	v_lshrrev_b32_e32 v5, 16, v0
	s_delay_alu instid0(VALU_DEP_1) | instskip(NEXT) | instid1(VALU_DEP_1)
	v_and_b32_e32 v5, 0xff, v5
	v_or_b32_e32 v5, v5, v6
	v_add_nc_u32_e32 v6, v1, v33
	v_add3_u32 v7, v45, v44, v2
	s_delay_alu instid0(VALU_DEP_3)
	v_lshlrev_b32_e32 v5, 16, v5
	v_add3_u32 v26, v49, v48, v3
	v_add3_u32 v4, v53, v52, v4
	ds_store_b8 v6, v24
	ds_store_b8 v7, v39
	;; [unrolled: 1-line block ×4, first 2 shown]
	v_and_or_b32 v1, 0xffff, v0, v5
	s_waitcnt lgkmcnt(0)
	s_barrier
	buffer_gl0_inv
	v_lshlrev_b16 v3, 8, v25
	v_cndmask_b32_e64 v0, v0, v1, s1
	ds_load_b32 v1, v23
	s_waitcnt lgkmcnt(0)
	s_barrier
	buffer_gl0_inv
	v_lshrrev_b32_e32 v2, 16, v0
	s_delay_alu instid0(VALU_DEP_1) | instskip(NEXT) | instid1(VALU_DEP_1)
	v_and_b32_e32 v2, 0xff, v2
	v_or_b32_e32 v2, v2, v3
	s_delay_alu instid0(VALU_DEP_1)
	v_lshlrev_b32_e32 v2, 16, v2
	v_lshrrev_b32_e32 v3, 8, v1
	v_lshrrev_b32_e32 v24, 24, v1
	;; [unrolled: 1-line block ×3, first 2 shown]
	v_xor_b32_e32 v5, 0xffffff80, v1
	v_and_or_b32 v2, 0xffff, v0, v2
	v_xor_b32_e32 v1, 0xffffff80, v3
	s_delay_alu instid0(VALU_DEP_4) | instskip(NEXT) | instid1(VALU_DEP_3)
	v_xor_b32_e32 v3, 0xffffff80, v25
	v_cndmask_b32_e64 v0, v0, v2, s0
	v_xor_b32_e32 v2, 0xffffff80, v24
	v_and_b32_e32 v24, 0xff, v5
	v_lshlrev_b16 v25, 8, v1
	v_and_b32_e32 v30, 0xff, v3
	v_lshrrev_b32_e32 v27, 8, v0
	v_lshrrev_b32_e32 v29, 24, v0
	v_lshlrev_b16 v28, 8, v2
	ds_store_b8 v6, v0
	ds_store_b8 v7, v27
	ds_store_b8_d16_hi v26, v0
	ds_store_b8 v4, v29
	s_waitcnt lgkmcnt(0)
	s_barrier
	buffer_gl0_inv
	ds_load_b32 v0, v23
	v_or_b32_e32 v4, v24, v25
	v_or_b32_e32 v6, v30, v28
	s_delay_alu instid0(VALU_DEP_2) | instskip(NEXT) | instid1(VALU_DEP_2)
	v_and_b32_e32 v4, 0xffff, v4
	v_lshlrev_b32_e32 v6, 16, v6
	s_delay_alu instid0(VALU_DEP_1)
	v_or_b32_e32 v4, v4, v6
	s_cbranch_scc1 .LBB85_16
.LBB85_2:                               ; =>This Inner Loop Header: Depth=1
	s_delay_alu instid0(VALU_DEP_1) | instskip(SKIP_3) | instid1(VALU_DEP_4)
	v_lshrrev_b32_e32 v1, 8, v4
	v_xor_b32_e32 v2, 0x80, v4
	v_lshrrev_b32_e32 v3, 16, v4
	v_lshrrev_b32_e32 v4, 24, v4
	v_xor_b32_e32 v1, 0x80, v1
	s_delay_alu instid0(VALU_DEP_4) | instskip(NEXT) | instid1(VALU_DEP_4)
	v_and_b32_e32 v2, 0xff, v2
	v_xor_b32_e32 v3, 0x80, v3
	s_delay_alu instid0(VALU_DEP_4)
	v_xor_b32_e32 v4, 0x80, v4
	s_waitcnt lgkmcnt(0)
	s_barrier
	v_and_b32_e32 v1, 0xff, v1
	ds_bpermute_b32 v5, v13, v2
	v_and_b32_e32 v3, 0xff, v3
	v_and_b32_e32 v4, 0xffff, v4
	s_waitcnt lgkmcnt(0)
	buffer_gl0_inv
	ds_bpermute_b32 v6, v13, v1
	ds_store_2addr_b64 v17, v[9:10], v[11:12] offset0:5 offset1:6
	ds_store_2addr_b64 v18, v[9:10], v[11:12] offset0:2 offset1:3
	ds_bpermute_b32 v7, v13, v3
	ds_bpermute_b32 v24, v13, v4
	s_waitcnt lgkmcnt(0)
	s_barrier
	buffer_gl0_inv
	; wave barrier
	v_perm_b32 v6, v6, v5, 0x3020104
	s_delay_alu instid0(VALU_DEP_1) | instskip(SKIP_2) | instid1(VALU_DEP_1)
	v_cndmask_b32_e64 v5, v5, v6, s2
	ds_bpermute_b32 v6, v14, v2
	v_perm_b32 v7, v7, v5, 0x3020104
	v_cndmask_b32_e64 v5, v5, v7, s1
	s_delay_alu instid0(VALU_DEP_1) | instskip(SKIP_4) | instid1(VALU_DEP_2)
	v_perm_b32 v7, v24, v5, 0x3020104
	ds_bpermute_b32 v24, v14, v1
	v_cndmask_b32_e64 v5, v5, v7, s0
	s_waitcnt lgkmcnt(1)
	v_lshlrev_b16 v6, 8, v6
	v_and_b32_e32 v7, 0xff, v5
	s_delay_alu instid0(VALU_DEP_1) | instskip(NEXT) | instid1(VALU_DEP_1)
	v_or_b32_e32 v6, v7, v6
	v_and_b32_e32 v6, 0xffff, v6
	s_delay_alu instid0(VALU_DEP_1) | instskip(NEXT) | instid1(VALU_DEP_1)
	v_and_or_b32 v6, 0xffff0000, v5, v6
	v_cndmask_b32_e64 v5, v5, v6, s3
	s_waitcnt lgkmcnt(0)
	v_lshlrev_b16 v6, 8, v24
	ds_bpermute_b32 v24, v14, v3
	v_and_b32_e32 v7, 0xff, v5
	s_delay_alu instid0(VALU_DEP_1) | instskip(NEXT) | instid1(VALU_DEP_1)
	v_or_b32_e32 v6, v7, v6
	v_and_b32_e32 v6, 0xffff, v6
	s_delay_alu instid0(VALU_DEP_1) | instskip(NEXT) | instid1(VALU_DEP_1)
	v_and_or_b32 v6, 0xffff0000, v5, v6
	v_cndmask_b32_e64 v5, v5, v6, s2
	s_waitcnt lgkmcnt(0)
	v_lshlrev_b16 v6, 8, v24
	ds_bpermute_b32 v24, v14, v4
	v_and_b32_e32 v7, 0xff, v5
	s_delay_alu instid0(VALU_DEP_1) | instskip(NEXT) | instid1(VALU_DEP_1)
	v_or_b32_e32 v6, v7, v6
	v_and_b32_e32 v6, 0xffff, v6
	s_delay_alu instid0(VALU_DEP_1) | instskip(NEXT) | instid1(VALU_DEP_1)
	v_and_or_b32 v6, 0xffff0000, v5, v6
	v_cndmask_b32_e64 v5, v5, v6, s1
	s_waitcnt lgkmcnt(0)
	v_lshlrev_b16 v6, 8, v24
	s_delay_alu instid0(VALU_DEP_2) | instskip(NEXT) | instid1(VALU_DEP_1)
	v_and_b32_e32 v7, 0xff, v5
	v_or_b32_e32 v6, v7, v6
	ds_bpermute_b32 v7, v15, v2
	ds_bpermute_b32 v2, v16, v2
	v_and_b32_e32 v6, 0xffff, v6
	s_delay_alu instid0(VALU_DEP_1) | instskip(NEXT) | instid1(VALU_DEP_1)
	v_and_or_b32 v6, 0xffff0000, v5, v6
	v_cndmask_b32_e64 v5, v5, v6, s0
	s_delay_alu instid0(VALU_DEP_1)
	v_lshrrev_b32_e32 v6, 16, v5
	s_waitcnt lgkmcnt(1)
	v_and_b32_e32 v7, 0xff, v7
	s_waitcnt lgkmcnt(0)
	v_lshlrev_b16 v2, 8, v2
	v_and_b32_e32 v6, 0xffffff00, v6
	s_delay_alu instid0(VALU_DEP_1) | instskip(SKIP_3) | instid1(VALU_DEP_1)
	v_or_b32_e32 v6, v7, v6
	ds_bpermute_b32 v7, v15, v1
	ds_bpermute_b32 v1, v16, v1
	v_lshlrev_b32_e32 v6, 16, v6
	v_and_or_b32 v6, 0xffff, v5, v6
	s_delay_alu instid0(VALU_DEP_1) | instskip(NEXT) | instid1(VALU_DEP_1)
	v_cndmask_b32_e64 v5, v5, v6, s3
	v_lshrrev_b32_e32 v6, 16, v5
	s_waitcnt lgkmcnt(1)
	v_and_b32_e32 v7, 0xff, v7
	s_waitcnt lgkmcnt(0)
	v_lshlrev_b16 v1, 8, v1
	v_and_b32_e32 v6, 0xffffff00, v6
	s_delay_alu instid0(VALU_DEP_1) | instskip(SKIP_3) | instid1(VALU_DEP_1)
	v_or_b32_e32 v6, v7, v6
	ds_bpermute_b32 v7, v15, v3
	ds_bpermute_b32 v3, v16, v3
	v_lshlrev_b32_e32 v6, 16, v6
	v_and_or_b32 v6, 0xffff, v5, v6
	s_delay_alu instid0(VALU_DEP_1) | instskip(NEXT) | instid1(VALU_DEP_1)
	v_cndmask_b32_e64 v5, v5, v6, s2
	v_lshrrev_b32_e32 v6, 16, v5
	s_waitcnt lgkmcnt(1)
	v_and_b32_e32 v7, 0xff, v7
	s_waitcnt lgkmcnt(0)
	v_lshlrev_b16 v3, 8, v3
	v_and_b32_e32 v6, 0xffffff00, v6
	s_delay_alu instid0(VALU_DEP_1) | instskip(SKIP_2) | instid1(VALU_DEP_1)
	v_or_b32_e32 v6, v7, v6
	ds_bpermute_b32 v7, v15, v4
	v_lshlrev_b32_e32 v6, 16, v6
	v_and_or_b32 v6, 0xffff, v5, v6
	s_delay_alu instid0(VALU_DEP_1) | instskip(NEXT) | instid1(VALU_DEP_1)
	v_cndmask_b32_e64 v5, v5, v6, s1
	v_lshrrev_b32_e32 v6, 16, v5
	s_waitcnt lgkmcnt(0)
	v_and_b32_e32 v7, 0xff, v7
	s_delay_alu instid0(VALU_DEP_2) | instskip(NEXT) | instid1(VALU_DEP_1)
	v_and_b32_e32 v6, 0xffffff00, v6
	v_or_b32_e32 v6, v7, v6
	s_delay_alu instid0(VALU_DEP_1) | instskip(NEXT) | instid1(VALU_DEP_1)
	v_lshlrev_b32_e32 v6, 16, v6
	v_and_or_b32 v6, 0xffff, v5, v6
	s_delay_alu instid0(VALU_DEP_1) | instskip(NEXT) | instid1(VALU_DEP_1)
	v_cndmask_b32_e64 v5, v5, v6, s0
	v_lshrrev_b32_e32 v6, 16, v5
	s_delay_alu instid0(VALU_DEP_1) | instskip(NEXT) | instid1(VALU_DEP_1)
	v_and_b32_e32 v6, 0xff, v6
	v_or_b32_e32 v2, v6, v2
	s_delay_alu instid0(VALU_DEP_1) | instskip(NEXT) | instid1(VALU_DEP_1)
	v_lshlrev_b32_e32 v2, 16, v2
	v_and_or_b32 v2, 0xffff, v5, v2
	s_delay_alu instid0(VALU_DEP_1) | instskip(NEXT) | instid1(VALU_DEP_1)
	v_cndmask_b32_e64 v2, v5, v2, s3
	v_lshrrev_b32_e32 v5, 16, v2
	s_delay_alu instid0(VALU_DEP_1) | instskip(NEXT) | instid1(VALU_DEP_1)
	v_and_b32_e32 v5, 0xff, v5
	v_or_b32_e32 v1, v5, v1
	v_bfe_u32 v5, v0, 16, 8
	s_delay_alu instid0(VALU_DEP_2) | instskip(SKIP_4) | instid1(VALU_DEP_1)
	v_lshlrev_b32_e32 v1, 16, v1
	ds_bpermute_b32 v35, v13, v5
	ds_bpermute_b32 v29, v14, v5
	ds_bpermute_b32 v42, v15, v5
	v_and_or_b32 v1, 0xffff, v2, v1
	v_cndmask_b32_e64 v1, v2, v1, s2
	s_delay_alu instid0(VALU_DEP_1) | instskip(NEXT) | instid1(VALU_DEP_1)
	v_lshrrev_b32_e32 v2, 16, v1
	v_and_b32_e32 v2, 0xff, v2
	s_delay_alu instid0(VALU_DEP_1)
	v_or_b32_e32 v2, v2, v3
	ds_bpermute_b32 v3, v16, v4
	v_bfe_u32 v4, v0, 8, 8
	v_lshlrev_b32_e32 v2, 16, v2
	ds_bpermute_b32 v36, v13, v4
	ds_bpermute_b32 v32, v14, v4
	;; [unrolled: 1-line block ×3, first 2 shown]
	v_and_or_b32 v2, 0xffff, v1, v2
	s_delay_alu instid0(VALU_DEP_1) | instskip(NEXT) | instid1(VALU_DEP_1)
	v_cndmask_b32_e64 v1, v1, v2, s1
	v_lshrrev_b32_e32 v2, 16, v1
	s_waitcnt lgkmcnt(3)
	v_lshlrev_b16 v3, 8, v3
	s_delay_alu instid0(VALU_DEP_2) | instskip(NEXT) | instid1(VALU_DEP_1)
	v_and_b32_e32 v2, 0xff, v2
	v_or_b32_e32 v2, v2, v3
	v_and_b32_e32 v3, 0xff, v0
	v_lshrrev_b32_e32 v0, 24, v0
	s_delay_alu instid0(VALU_DEP_3)
	v_lshlrev_b32_e32 v2, 16, v2
	ds_bpermute_b32 v30, v13, v3
	ds_bpermute_b32 v31, v14, v3
	;; [unrolled: 1-line block ×4, first 2 shown]
	v_and_or_b32 v2, 0xffff, v1, v2
	ds_bpermute_b32 v34, v13, v0
	ds_bpermute_b32 v28, v14, v0
	;; [unrolled: 1-line block ×3, first 2 shown]
	v_cndmask_b32_e64 v24, v1, v2, s0
	s_delay_alu instid0(VALU_DEP_1)
	v_and_b32_e32 v1, 1, v24
	v_lshlrev_b32_e32 v2, 30, v24
	v_lshlrev_b32_e32 v6, 29, v24
	;; [unrolled: 1-line block ×4, first 2 shown]
	v_add_co_u32 v1, s13, v1, -1
	s_delay_alu instid0(VALU_DEP_1)
	v_cndmask_b32_e64 v25, 0, 1, s13
	v_not_b32_e32 v38, v2
	v_cmp_gt_i32_e64 s14, 0, v2
	v_not_b32_e32 v2, v6
	v_lshlrev_b32_e32 v33, 26, v24
	v_cmp_ne_u32_e64 s13, 0, v25
	v_ashrrev_i32_e32 v38, 31, v38
	v_lshlrev_b32_e32 v37, 25, v24
	v_ashrrev_i32_e32 v2, 31, v2
	v_lshlrev_b32_e32 v25, 24, v24
	v_xor_b32_e32 v1, s13, v1
	v_cmp_gt_i32_e64 s13, 0, v6
	v_not_b32_e32 v6, v7
	v_xor_b32_e32 v38, s14, v38
	v_cmp_gt_i32_e64 s14, 0, v7
	v_and_b32_e32 v1, exec_lo, v1
	v_not_b32_e32 v7, v27
	v_ashrrev_i32_e32 v6, 31, v6
	v_xor_b32_e32 v2, s13, v2
	v_cmp_gt_i32_e64 s13, 0, v27
	v_and_b32_e32 v1, v1, v38
	v_not_b32_e32 v27, v33
	v_ashrrev_i32_e32 v7, 31, v7
	v_xor_b32_e32 v6, s14, v6
	v_cmp_gt_i32_e64 s14, 0, v33
	v_and_b32_e32 v1, v1, v2
	;; [unrolled: 5-line block ×4, first 2 shown]
	v_ashrrev_i32_e32 v6, 31, v6
	v_xor_b32_e32 v2, s13, v2
	ds_bpermute_b32 v38, v16, v4
	ds_bpermute_b32 v25, v16, v0
	v_and_b32_e32 v1, v1, v27
	v_xor_b32_e32 v3, s14, v6
	ds_bpermute_b32 v27, v16, v5
	v_and_b32_e32 v1, v1, v2
	s_delay_alu instid0(VALU_DEP_1) | instskip(SKIP_1) | instid1(VALU_DEP_2)
	v_and_b32_e32 v0, v1, v3
	v_and_b32_e32 v1, 0xff, v24
	v_mbcnt_lo_u32_b32 v33, v0, 0
	s_delay_alu instid0(VALU_DEP_2) | instskip(SKIP_1) | instid1(VALU_DEP_3)
	v_mad_u32_u24 v1, v1, 10, v22
	v_cmp_ne_u32_e64 s14, 0, v0
	v_cmp_eq_u32_e64 s13, 0, v33
	s_delay_alu instid0(VALU_DEP_3) | instskip(NEXT) | instid1(VALU_DEP_2)
	v_lshl_add_u32 v37, v1, 2, 40
	s_and_b32 s14, s14, s13
	s_delay_alu instid0(SALU_CYCLE_1)
	s_and_saveexec_b32 s13, s14
	s_cbranch_execz .LBB85_4
; %bb.3:                                ;   in Loop: Header=BB85_2 Depth=1
	v_bcnt_u32_b32 v0, v0, 0
	ds_store_b32 v37, v0
.LBB85_4:                               ;   in Loop: Header=BB85_2 Depth=1
	s_or_b32 exec_lo, exec_lo, s13
	v_bfe_u32 v0, v24, 8, 1
	v_lshrrev_b32_e32 v39, 8, v24
	; wave barrier
	s_delay_alu instid0(VALU_DEP_2) | instskip(NEXT) | instid1(VALU_DEP_1)
	v_add_co_u32 v0, s13, v0, -1
	v_cndmask_b32_e64 v1, 0, 1, s13
	s_delay_alu instid0(VALU_DEP_3)
	v_lshlrev_b32_e32 v2, 30, v39
	v_lshlrev_b32_e32 v3, 29, v39
	;; [unrolled: 1-line block ×4, first 2 shown]
	v_cmp_ne_u32_e64 s13, 0, v1
	v_not_b32_e32 v1, v2
	v_cmp_gt_i32_e64 s14, 0, v2
	v_not_b32_e32 v2, v3
	v_lshlrev_b32_e32 v6, 26, v39
	v_xor_b32_e32 v0, s13, v0
	v_ashrrev_i32_e32 v1, 31, v1
	v_cmp_gt_i32_e64 s13, 0, v3
	v_not_b32_e32 v3, v4
	v_ashrrev_i32_e32 v2, 31, v2
	v_and_b32_e32 v0, exec_lo, v0
	v_xor_b32_e32 v1, s14, v1
	v_cmp_gt_i32_e64 s14, 0, v4
	v_not_b32_e32 v4, v5
	v_ashrrev_i32_e32 v3, 31, v3
	v_xor_b32_e32 v2, s13, v2
	v_and_b32_e32 v0, v0, v1
	v_cmp_gt_i32_e64 s13, 0, v5
	v_not_b32_e32 v1, v6
	v_ashrrev_i32_e32 v4, 31, v4
	v_xor_b32_e32 v3, s14, v3
	v_and_b32_e32 v0, v0, v2
	v_lshlrev_b32_e32 v2, 25, v39
	v_cmp_gt_i32_e64 s14, 0, v6
	v_ashrrev_i32_e32 v1, 31, v1
	v_xor_b32_e32 v4, s13, v4
	v_and_b32_e32 v0, v0, v3
	v_not_b32_e32 v5, v2
	v_lshlrev_b32_e32 v6, 24, v39
	v_bfe_u32 v3, v24, 8, 8
	v_xor_b32_e32 v1, s14, v1
	v_and_b32_e32 v0, v0, v4
	v_cmp_gt_i32_e64 s13, 0, v2
	v_ashrrev_i32_e32 v2, 31, v5
	v_not_b32_e32 v4, v6
	v_mul_u32_u24_e32 v3, 10, v3
	v_and_b32_e32 v0, v0, v1
	s_delay_alu instid0(VALU_DEP_4) | instskip(SKIP_3) | instid1(VALU_DEP_4)
	v_xor_b32_e32 v1, s13, v2
	v_cmp_gt_i32_e64 s13, 0, v6
	v_ashrrev_i32_e32 v2, 31, v4
	v_add_lshl_u32 v3, v22, v3, 2
	v_and_b32_e32 v0, v0, v1
	s_delay_alu instid0(VALU_DEP_3) | instskip(SKIP_3) | instid1(VALU_DEP_1)
	v_xor_b32_e32 v1, s13, v2
	ds_load_b32 v44, v3 offset:40
	v_add_nc_u32_e32 v46, 40, v3
	; wave barrier
	v_and_b32_e32 v0, v0, v1
	v_mbcnt_lo_u32_b32 v45, v0, 0
	v_cmp_ne_u32_e64 s14, 0, v0
	s_delay_alu instid0(VALU_DEP_2) | instskip(NEXT) | instid1(VALU_DEP_1)
	v_cmp_eq_u32_e64 s13, 0, v45
	s_and_b32 s14, s14, s13
	s_delay_alu instid0(SALU_CYCLE_1)
	s_and_saveexec_b32 s13, s14
	s_cbranch_execz .LBB85_6
; %bb.5:                                ;   in Loop: Header=BB85_2 Depth=1
	s_waitcnt lgkmcnt(0)
	v_bcnt_u32_b32 v0, v0, v44
	ds_store_b32 v46, v0
.LBB85_6:                               ;   in Loop: Header=BB85_2 Depth=1
	s_or_b32 exec_lo, exec_lo, s13
	v_bfe_u32 v0, v24, 16, 1
	v_lshrrev_b32_e32 v47, 16, v24
	; wave barrier
	s_delay_alu instid0(VALU_DEP_2) | instskip(NEXT) | instid1(VALU_DEP_1)
	v_add_co_u32 v0, s13, v0, -1
	v_cndmask_b32_e64 v1, 0, 1, s13
	s_delay_alu instid0(VALU_DEP_3)
	v_lshlrev_b32_e32 v2, 30, v47
	v_lshlrev_b32_e32 v3, 29, v47
	;; [unrolled: 1-line block ×4, first 2 shown]
	v_cmp_ne_u32_e64 s13, 0, v1
	v_not_b32_e32 v1, v2
	v_cmp_gt_i32_e64 s14, 0, v2
	v_not_b32_e32 v2, v3
	v_lshlrev_b32_e32 v6, 26, v47
	v_xor_b32_e32 v0, s13, v0
	v_ashrrev_i32_e32 v1, 31, v1
	v_cmp_gt_i32_e64 s13, 0, v3
	v_not_b32_e32 v3, v4
	v_ashrrev_i32_e32 v2, 31, v2
	v_and_b32_e32 v0, exec_lo, v0
	v_xor_b32_e32 v1, s14, v1
	v_cmp_gt_i32_e64 s14, 0, v4
	v_not_b32_e32 v4, v5
	v_ashrrev_i32_e32 v3, 31, v3
	v_xor_b32_e32 v2, s13, v2
	v_and_b32_e32 v0, v0, v1
	v_cmp_gt_i32_e64 s13, 0, v5
	v_not_b32_e32 v1, v6
	v_ashrrev_i32_e32 v4, 31, v4
	v_xor_b32_e32 v3, s14, v3
	v_and_b32_e32 v0, v0, v2
	v_lshlrev_b32_e32 v2, 25, v47
	v_cmp_gt_i32_e64 s14, 0, v6
	v_ashrrev_i32_e32 v1, 31, v1
	v_xor_b32_e32 v4, s13, v4
	v_and_b32_e32 v0, v0, v3
	v_not_b32_e32 v5, v2
	v_lshlrev_b32_e32 v6, 24, v47
	v_bfe_u32 v3, v24, 16, 8
	v_xor_b32_e32 v1, s14, v1
	v_and_b32_e32 v0, v0, v4
	v_cmp_gt_i32_e64 s13, 0, v2
	v_ashrrev_i32_e32 v2, 31, v5
	v_not_b32_e32 v4, v6
	v_mul_u32_u24_e32 v3, 10, v3
	v_and_b32_e32 v0, v0, v1
	s_delay_alu instid0(VALU_DEP_4) | instskip(SKIP_3) | instid1(VALU_DEP_4)
	v_xor_b32_e32 v1, s13, v2
	v_cmp_gt_i32_e64 s13, 0, v6
	v_ashrrev_i32_e32 v2, 31, v4
	v_add_lshl_u32 v3, v22, v3, 2
	v_and_b32_e32 v0, v0, v1
	s_delay_alu instid0(VALU_DEP_3) | instskip(SKIP_3) | instid1(VALU_DEP_1)
	v_xor_b32_e32 v1, s13, v2
	ds_load_b32 v48, v3 offset:40
	v_add_nc_u32_e32 v50, 40, v3
	; wave barrier
	v_and_b32_e32 v0, v0, v1
	v_mbcnt_lo_u32_b32 v49, v0, 0
	v_cmp_ne_u32_e64 s14, 0, v0
	s_delay_alu instid0(VALU_DEP_2) | instskip(NEXT) | instid1(VALU_DEP_1)
	v_cmp_eq_u32_e64 s13, 0, v49
	s_and_b32 s14, s14, s13
	s_delay_alu instid0(SALU_CYCLE_1)
	s_and_saveexec_b32 s13, s14
	s_cbranch_execz .LBB85_8
; %bb.7:                                ;   in Loop: Header=BB85_2 Depth=1
	s_waitcnt lgkmcnt(0)
	v_bcnt_u32_b32 v0, v0, v48
	ds_store_b32 v50, v0
.LBB85_8:                               ;   in Loop: Header=BB85_2 Depth=1
	s_or_b32 exec_lo, exec_lo, s13
	v_bfe_u32 v0, v24, 24, 1
	v_lshrrev_b32_e32 v51, 24, v24
	; wave barrier
	s_delay_alu instid0(VALU_DEP_2) | instskip(NEXT) | instid1(VALU_DEP_1)
	v_add_co_u32 v0, s13, v0, -1
	v_cndmask_b32_e64 v1, 0, 1, s13
	s_delay_alu instid0(VALU_DEP_3)
	v_lshlrev_b32_e32 v2, 30, v51
	v_lshlrev_b32_e32 v3, 29, v51
	;; [unrolled: 1-line block ×4, first 2 shown]
	v_cmp_ne_u32_e64 s13, 0, v1
	v_not_b32_e32 v1, v2
	v_cmp_gt_i32_e64 s14, 0, v2
	v_not_b32_e32 v2, v3
	v_lshlrev_b32_e32 v6, 26, v51
	v_xor_b32_e32 v0, s13, v0
	v_ashrrev_i32_e32 v1, 31, v1
	v_cmp_gt_i32_e64 s13, 0, v3
	v_not_b32_e32 v3, v4
	v_ashrrev_i32_e32 v2, 31, v2
	v_and_b32_e32 v0, exec_lo, v0
	v_xor_b32_e32 v1, s14, v1
	v_cmp_gt_i32_e64 s14, 0, v4
	v_not_b32_e32 v4, v5
	v_ashrrev_i32_e32 v3, 31, v3
	v_xor_b32_e32 v2, s13, v2
	v_and_b32_e32 v0, v0, v1
	v_lshlrev_b32_e32 v1, 25, v51
	v_cmp_gt_i32_e64 s13, 0, v5
	v_ashrrev_i32_e32 v4, 31, v4
	v_xor_b32_e32 v3, s14, v3
	v_and_b32_e32 v0, v0, v2
	v_not_b32_e32 v5, v6
	v_not_b32_e32 v7, v1
	v_xor_b32_e32 v4, s13, v4
	v_cmp_gt_i32_e64 s13, 0, v6
	v_and_b32_e32 v0, v0, v3
	v_ashrrev_i32_e32 v3, 31, v5
	v_and_b32_e32 v2, 0xff000000, v24
	v_cmp_gt_i32_e64 s14, 0, v1
	v_ashrrev_i32_e32 v1, 31, v7
	v_and_b32_e32 v0, v0, v4
	v_not_b32_e32 v4, v24
	v_xor_b32_e32 v3, s13, v3
	v_mul_u32_u24_e32 v5, 10, v51
	v_xor_b32_e32 v1, s14, v1
	v_cmp_gt_i32_e64 s13, 0, v2
	v_ashrrev_i32_e32 v2, 31, v4
	v_and_b32_e32 v0, v0, v3
	v_add_lshl_u32 v3, v22, v5, 2
	s_delay_alu instid0(VALU_DEP_3) | instskip(NEXT) | instid1(VALU_DEP_3)
	v_xor_b32_e32 v2, s13, v2
	v_and_b32_e32 v0, v0, v1
	ds_load_b32 v52, v3 offset:40
	v_add_nc_u32_e32 v54, 40, v3
	; wave barrier
	v_and_b32_e32 v0, v0, v2
	s_delay_alu instid0(VALU_DEP_1) | instskip(SKIP_1) | instid1(VALU_DEP_2)
	v_mbcnt_lo_u32_b32 v53, v0, 0
	v_cmp_ne_u32_e64 s14, 0, v0
	v_cmp_eq_u32_e64 s13, 0, v53
	s_delay_alu instid0(VALU_DEP_1) | instskip(NEXT) | instid1(SALU_CYCLE_1)
	s_and_b32 s14, s14, s13
	s_and_saveexec_b32 s13, s14
	s_cbranch_execz .LBB85_10
; %bb.9:                                ;   in Loop: Header=BB85_2 Depth=1
	s_waitcnt lgkmcnt(0)
	v_bcnt_u32_b32 v0, v0, v52
	ds_store_b32 v54, v0
.LBB85_10:                              ;   in Loop: Header=BB85_2 Depth=1
	s_or_b32 exec_lo, exec_lo, s13
	; wave barrier
	s_waitcnt lgkmcnt(0)
	s_barrier
	buffer_gl0_inv
	ds_load_2addr_b64 v[4:7], v17 offset0:5 offset1:6
	ds_load_2addr_b64 v[0:3], v18 offset0:2 offset1:3
	s_waitcnt lgkmcnt(1)
	v_add_nc_u32_e32 v55, v5, v4
	s_delay_alu instid0(VALU_DEP_1) | instskip(SKIP_1) | instid1(VALU_DEP_1)
	v_add3_u32 v55, v55, v6, v7
	s_waitcnt lgkmcnt(0)
	v_add3_u32 v55, v55, v0, v1
	s_delay_alu instid0(VALU_DEP_1) | instskip(NEXT) | instid1(VALU_DEP_1)
	v_add3_u32 v3, v55, v2, v3
	v_mov_b32_dpp v55, v3 row_shr:1 row_mask:0xf bank_mask:0xf
	s_delay_alu instid0(VALU_DEP_1) | instskip(NEXT) | instid1(VALU_DEP_1)
	v_cndmask_b32_e64 v55, v55, 0, s4
	v_add_nc_u32_e32 v3, v55, v3
	s_delay_alu instid0(VALU_DEP_1) | instskip(NEXT) | instid1(VALU_DEP_1)
	v_mov_b32_dpp v55, v3 row_shr:2 row_mask:0xf bank_mask:0xf
	v_cndmask_b32_e64 v55, 0, v55, s5
	s_delay_alu instid0(VALU_DEP_1) | instskip(NEXT) | instid1(VALU_DEP_1)
	v_add_nc_u32_e32 v3, v3, v55
	v_mov_b32_dpp v55, v3 row_shr:4 row_mask:0xf bank_mask:0xf
	s_delay_alu instid0(VALU_DEP_1) | instskip(NEXT) | instid1(VALU_DEP_1)
	v_cndmask_b32_e64 v55, 0, v55, s6
	v_add_nc_u32_e32 v3, v3, v55
	s_delay_alu instid0(VALU_DEP_1) | instskip(NEXT) | instid1(VALU_DEP_1)
	v_mov_b32_dpp v55, v3 row_shr:8 row_mask:0xf bank_mask:0xf
	v_cndmask_b32_e64 v55, 0, v55, s7
	s_delay_alu instid0(VALU_DEP_1) | instskip(SKIP_3) | instid1(VALU_DEP_1)
	v_add_nc_u32_e32 v3, v3, v55
	ds_swizzle_b32 v55, v3 offset:swizzle(BROADCAST,32,15)
	s_waitcnt lgkmcnt(0)
	v_cndmask_b32_e64 v55, v55, 0, s8
	v_add_nc_u32_e32 v3, v3, v55
	s_and_saveexec_b32 s13, s12
	s_cbranch_execz .LBB85_12
; %bb.11:                               ;   in Loop: Header=BB85_2 Depth=1
	ds_store_b32 v20, v3
.LBB85_12:                              ;   in Loop: Header=BB85_2 Depth=1
	s_or_b32 exec_lo, exec_lo, s13
	s_waitcnt lgkmcnt(0)
	s_barrier
	buffer_gl0_inv
	s_and_saveexec_b32 s13, s9
	s_cbranch_execz .LBB85_14
; %bb.13:                               ;   in Loop: Header=BB85_2 Depth=1
	ds_load_b32 v55, v23
	s_waitcnt lgkmcnt(0)
	v_mov_b32_dpp v56, v55 row_shr:1 row_mask:0xf bank_mask:0xf
	s_delay_alu instid0(VALU_DEP_1) | instskip(NEXT) | instid1(VALU_DEP_1)
	v_cndmask_b32_e64 v56, v56, 0, s4
	v_add_nc_u32_e32 v55, v56, v55
	s_delay_alu instid0(VALU_DEP_1) | instskip(NEXT) | instid1(VALU_DEP_1)
	v_mov_b32_dpp v56, v55 row_shr:2 row_mask:0xf bank_mask:0xf
	v_cndmask_b32_e64 v56, 0, v56, s5
	s_delay_alu instid0(VALU_DEP_1) | instskip(NEXT) | instid1(VALU_DEP_1)
	v_add_nc_u32_e32 v55, v55, v56
	v_mov_b32_dpp v56, v55 row_shr:4 row_mask:0xf bank_mask:0xf
	s_delay_alu instid0(VALU_DEP_1) | instskip(NEXT) | instid1(VALU_DEP_1)
	v_cndmask_b32_e64 v56, 0, v56, s6
	v_add_nc_u32_e32 v55, v55, v56
	s_delay_alu instid0(VALU_DEP_1) | instskip(NEXT) | instid1(VALU_DEP_1)
	v_mov_b32_dpp v56, v55 row_shr:8 row_mask:0xf bank_mask:0xf
	v_cndmask_b32_e64 v56, 0, v56, s7
	s_delay_alu instid0(VALU_DEP_1)
	v_add_nc_u32_e32 v55, v55, v56
	ds_store_b32 v23, v55
.LBB85_14:                              ;   in Loop: Header=BB85_2 Depth=1
	s_or_b32 exec_lo, exec_lo, s13
	v_mov_b32_e32 v55, 0
	s_waitcnt lgkmcnt(0)
	s_barrier
	buffer_gl0_inv
	s_and_saveexec_b32 s13, s10
	s_cbranch_execz .LBB85_1
; %bb.15:                               ;   in Loop: Header=BB85_2 Depth=1
	ds_load_b32 v55, v21
	s_branch .LBB85_1
.LBB85_16:
	s_waitcnt lgkmcnt(0)
	v_lshrrev_b32_e32 v7, 8, v0
	s_add_u32 s0, s18, s15
	v_lshrrev_b32_e32 v6, 16, v0
	v_lshrrev_b32_e32 v9, 24, v0
	s_addc_u32 s1, s19, 0
	v_add_co_u32 v4, s0, s0, v8
	v_add_nc_u16 v0, v5, v0
	v_add_co_ci_u32_e64 v5, null, s1, 0, s0
	v_add_nc_u16 v1, v1, v7
	v_add_nc_u16 v3, v3, v6
	;; [unrolled: 1-line block ×3, first 2 shown]
	s_clause 0x3
	global_store_b8 v[4:5], v0, off
	global_store_b8 v[4:5], v1, off offset:320
	global_store_b8 v[4:5], v3, off offset:640
	;; [unrolled: 1-line block ×3, first 2 shown]
	s_nop 0
	s_sendmsg sendmsg(MSG_DEALLOC_VGPRS)
	s_endpgm
	.section	.rodata,"a",@progbits
	.p2align	6, 0x0
	.amdhsa_kernel _Z17sort_pairs_kernelI22helper_blocked_blockedaLj320ELj4ELj10EEvPKT0_PS1_
		.amdhsa_group_segment_fixed_size 10288
		.amdhsa_private_segment_fixed_size 0
		.amdhsa_kernarg_size 272
		.amdhsa_user_sgpr_count 15
		.amdhsa_user_sgpr_dispatch_ptr 0
		.amdhsa_user_sgpr_queue_ptr 0
		.amdhsa_user_sgpr_kernarg_segment_ptr 1
		.amdhsa_user_sgpr_dispatch_id 0
		.amdhsa_user_sgpr_private_segment_size 0
		.amdhsa_wavefront_size32 1
		.amdhsa_uses_dynamic_stack 0
		.amdhsa_enable_private_segment 0
		.amdhsa_system_sgpr_workgroup_id_x 1
		.amdhsa_system_sgpr_workgroup_id_y 0
		.amdhsa_system_sgpr_workgroup_id_z 0
		.amdhsa_system_sgpr_workgroup_info 0
		.amdhsa_system_vgpr_workitem_id 2
		.amdhsa_next_free_vgpr 57
		.amdhsa_next_free_sgpr 20
		.amdhsa_reserve_vcc 1
		.amdhsa_float_round_mode_32 0
		.amdhsa_float_round_mode_16_64 0
		.amdhsa_float_denorm_mode_32 3
		.amdhsa_float_denorm_mode_16_64 3
		.amdhsa_dx10_clamp 1
		.amdhsa_ieee_mode 1
		.amdhsa_fp16_overflow 0
		.amdhsa_workgroup_processor_mode 1
		.amdhsa_memory_ordered 1
		.amdhsa_forward_progress 0
		.amdhsa_shared_vgpr_count 0
		.amdhsa_exception_fp_ieee_invalid_op 0
		.amdhsa_exception_fp_denorm_src 0
		.amdhsa_exception_fp_ieee_div_zero 0
		.amdhsa_exception_fp_ieee_overflow 0
		.amdhsa_exception_fp_ieee_underflow 0
		.amdhsa_exception_fp_ieee_inexact 0
		.amdhsa_exception_int_div_zero 0
	.end_amdhsa_kernel
	.section	.text._Z17sort_pairs_kernelI22helper_blocked_blockedaLj320ELj4ELj10EEvPKT0_PS1_,"axG",@progbits,_Z17sort_pairs_kernelI22helper_blocked_blockedaLj320ELj4ELj10EEvPKT0_PS1_,comdat
.Lfunc_end85:
	.size	_Z17sort_pairs_kernelI22helper_blocked_blockedaLj320ELj4ELj10EEvPKT0_PS1_, .Lfunc_end85-_Z17sort_pairs_kernelI22helper_blocked_blockedaLj320ELj4ELj10EEvPKT0_PS1_
                                        ; -- End function
	.section	.AMDGPU.csdata,"",@progbits
; Kernel info:
; codeLenInByte = 4776
; NumSgprs: 22
; NumVgprs: 57
; ScratchSize: 0
; MemoryBound: 0
; FloatMode: 240
; IeeeMode: 1
; LDSByteSize: 10288 bytes/workgroup (compile time only)
; SGPRBlocks: 2
; VGPRBlocks: 7
; NumSGPRsForWavesPerEU: 22
; NumVGPRsForWavesPerEU: 57
; Occupancy: 15
; WaveLimiterHint : 1
; COMPUTE_PGM_RSRC2:SCRATCH_EN: 0
; COMPUTE_PGM_RSRC2:USER_SGPR: 15
; COMPUTE_PGM_RSRC2:TRAP_HANDLER: 0
; COMPUTE_PGM_RSRC2:TGID_X_EN: 1
; COMPUTE_PGM_RSRC2:TGID_Y_EN: 0
; COMPUTE_PGM_RSRC2:TGID_Z_EN: 0
; COMPUTE_PGM_RSRC2:TIDIG_COMP_CNT: 2
	.section	.text._Z16sort_keys_kernelI22helper_blocked_blockedaLj320ELj8ELj10EEvPKT0_PS1_,"axG",@progbits,_Z16sort_keys_kernelI22helper_blocked_blockedaLj320ELj8ELj10EEvPKT0_PS1_,comdat
	.protected	_Z16sort_keys_kernelI22helper_blocked_blockedaLj320ELj8ELj10EEvPKT0_PS1_ ; -- Begin function _Z16sort_keys_kernelI22helper_blocked_blockedaLj320ELj8ELj10EEvPKT0_PS1_
	.globl	_Z16sort_keys_kernelI22helper_blocked_blockedaLj320ELj8ELj10EEvPKT0_PS1_
	.p2align	8
	.type	_Z16sort_keys_kernelI22helper_blocked_blockedaLj320ELj8ELj10EEvPKT0_PS1_,@function
_Z16sort_keys_kernelI22helper_blocked_blockedaLj320ELj8ELj10EEvPKT0_PS1_: ; @_Z16sort_keys_kernelI22helper_blocked_blockedaLj320ELj8ELj10EEvPKT0_PS1_
; %bb.0:
	s_clause 0x1
	s_load_b128 s[16:19], s[0:1], 0x0
	s_load_b32 s8, s[0:1], 0x1c
	s_mul_i32 s11, s15, 0xa00
	v_and_b32_e32 v8, 0x3ff, v0
	v_mbcnt_lo_u32_b32 v14, -1, 0
	v_bfe_u32 v21, v0, 10, 10
	v_bfe_u32 v0, v0, 20, 10
	s_mov_b32 s12, 10
	s_delay_alu instid0(VALU_DEP_3) | instskip(SKIP_3) | instid1(VALU_DEP_4)
	v_add_nc_u32_e32 v17, -1, v14
	v_and_b32_e32 v16, 16, v14
	v_cmp_eq_u32_e32 vcc_lo, 0, v14
	v_and_b32_e32 v15, 15, v14
	v_cmp_gt_i32_e64 s7, 0, v17
	s_delay_alu instid0(VALU_DEP_4) | instskip(NEXT) | instid1(VALU_DEP_2)
	v_cmp_eq_u32_e64 s4, 0, v16
	v_cndmask_b32_e64 v16, v17, v14, s7
	s_waitcnt lgkmcnt(0)
	s_add_u32 s0, s16, s11
	s_addc_u32 s1, s17, 0
	s_clause 0x7
	global_load_u8 v1, v8, s[0:1] offset:320
	global_load_u8 v2, v8, s[0:1] offset:960
	;; [unrolled: 1-line block ×4, first 2 shown]
	global_load_u8 v5, v8, s[0:1]
	global_load_u8 v6, v8, s[0:1] offset:640
	global_load_u8 v7, v8, s[0:1] offset:1280
	;; [unrolled: 1-line block ×3, first 2 shown]
	s_mov_b32 s0, 0
	s_lshr_b32 s9, s8, 16
	s_mov_b32 s1, s0
	s_mov_b32 s2, s0
	;; [unrolled: 1-line block ×3, first 2 shown]
	v_dual_mov_b32 v10, s1 :: v_dual_mov_b32 v9, s0
	v_lshlrev_b32_e32 v18, 3, v8
	v_and_b32_e32 v19, 0x1e0, v8
	v_lshrrev_b32_e32 v22, 3, v8
	v_lshlrev_b32_e32 v23, 2, v8
	v_mad_u32_u24 v21, v0, s9, v21
	v_mov_b32_e32 v12, s3
	v_or_b32_e32 v24, v14, v19
	v_and_or_b32 v14, 0xf00, v18, v14
	v_and_b32_e32 v18, 60, v22
	v_sub_nc_u32_e32 v22, 0, v23
	s_and_b32 s8, s8, 0xffff
	v_lshlrev_b32_e32 v13, 5, v8
	v_min_u32_e32 v25, 0x120, v19
	v_mov_b32_e32 v11, s2
	v_cmp_eq_u32_e64 s0, 0, v15
	v_cmp_lt_u32_e64 s1, 1, v15
	v_mad_i32_i24 v17, 0xffffffe8, v8, v13
	v_cmp_lt_u32_e64 s2, 3, v15
	v_cmp_lt_u32_e64 s3, 7, v15
	v_cmp_gt_u32_e64 s5, 10, v8
	v_cmp_lt_u32_e64 s6, 31, v8
	v_cmp_eq_u32_e64 s7, 0, v8
	v_add_nc_u32_e32 v15, 40, v13
	v_lshlrev_b32_e32 v16, 2, v16
	v_lshlrev_b32_e32 v19, 3, v24
	v_add_nc_u32_e32 v22, v17, v22
	s_waitcnt vmcnt(7)
	v_lshlrev_b16 v23, 8, v1
	s_waitcnt vmcnt(6)
	v_lshlrev_b16 v2, 8, v2
	;; [unrolled: 2-line block ×4, first 2 shown]
	v_mad_u64_u32 v[0:1], null, v21, s8, v[8:9]
	s_waitcnt vmcnt(3)
	v_or_b32_e32 v1, v5, v23
	s_waitcnt vmcnt(2)
	v_or_b32_e32 v2, v6, v2
	;; [unrolled: 2-line block ×4, first 2 shown]
	v_or_b32_e32 v5, 31, v25
	v_and_b32_e32 v1, 0xffff, v1
	v_lshlrev_b32_e32 v2, 16, v2
	v_and_b32_e32 v3, 0xffff, v3
	v_lshlrev_b32_e32 v4, 16, v4
	v_add_nc_u32_e32 v20, -4, v18
	v_cmp_eq_u32_e64 s8, v5, v8
	v_lshrrev_b32_e32 v21, 5, v0
	v_or_b32_e32 v23, v1, v2
	v_or_b32_e32 v24, v3, v4
	s_branch .LBB86_2
.LBB86_1:                               ;   in Loop: Header=BB86_2 Depth=1
	s_or_b32 exec_lo, exec_lo, s9
	s_waitcnt lgkmcnt(0)
	v_add_nc_u32_e32 v3, v54, v3
	s_add_i32 s12, s12, -1
	s_delay_alu instid0(SALU_CYCLE_1) | instskip(SKIP_3) | instid1(VALU_DEP_1)
	s_cmp_eq_u32 s12, 0
	ds_bpermute_b32 v3, v16, v3
	s_waitcnt lgkmcnt(0)
	v_cndmask_b32_e32 v3, v3, v54, vcc_lo
	v_cndmask_b32_e64 v3, v3, 0, s7
	s_delay_alu instid0(VALU_DEP_1) | instskip(NEXT) | instid1(VALU_DEP_1)
	v_add_nc_u32_e32 v4, v3, v4
	v_add_nc_u32_e32 v5, v4, v5
	s_delay_alu instid0(VALU_DEP_1) | instskip(NEXT) | instid1(VALU_DEP_1)
	v_add_nc_u32_e32 v6, v5, v6
	v_add_nc_u32_e32 v54, v6, v7
	;; [unrolled: 3-line block ×3, first 2 shown]
	s_delay_alu instid0(VALU_DEP_1)
	v_add_nc_u32_e32 v1, v0, v2
	ds_store_2addr_b64 v13, v[3:4], v[5:6] offset0:5 offset1:6
	ds_store_2addr_b64 v15, v[54:55], v[0:1] offset0:2 offset1:3
	s_waitcnt lgkmcnt(0)
	s_barrier
	buffer_gl0_inv
	ds_load_b32 v0, v32
	ds_load_b32 v1, v35
	;; [unrolled: 1-line block ×8, first 2 shown]
	s_waitcnt lgkmcnt(0)
	s_barrier
	buffer_gl0_inv
	v_add_nc_u32_e32 v0, v0, v31
	v_add3_u32 v1, v34, v33, v1
	v_add3_u32 v2, v37, v36, v2
	;; [unrolled: 1-line block ×7, first 2 shown]
	ds_store_b8 v0, v23
	ds_store_b8 v1, v24
	ds_store_b8 v2, v25
	ds_store_b8 v3, v26
	ds_store_b8 v4, v27
	ds_store_b8 v5, v28
	ds_store_b8 v6, v29
	ds_store_b8 v7, v30
	s_waitcnt lgkmcnt(0)
	s_barrier
	buffer_gl0_inv
	ds_load_b64 v[0:1], v17
	s_waitcnt lgkmcnt(0)
	v_lshrrev_b32_e32 v2, 8, v0
	v_lshrrev_b32_e32 v3, 16, v0
	v_lshrrev_b32_e32 v4, 24, v0
	v_lshrrev_b32_e32 v23, 8, v1
	v_lshrrev_b32_e32 v24, 16, v1
	v_lshrrev_b32_e32 v25, 24, v1
	v_xor_b32_e32 v0, 0xffffff80, v0
	v_xor_b32_e32 v1, 0xffffff80, v1
	;; [unrolled: 1-line block ×8, first 2 shown]
	v_and_b32_e32 v23, 0xff, v0
	v_and_b32_e32 v24, 0xff, v1
	v_lshlrev_b16 v25, 8, v5
	v_lshlrev_b16 v26, 8, v7
	v_and_b32_e32 v27, 0xff, v6
	v_lshlrev_b16 v28, 8, v2
	v_lshlrev_b16 v29, 8, v4
	v_and_b32_e32 v30, 0xff, v3
	v_or_b32_e32 v23, v23, v25
	v_or_b32_e32 v25, v27, v26
	;; [unrolled: 1-line block ×3, first 2 shown]
	s_delay_alu instid0(VALU_DEP_4) | instskip(NEXT) | instid1(VALU_DEP_4)
	v_or_b32_e32 v26, v30, v29
	v_and_b32_e32 v23, 0xffff, v23
	s_delay_alu instid0(VALU_DEP_4) | instskip(NEXT) | instid1(VALU_DEP_4)
	v_lshlrev_b32_e32 v25, 16, v25
	v_and_b32_e32 v24, 0xffff, v24
	s_delay_alu instid0(VALU_DEP_4) | instskip(NEXT) | instid1(VALU_DEP_3)
	v_lshlrev_b32_e32 v26, 16, v26
	v_or_b32_e32 v23, v23, v25
	s_delay_alu instid0(VALU_DEP_2)
	v_or_b32_e32 v24, v24, v26
	s_cbranch_scc1 .LBB86_24
.LBB86_2:                               ; =>This Inner Loop Header: Depth=1
	s_delay_alu instid0(VALU_DEP_1) | instskip(NEXT) | instid1(VALU_DEP_3)
	v_lshrrev_b32_e32 v0, 16, v24
	v_lshrrev_b32_e32 v1, 16, v23
	v_xor_b32_e32 v2, 0x80, v24
	v_xor_b32_e32 v6, 0x80, v23
	v_and_b32_e32 v3, 0xffffff00, v24
	v_xor_b32_e32 v5, 0x80, v0
	v_xor_b32_e32 v7, 0x80, v1
	v_and_b32_e32 v4, 0xffffff00, v23
	v_and_b32_e32 v2, 0xff, v2
	;; [unrolled: 1-line block ×7, first 2 shown]
	v_or_b32_e32 v2, v2, v3
	v_or_b32_e32 v0, v5, v0
	;; [unrolled: 1-line block ×3, first 2 shown]
	s_delay_alu instid0(VALU_DEP_4) | instskip(NEXT) | instid1(VALU_DEP_4)
	v_or_b32_e32 v1, v7, v1
	v_add_nc_u16 v2, v2, 0x8000
	s_delay_alu instid0(VALU_DEP_4) | instskip(NEXT) | instid1(VALU_DEP_4)
	v_add_nc_u16 v0, v0, 0x8000
	v_add_nc_u16 v3, v3, 0x8000
	s_delay_alu instid0(VALU_DEP_4) | instskip(NEXT) | instid1(VALU_DEP_4)
	v_add_nc_u16 v1, v1, 0x8000
	v_and_b32_e32 v2, 0xffff, v2
	s_delay_alu instid0(VALU_DEP_4) | instskip(NEXT) | instid1(VALU_DEP_4)
	v_lshlrev_b32_e32 v0, 16, v0
	v_and_b32_e32 v3, 0xffff, v3
	s_delay_alu instid0(VALU_DEP_4) | instskip(NEXT) | instid1(VALU_DEP_3)
	v_lshlrev_b32_e32 v4, 16, v1
	v_or_b32_e32 v1, v2, v0
	s_delay_alu instid0(VALU_DEP_2)
	v_or_b32_e32 v0, v3, v4
	ds_store_b64 v19, v[0:1]
	; wave barrier
	ds_load_u8 v23, v14
	ds_load_u8 v24, v14 offset:32
	ds_load_u8 v25, v14 offset:64
	ds_load_u8 v26, v14 offset:96
	ds_load_u8 v27, v14 offset:128
	ds_load_u8 v28, v14 offset:160
	ds_load_u8 v29, v14 offset:192
	ds_load_u8 v30, v14 offset:224
	; wave barrier
	; wave barrier
	s_waitcnt lgkmcnt(0)
	s_barrier
	buffer_gl0_inv
	ds_store_2addr_b64 v13, v[9:10], v[11:12] offset0:5 offset1:6
	ds_store_2addr_b64 v15, v[9:10], v[11:12] offset0:2 offset1:3
	s_waitcnt lgkmcnt(0)
	s_barrier
	buffer_gl0_inv
	v_and_b32_e32 v0, 1, v23
	v_lshlrev_b32_e32 v1, 30, v23
	v_lshlrev_b32_e32 v2, 29, v23
	;; [unrolled: 1-line block ×4, first 2 shown]
	v_add_co_u32 v0, s9, v0, -1
	s_delay_alu instid0(VALU_DEP_1)
	v_cndmask_b32_e64 v4, 0, 1, s9
	v_not_b32_e32 v31, v1
	v_cmp_gt_i32_e64 s10, 0, v1
	v_not_b32_e32 v1, v2
	v_lshlrev_b32_e32 v6, 26, v23
	v_cmp_ne_u32_e64 s9, 0, v4
	v_ashrrev_i32_e32 v31, 31, v31
	v_lshlrev_b32_e32 v7, 25, v23
	v_ashrrev_i32_e32 v1, 31, v1
	v_lshlrev_b32_e32 v4, 24, v23
	v_xor_b32_e32 v0, s9, v0
	v_cmp_gt_i32_e64 s9, 0, v2
	v_not_b32_e32 v2, v3
	v_xor_b32_e32 v31, s10, v31
	v_cmp_gt_i32_e64 s10, 0, v3
	v_and_b32_e32 v0, exec_lo, v0
	v_not_b32_e32 v3, v5
	v_ashrrev_i32_e32 v2, 31, v2
	v_xor_b32_e32 v1, s9, v1
	v_cmp_gt_i32_e64 s9, 0, v5
	v_and_b32_e32 v0, v0, v31
	v_not_b32_e32 v5, v6
	v_ashrrev_i32_e32 v3, 31, v3
	v_xor_b32_e32 v2, s10, v2
	v_cmp_gt_i32_e64 s10, 0, v6
	v_and_b32_e32 v0, v0, v1
	;; [unrolled: 5-line block ×4, first 2 shown]
	v_ashrrev_i32_e32 v2, 31, v2
	v_xor_b32_e32 v1, s9, v1
	; wave barrier
	s_delay_alu instid0(VALU_DEP_3) | instskip(NEXT) | instid1(VALU_DEP_3)
	v_and_b32_e32 v0, v0, v5
	v_xor_b32_e32 v2, s10, v2
	s_delay_alu instid0(VALU_DEP_2) | instskip(SKIP_1) | instid1(VALU_DEP_2)
	v_and_b32_e32 v0, v0, v1
	v_and_b32_e32 v1, 0xff, v23
	;; [unrolled: 1-line block ×3, first 2 shown]
	s_delay_alu instid0(VALU_DEP_2) | instskip(NEXT) | instid1(VALU_DEP_2)
	v_mad_u32_u24 v1, v1, 10, v21
	v_mbcnt_lo_u32_b32 v31, v0, 0
	v_cmp_ne_u32_e64 s10, 0, v0
	s_delay_alu instid0(VALU_DEP_3) | instskip(NEXT) | instid1(VALU_DEP_3)
	v_lshl_add_u32 v32, v1, 2, 40
	v_cmp_eq_u32_e64 s9, 0, v31
	s_delay_alu instid0(VALU_DEP_1) | instskip(NEXT) | instid1(SALU_CYCLE_1)
	s_and_b32 s10, s10, s9
	s_and_saveexec_b32 s9, s10
	s_cbranch_execz .LBB86_4
; %bb.3:                                ;   in Loop: Header=BB86_2 Depth=1
	v_bcnt_u32_b32 v0, v0, 0
	ds_store_b32 v32, v0
.LBB86_4:                               ;   in Loop: Header=BB86_2 Depth=1
	s_or_b32 exec_lo, exec_lo, s9
	v_and_b32_e32 v0, 1, v24
	v_lshlrev_b32_e32 v2, 30, v24
	v_lshlrev_b32_e32 v4, 29, v24
	;; [unrolled: 1-line block ×4, first 2 shown]
	v_add_co_u32 v0, s9, v0, -1
	s_delay_alu instid0(VALU_DEP_1)
	v_cndmask_b32_e64 v3, 0, 1, s9
	v_not_b32_e32 v7, v2
	v_cmp_gt_i32_e64 s10, 0, v2
	v_not_b32_e32 v2, v4
	v_and_b32_e32 v1, 0xff, v24
	v_cmp_ne_u32_e64 s9, 0, v3
	v_ashrrev_i32_e32 v7, 31, v7
	v_lshlrev_b32_e32 v3, 26, v24
	v_ashrrev_i32_e32 v2, 31, v2
	v_mul_u32_u24_e32 v1, 10, v1
	v_xor_b32_e32 v0, s9, v0
	v_cmp_gt_i32_e64 s9, 0, v4
	v_not_b32_e32 v4, v5
	v_xor_b32_e32 v7, s10, v7
	v_cmp_gt_i32_e64 s10, 0, v5
	v_and_b32_e32 v0, exec_lo, v0
	v_not_b32_e32 v5, v6
	v_ashrrev_i32_e32 v4, 31, v4
	v_xor_b32_e32 v2, s9, v2
	v_cmp_gt_i32_e64 s9, 0, v6
	v_and_b32_e32 v0, v0, v7
	v_lshlrev_b32_e32 v7, 25, v24
	v_ashrrev_i32_e32 v5, 31, v5
	v_xor_b32_e32 v4, s10, v4
	v_not_b32_e32 v6, v3
	v_and_b32_e32 v0, v0, v2
	v_lshlrev_b32_e32 v2, 24, v24
	v_not_b32_e32 v33, v7
	v_xor_b32_e32 v5, s9, v5
	v_cmp_gt_i32_e64 s9, 0, v3
	v_and_b32_e32 v0, v0, v4
	v_ashrrev_i32_e32 v3, 31, v6
	v_cmp_gt_i32_e64 s10, 0, v7
	v_ashrrev_i32_e32 v4, 31, v33
	v_add_lshl_u32 v1, v21, v1, 2
	v_and_b32_e32 v0, v0, v5
	v_not_b32_e32 v5, v2
	v_xor_b32_e32 v3, s9, v3
	v_xor_b32_e32 v4, s10, v4
	v_cmp_gt_i32_e64 s9, 0, v2
	s_delay_alu instid0(VALU_DEP_4) | instskip(NEXT) | instid1(VALU_DEP_4)
	v_ashrrev_i32_e32 v2, 31, v5
	v_and_b32_e32 v0, v0, v3
	; wave barrier
	ds_load_b32 v33, v1 offset:40
	v_add_nc_u32_e32 v35, 40, v1
	v_xor_b32_e32 v2, s9, v2
	v_and_b32_e32 v0, v0, v4
	; wave barrier
	s_delay_alu instid0(VALU_DEP_1) | instskip(NEXT) | instid1(VALU_DEP_1)
	v_and_b32_e32 v0, v0, v2
	v_mbcnt_lo_u32_b32 v34, v0, 0
	v_cmp_ne_u32_e64 s10, 0, v0
	s_delay_alu instid0(VALU_DEP_2) | instskip(NEXT) | instid1(VALU_DEP_1)
	v_cmp_eq_u32_e64 s9, 0, v34
	s_and_b32 s10, s10, s9
	s_delay_alu instid0(SALU_CYCLE_1)
	s_and_saveexec_b32 s9, s10
	s_cbranch_execz .LBB86_6
; %bb.5:                                ;   in Loop: Header=BB86_2 Depth=1
	s_waitcnt lgkmcnt(0)
	v_bcnt_u32_b32 v0, v0, v33
	ds_store_b32 v35, v0
.LBB86_6:                               ;   in Loop: Header=BB86_2 Depth=1
	s_or_b32 exec_lo, exec_lo, s9
	v_and_b32_e32 v0, 1, v25
	v_lshlrev_b32_e32 v2, 30, v25
	v_lshlrev_b32_e32 v4, 29, v25
	;; [unrolled: 1-line block ×4, first 2 shown]
	v_add_co_u32 v0, s9, v0, -1
	s_delay_alu instid0(VALU_DEP_1)
	v_cndmask_b32_e64 v3, 0, 1, s9
	v_not_b32_e32 v7, v2
	v_cmp_gt_i32_e64 s10, 0, v2
	v_not_b32_e32 v2, v4
	v_and_b32_e32 v1, 0xff, v25
	v_cmp_ne_u32_e64 s9, 0, v3
	v_ashrrev_i32_e32 v7, 31, v7
	v_lshlrev_b32_e32 v3, 26, v25
	v_ashrrev_i32_e32 v2, 31, v2
	v_mul_u32_u24_e32 v1, 10, v1
	v_xor_b32_e32 v0, s9, v0
	v_cmp_gt_i32_e64 s9, 0, v4
	v_not_b32_e32 v4, v5
	v_xor_b32_e32 v7, s10, v7
	v_cmp_gt_i32_e64 s10, 0, v5
	v_and_b32_e32 v0, exec_lo, v0
	v_not_b32_e32 v5, v6
	v_ashrrev_i32_e32 v4, 31, v4
	v_xor_b32_e32 v2, s9, v2
	v_cmp_gt_i32_e64 s9, 0, v6
	v_and_b32_e32 v0, v0, v7
	v_lshlrev_b32_e32 v7, 25, v25
	v_ashrrev_i32_e32 v5, 31, v5
	v_xor_b32_e32 v4, s10, v4
	v_not_b32_e32 v6, v3
	v_and_b32_e32 v0, v0, v2
	v_lshlrev_b32_e32 v2, 24, v25
	v_not_b32_e32 v36, v7
	v_xor_b32_e32 v5, s9, v5
	v_cmp_gt_i32_e64 s9, 0, v3
	v_and_b32_e32 v0, v0, v4
	v_ashrrev_i32_e32 v3, 31, v6
	v_cmp_gt_i32_e64 s10, 0, v7
	v_ashrrev_i32_e32 v4, 31, v36
	v_add_lshl_u32 v1, v21, v1, 2
	v_and_b32_e32 v0, v0, v5
	v_not_b32_e32 v5, v2
	v_xor_b32_e32 v3, s9, v3
	v_xor_b32_e32 v4, s10, v4
	v_cmp_gt_i32_e64 s9, 0, v2
	s_delay_alu instid0(VALU_DEP_4) | instskip(NEXT) | instid1(VALU_DEP_4)
	v_ashrrev_i32_e32 v2, 31, v5
	v_and_b32_e32 v0, v0, v3
	; wave barrier
	ds_load_b32 v36, v1 offset:40
	v_add_nc_u32_e32 v38, 40, v1
	v_xor_b32_e32 v2, s9, v2
	v_and_b32_e32 v0, v0, v4
	; wave barrier
	s_delay_alu instid0(VALU_DEP_1) | instskip(NEXT) | instid1(VALU_DEP_1)
	v_and_b32_e32 v0, v0, v2
	v_mbcnt_lo_u32_b32 v37, v0, 0
	v_cmp_ne_u32_e64 s10, 0, v0
	s_delay_alu instid0(VALU_DEP_2) | instskip(NEXT) | instid1(VALU_DEP_1)
	v_cmp_eq_u32_e64 s9, 0, v37
	s_and_b32 s10, s10, s9
	s_delay_alu instid0(SALU_CYCLE_1)
	s_and_saveexec_b32 s9, s10
	s_cbranch_execz .LBB86_8
; %bb.7:                                ;   in Loop: Header=BB86_2 Depth=1
	s_waitcnt lgkmcnt(0)
	v_bcnt_u32_b32 v0, v0, v36
	ds_store_b32 v38, v0
.LBB86_8:                               ;   in Loop: Header=BB86_2 Depth=1
	s_or_b32 exec_lo, exec_lo, s9
	v_and_b32_e32 v0, 1, v26
	v_lshlrev_b32_e32 v2, 30, v26
	v_lshlrev_b32_e32 v4, 29, v26
	;; [unrolled: 1-line block ×4, first 2 shown]
	v_add_co_u32 v0, s9, v0, -1
	s_delay_alu instid0(VALU_DEP_1)
	v_cndmask_b32_e64 v3, 0, 1, s9
	v_not_b32_e32 v7, v2
	v_cmp_gt_i32_e64 s10, 0, v2
	v_not_b32_e32 v2, v4
	v_and_b32_e32 v1, 0xff, v26
	v_cmp_ne_u32_e64 s9, 0, v3
	v_ashrrev_i32_e32 v7, 31, v7
	v_lshlrev_b32_e32 v3, 26, v26
	v_ashrrev_i32_e32 v2, 31, v2
	v_mul_u32_u24_e32 v1, 10, v1
	v_xor_b32_e32 v0, s9, v0
	v_cmp_gt_i32_e64 s9, 0, v4
	v_not_b32_e32 v4, v5
	v_xor_b32_e32 v7, s10, v7
	v_cmp_gt_i32_e64 s10, 0, v5
	v_and_b32_e32 v0, exec_lo, v0
	v_not_b32_e32 v5, v6
	v_ashrrev_i32_e32 v4, 31, v4
	v_xor_b32_e32 v2, s9, v2
	v_cmp_gt_i32_e64 s9, 0, v6
	v_and_b32_e32 v0, v0, v7
	v_lshlrev_b32_e32 v7, 25, v26
	v_ashrrev_i32_e32 v5, 31, v5
	v_xor_b32_e32 v4, s10, v4
	v_not_b32_e32 v6, v3
	v_and_b32_e32 v0, v0, v2
	v_lshlrev_b32_e32 v2, 24, v26
	v_not_b32_e32 v39, v7
	v_xor_b32_e32 v5, s9, v5
	v_cmp_gt_i32_e64 s9, 0, v3
	v_and_b32_e32 v0, v0, v4
	v_ashrrev_i32_e32 v3, 31, v6
	v_cmp_gt_i32_e64 s10, 0, v7
	v_ashrrev_i32_e32 v4, 31, v39
	v_add_lshl_u32 v1, v21, v1, 2
	v_and_b32_e32 v0, v0, v5
	v_not_b32_e32 v5, v2
	v_xor_b32_e32 v3, s9, v3
	v_xor_b32_e32 v4, s10, v4
	v_cmp_gt_i32_e64 s9, 0, v2
	s_delay_alu instid0(VALU_DEP_4) | instskip(NEXT) | instid1(VALU_DEP_4)
	v_ashrrev_i32_e32 v2, 31, v5
	v_and_b32_e32 v0, v0, v3
	; wave barrier
	ds_load_b32 v39, v1 offset:40
	v_add_nc_u32_e32 v41, 40, v1
	v_xor_b32_e32 v2, s9, v2
	v_and_b32_e32 v0, v0, v4
	; wave barrier
	s_delay_alu instid0(VALU_DEP_1) | instskip(NEXT) | instid1(VALU_DEP_1)
	v_and_b32_e32 v0, v0, v2
	v_mbcnt_lo_u32_b32 v40, v0, 0
	v_cmp_ne_u32_e64 s10, 0, v0
	s_delay_alu instid0(VALU_DEP_2) | instskip(NEXT) | instid1(VALU_DEP_1)
	v_cmp_eq_u32_e64 s9, 0, v40
	s_and_b32 s10, s10, s9
	s_delay_alu instid0(SALU_CYCLE_1)
	s_and_saveexec_b32 s9, s10
	s_cbranch_execz .LBB86_10
; %bb.9:                                ;   in Loop: Header=BB86_2 Depth=1
	s_waitcnt lgkmcnt(0)
	v_bcnt_u32_b32 v0, v0, v39
	ds_store_b32 v41, v0
.LBB86_10:                              ;   in Loop: Header=BB86_2 Depth=1
	s_or_b32 exec_lo, exec_lo, s9
	v_and_b32_e32 v0, 1, v27
	v_lshlrev_b32_e32 v2, 30, v27
	v_lshlrev_b32_e32 v4, 29, v27
	;; [unrolled: 1-line block ×4, first 2 shown]
	v_add_co_u32 v0, s9, v0, -1
	s_delay_alu instid0(VALU_DEP_1)
	v_cndmask_b32_e64 v3, 0, 1, s9
	v_not_b32_e32 v7, v2
	v_cmp_gt_i32_e64 s10, 0, v2
	v_not_b32_e32 v2, v4
	v_and_b32_e32 v1, 0xff, v27
	v_cmp_ne_u32_e64 s9, 0, v3
	v_ashrrev_i32_e32 v7, 31, v7
	v_lshlrev_b32_e32 v3, 26, v27
	v_ashrrev_i32_e32 v2, 31, v2
	v_mul_u32_u24_e32 v1, 10, v1
	v_xor_b32_e32 v0, s9, v0
	v_cmp_gt_i32_e64 s9, 0, v4
	v_not_b32_e32 v4, v5
	v_xor_b32_e32 v7, s10, v7
	v_cmp_gt_i32_e64 s10, 0, v5
	v_and_b32_e32 v0, exec_lo, v0
	v_not_b32_e32 v5, v6
	v_ashrrev_i32_e32 v4, 31, v4
	v_xor_b32_e32 v2, s9, v2
	v_cmp_gt_i32_e64 s9, 0, v6
	v_and_b32_e32 v0, v0, v7
	v_lshlrev_b32_e32 v7, 25, v27
	v_ashrrev_i32_e32 v5, 31, v5
	v_xor_b32_e32 v4, s10, v4
	v_not_b32_e32 v6, v3
	v_and_b32_e32 v0, v0, v2
	v_lshlrev_b32_e32 v2, 24, v27
	v_not_b32_e32 v42, v7
	v_xor_b32_e32 v5, s9, v5
	v_cmp_gt_i32_e64 s9, 0, v3
	v_and_b32_e32 v0, v0, v4
	v_ashrrev_i32_e32 v3, 31, v6
	v_cmp_gt_i32_e64 s10, 0, v7
	v_ashrrev_i32_e32 v4, 31, v42
	v_add_lshl_u32 v1, v21, v1, 2
	v_and_b32_e32 v0, v0, v5
	v_not_b32_e32 v5, v2
	v_xor_b32_e32 v3, s9, v3
	v_xor_b32_e32 v4, s10, v4
	v_cmp_gt_i32_e64 s9, 0, v2
	s_delay_alu instid0(VALU_DEP_4) | instskip(NEXT) | instid1(VALU_DEP_4)
	v_ashrrev_i32_e32 v2, 31, v5
	v_and_b32_e32 v0, v0, v3
	; wave barrier
	ds_load_b32 v42, v1 offset:40
	v_add_nc_u32_e32 v44, 40, v1
	v_xor_b32_e32 v2, s9, v2
	v_and_b32_e32 v0, v0, v4
	; wave barrier
	s_delay_alu instid0(VALU_DEP_1) | instskip(NEXT) | instid1(VALU_DEP_1)
	v_and_b32_e32 v0, v0, v2
	v_mbcnt_lo_u32_b32 v43, v0, 0
	v_cmp_ne_u32_e64 s10, 0, v0
	s_delay_alu instid0(VALU_DEP_2) | instskip(NEXT) | instid1(VALU_DEP_1)
	v_cmp_eq_u32_e64 s9, 0, v43
	s_and_b32 s10, s10, s9
	s_delay_alu instid0(SALU_CYCLE_1)
	s_and_saveexec_b32 s9, s10
	s_cbranch_execz .LBB86_12
; %bb.11:                               ;   in Loop: Header=BB86_2 Depth=1
	s_waitcnt lgkmcnt(0)
	v_bcnt_u32_b32 v0, v0, v42
	ds_store_b32 v44, v0
.LBB86_12:                              ;   in Loop: Header=BB86_2 Depth=1
	s_or_b32 exec_lo, exec_lo, s9
	v_and_b32_e32 v0, 1, v28
	v_lshlrev_b32_e32 v2, 30, v28
	v_lshlrev_b32_e32 v4, 29, v28
	;; [unrolled: 1-line block ×4, first 2 shown]
	v_add_co_u32 v0, s9, v0, -1
	s_delay_alu instid0(VALU_DEP_1)
	v_cndmask_b32_e64 v3, 0, 1, s9
	v_not_b32_e32 v7, v2
	v_cmp_gt_i32_e64 s10, 0, v2
	v_not_b32_e32 v2, v4
	v_and_b32_e32 v1, 0xff, v28
	v_cmp_ne_u32_e64 s9, 0, v3
	v_ashrrev_i32_e32 v7, 31, v7
	v_lshlrev_b32_e32 v3, 26, v28
	v_ashrrev_i32_e32 v2, 31, v2
	v_mul_u32_u24_e32 v1, 10, v1
	v_xor_b32_e32 v0, s9, v0
	v_cmp_gt_i32_e64 s9, 0, v4
	v_not_b32_e32 v4, v5
	v_xor_b32_e32 v7, s10, v7
	v_cmp_gt_i32_e64 s10, 0, v5
	v_and_b32_e32 v0, exec_lo, v0
	v_not_b32_e32 v5, v6
	v_ashrrev_i32_e32 v4, 31, v4
	v_xor_b32_e32 v2, s9, v2
	v_cmp_gt_i32_e64 s9, 0, v6
	v_and_b32_e32 v0, v0, v7
	v_lshlrev_b32_e32 v7, 25, v28
	v_ashrrev_i32_e32 v5, 31, v5
	v_xor_b32_e32 v4, s10, v4
	v_not_b32_e32 v6, v3
	v_and_b32_e32 v0, v0, v2
	v_lshlrev_b32_e32 v2, 24, v28
	v_not_b32_e32 v45, v7
	v_xor_b32_e32 v5, s9, v5
	v_cmp_gt_i32_e64 s9, 0, v3
	v_and_b32_e32 v0, v0, v4
	v_ashrrev_i32_e32 v3, 31, v6
	v_cmp_gt_i32_e64 s10, 0, v7
	v_ashrrev_i32_e32 v4, 31, v45
	v_add_lshl_u32 v1, v21, v1, 2
	v_and_b32_e32 v0, v0, v5
	v_not_b32_e32 v5, v2
	v_xor_b32_e32 v3, s9, v3
	v_xor_b32_e32 v4, s10, v4
	v_cmp_gt_i32_e64 s9, 0, v2
	s_delay_alu instid0(VALU_DEP_4) | instskip(NEXT) | instid1(VALU_DEP_4)
	v_ashrrev_i32_e32 v2, 31, v5
	v_and_b32_e32 v0, v0, v3
	; wave barrier
	ds_load_b32 v45, v1 offset:40
	v_add_nc_u32_e32 v47, 40, v1
	v_xor_b32_e32 v2, s9, v2
	v_and_b32_e32 v0, v0, v4
	; wave barrier
	s_delay_alu instid0(VALU_DEP_1) | instskip(NEXT) | instid1(VALU_DEP_1)
	v_and_b32_e32 v0, v0, v2
	v_mbcnt_lo_u32_b32 v46, v0, 0
	v_cmp_ne_u32_e64 s10, 0, v0
	s_delay_alu instid0(VALU_DEP_2) | instskip(NEXT) | instid1(VALU_DEP_1)
	v_cmp_eq_u32_e64 s9, 0, v46
	s_and_b32 s10, s10, s9
	s_delay_alu instid0(SALU_CYCLE_1)
	s_and_saveexec_b32 s9, s10
	s_cbranch_execz .LBB86_14
; %bb.13:                               ;   in Loop: Header=BB86_2 Depth=1
	s_waitcnt lgkmcnt(0)
	v_bcnt_u32_b32 v0, v0, v45
	ds_store_b32 v47, v0
.LBB86_14:                              ;   in Loop: Header=BB86_2 Depth=1
	s_or_b32 exec_lo, exec_lo, s9
	v_and_b32_e32 v0, 1, v29
	v_lshlrev_b32_e32 v2, 30, v29
	v_lshlrev_b32_e32 v4, 29, v29
	;; [unrolled: 1-line block ×4, first 2 shown]
	v_add_co_u32 v0, s9, v0, -1
	s_delay_alu instid0(VALU_DEP_1)
	v_cndmask_b32_e64 v3, 0, 1, s9
	v_not_b32_e32 v7, v2
	v_cmp_gt_i32_e64 s10, 0, v2
	v_not_b32_e32 v2, v4
	v_and_b32_e32 v1, 0xff, v29
	v_cmp_ne_u32_e64 s9, 0, v3
	v_ashrrev_i32_e32 v7, 31, v7
	v_lshlrev_b32_e32 v3, 26, v29
	v_ashrrev_i32_e32 v2, 31, v2
	v_mul_u32_u24_e32 v1, 10, v1
	v_xor_b32_e32 v0, s9, v0
	v_cmp_gt_i32_e64 s9, 0, v4
	v_not_b32_e32 v4, v5
	v_xor_b32_e32 v7, s10, v7
	v_cmp_gt_i32_e64 s10, 0, v5
	v_and_b32_e32 v0, exec_lo, v0
	v_not_b32_e32 v5, v6
	v_ashrrev_i32_e32 v4, 31, v4
	v_xor_b32_e32 v2, s9, v2
	v_cmp_gt_i32_e64 s9, 0, v6
	v_and_b32_e32 v0, v0, v7
	v_lshlrev_b32_e32 v7, 25, v29
	v_ashrrev_i32_e32 v5, 31, v5
	v_xor_b32_e32 v4, s10, v4
	v_not_b32_e32 v6, v3
	v_and_b32_e32 v0, v0, v2
	v_lshlrev_b32_e32 v2, 24, v29
	v_not_b32_e32 v48, v7
	v_xor_b32_e32 v5, s9, v5
	v_cmp_gt_i32_e64 s9, 0, v3
	v_and_b32_e32 v0, v0, v4
	v_ashrrev_i32_e32 v3, 31, v6
	v_cmp_gt_i32_e64 s10, 0, v7
	v_ashrrev_i32_e32 v4, 31, v48
	v_add_lshl_u32 v1, v21, v1, 2
	v_and_b32_e32 v0, v0, v5
	v_not_b32_e32 v5, v2
	v_xor_b32_e32 v3, s9, v3
	v_xor_b32_e32 v4, s10, v4
	v_cmp_gt_i32_e64 s9, 0, v2
	s_delay_alu instid0(VALU_DEP_4) | instskip(NEXT) | instid1(VALU_DEP_4)
	v_ashrrev_i32_e32 v2, 31, v5
	v_and_b32_e32 v0, v0, v3
	; wave barrier
	ds_load_b32 v48, v1 offset:40
	v_add_nc_u32_e32 v50, 40, v1
	v_xor_b32_e32 v2, s9, v2
	v_and_b32_e32 v0, v0, v4
	; wave barrier
	s_delay_alu instid0(VALU_DEP_1) | instskip(NEXT) | instid1(VALU_DEP_1)
	v_and_b32_e32 v0, v0, v2
	v_mbcnt_lo_u32_b32 v49, v0, 0
	v_cmp_ne_u32_e64 s10, 0, v0
	s_delay_alu instid0(VALU_DEP_2) | instskip(NEXT) | instid1(VALU_DEP_1)
	v_cmp_eq_u32_e64 s9, 0, v49
	s_and_b32 s10, s10, s9
	s_delay_alu instid0(SALU_CYCLE_1)
	s_and_saveexec_b32 s9, s10
	s_cbranch_execz .LBB86_16
; %bb.15:                               ;   in Loop: Header=BB86_2 Depth=1
	s_waitcnt lgkmcnt(0)
	v_bcnt_u32_b32 v0, v0, v48
	ds_store_b32 v50, v0
.LBB86_16:                              ;   in Loop: Header=BB86_2 Depth=1
	s_or_b32 exec_lo, exec_lo, s9
	v_and_b32_e32 v0, 1, v30
	v_lshlrev_b32_e32 v2, 30, v30
	v_lshlrev_b32_e32 v4, 29, v30
	;; [unrolled: 1-line block ×4, first 2 shown]
	v_add_co_u32 v0, s9, v0, -1
	s_delay_alu instid0(VALU_DEP_1)
	v_cndmask_b32_e64 v3, 0, 1, s9
	v_not_b32_e32 v7, v2
	v_cmp_gt_i32_e64 s10, 0, v2
	v_not_b32_e32 v2, v4
	v_and_b32_e32 v1, 0xff, v30
	v_cmp_ne_u32_e64 s9, 0, v3
	v_ashrrev_i32_e32 v7, 31, v7
	v_lshlrev_b32_e32 v3, 26, v30
	v_ashrrev_i32_e32 v2, 31, v2
	v_mul_u32_u24_e32 v1, 10, v1
	v_xor_b32_e32 v0, s9, v0
	v_cmp_gt_i32_e64 s9, 0, v4
	v_not_b32_e32 v4, v5
	v_xor_b32_e32 v7, s10, v7
	v_cmp_gt_i32_e64 s10, 0, v5
	v_and_b32_e32 v0, exec_lo, v0
	v_not_b32_e32 v5, v6
	v_ashrrev_i32_e32 v4, 31, v4
	v_xor_b32_e32 v2, s9, v2
	v_cmp_gt_i32_e64 s9, 0, v6
	v_and_b32_e32 v0, v0, v7
	v_lshlrev_b32_e32 v7, 25, v30
	v_ashrrev_i32_e32 v5, 31, v5
	v_xor_b32_e32 v4, s10, v4
	v_not_b32_e32 v6, v3
	v_and_b32_e32 v0, v0, v2
	v_lshlrev_b32_e32 v2, 24, v30
	v_not_b32_e32 v51, v7
	v_xor_b32_e32 v5, s9, v5
	v_cmp_gt_i32_e64 s9, 0, v3
	v_and_b32_e32 v0, v0, v4
	v_ashrrev_i32_e32 v3, 31, v6
	v_cmp_gt_i32_e64 s10, 0, v7
	v_ashrrev_i32_e32 v4, 31, v51
	v_add_lshl_u32 v1, v21, v1, 2
	v_and_b32_e32 v0, v0, v5
	v_not_b32_e32 v5, v2
	v_xor_b32_e32 v3, s9, v3
	v_xor_b32_e32 v4, s10, v4
	v_cmp_gt_i32_e64 s9, 0, v2
	s_delay_alu instid0(VALU_DEP_4) | instskip(NEXT) | instid1(VALU_DEP_4)
	v_ashrrev_i32_e32 v2, 31, v5
	v_and_b32_e32 v0, v0, v3
	; wave barrier
	ds_load_b32 v51, v1 offset:40
	v_add_nc_u32_e32 v53, 40, v1
	v_xor_b32_e32 v2, s9, v2
	v_and_b32_e32 v0, v0, v4
	; wave barrier
	s_delay_alu instid0(VALU_DEP_1) | instskip(NEXT) | instid1(VALU_DEP_1)
	v_and_b32_e32 v0, v0, v2
	v_mbcnt_lo_u32_b32 v52, v0, 0
	v_cmp_ne_u32_e64 s10, 0, v0
	s_delay_alu instid0(VALU_DEP_2) | instskip(NEXT) | instid1(VALU_DEP_1)
	v_cmp_eq_u32_e64 s9, 0, v52
	s_and_b32 s10, s10, s9
	s_delay_alu instid0(SALU_CYCLE_1)
	s_and_saveexec_b32 s9, s10
	s_cbranch_execz .LBB86_18
; %bb.17:                               ;   in Loop: Header=BB86_2 Depth=1
	s_waitcnt lgkmcnt(0)
	v_bcnt_u32_b32 v0, v0, v51
	ds_store_b32 v53, v0
.LBB86_18:                              ;   in Loop: Header=BB86_2 Depth=1
	s_or_b32 exec_lo, exec_lo, s9
	; wave barrier
	s_waitcnt lgkmcnt(0)
	s_barrier
	buffer_gl0_inv
	ds_load_2addr_b64 v[4:7], v13 offset0:5 offset1:6
	ds_load_2addr_b64 v[0:3], v15 offset0:2 offset1:3
	s_waitcnt lgkmcnt(1)
	v_add_nc_u32_e32 v54, v5, v4
	s_delay_alu instid0(VALU_DEP_1) | instskip(SKIP_1) | instid1(VALU_DEP_1)
	v_add3_u32 v54, v54, v6, v7
	s_waitcnt lgkmcnt(0)
	v_add3_u32 v54, v54, v0, v1
	s_delay_alu instid0(VALU_DEP_1) | instskip(NEXT) | instid1(VALU_DEP_1)
	v_add3_u32 v3, v54, v2, v3
	v_mov_b32_dpp v54, v3 row_shr:1 row_mask:0xf bank_mask:0xf
	s_delay_alu instid0(VALU_DEP_1) | instskip(NEXT) | instid1(VALU_DEP_1)
	v_cndmask_b32_e64 v54, v54, 0, s0
	v_add_nc_u32_e32 v3, v54, v3
	s_delay_alu instid0(VALU_DEP_1) | instskip(NEXT) | instid1(VALU_DEP_1)
	v_mov_b32_dpp v54, v3 row_shr:2 row_mask:0xf bank_mask:0xf
	v_cndmask_b32_e64 v54, 0, v54, s1
	s_delay_alu instid0(VALU_DEP_1) | instskip(NEXT) | instid1(VALU_DEP_1)
	v_add_nc_u32_e32 v3, v3, v54
	v_mov_b32_dpp v54, v3 row_shr:4 row_mask:0xf bank_mask:0xf
	s_delay_alu instid0(VALU_DEP_1) | instskip(NEXT) | instid1(VALU_DEP_1)
	v_cndmask_b32_e64 v54, 0, v54, s2
	v_add_nc_u32_e32 v3, v3, v54
	s_delay_alu instid0(VALU_DEP_1) | instskip(NEXT) | instid1(VALU_DEP_1)
	v_mov_b32_dpp v54, v3 row_shr:8 row_mask:0xf bank_mask:0xf
	v_cndmask_b32_e64 v54, 0, v54, s3
	s_delay_alu instid0(VALU_DEP_1) | instskip(SKIP_3) | instid1(VALU_DEP_1)
	v_add_nc_u32_e32 v3, v3, v54
	ds_swizzle_b32 v54, v3 offset:swizzle(BROADCAST,32,15)
	s_waitcnt lgkmcnt(0)
	v_cndmask_b32_e64 v54, v54, 0, s4
	v_add_nc_u32_e32 v3, v3, v54
	s_and_saveexec_b32 s9, s8
	s_cbranch_execz .LBB86_20
; %bb.19:                               ;   in Loop: Header=BB86_2 Depth=1
	ds_store_b32 v18, v3
.LBB86_20:                              ;   in Loop: Header=BB86_2 Depth=1
	s_or_b32 exec_lo, exec_lo, s9
	s_waitcnt lgkmcnt(0)
	s_barrier
	buffer_gl0_inv
	s_and_saveexec_b32 s9, s5
	s_cbranch_execz .LBB86_22
; %bb.21:                               ;   in Loop: Header=BB86_2 Depth=1
	ds_load_b32 v54, v22
	s_waitcnt lgkmcnt(0)
	v_mov_b32_dpp v55, v54 row_shr:1 row_mask:0xf bank_mask:0xf
	s_delay_alu instid0(VALU_DEP_1) | instskip(NEXT) | instid1(VALU_DEP_1)
	v_cndmask_b32_e64 v55, v55, 0, s0
	v_add_nc_u32_e32 v54, v55, v54
	s_delay_alu instid0(VALU_DEP_1) | instskip(NEXT) | instid1(VALU_DEP_1)
	v_mov_b32_dpp v55, v54 row_shr:2 row_mask:0xf bank_mask:0xf
	v_cndmask_b32_e64 v55, 0, v55, s1
	s_delay_alu instid0(VALU_DEP_1) | instskip(NEXT) | instid1(VALU_DEP_1)
	v_add_nc_u32_e32 v54, v54, v55
	v_mov_b32_dpp v55, v54 row_shr:4 row_mask:0xf bank_mask:0xf
	s_delay_alu instid0(VALU_DEP_1) | instskip(NEXT) | instid1(VALU_DEP_1)
	v_cndmask_b32_e64 v55, 0, v55, s2
	v_add_nc_u32_e32 v54, v54, v55
	s_delay_alu instid0(VALU_DEP_1) | instskip(NEXT) | instid1(VALU_DEP_1)
	v_mov_b32_dpp v55, v54 row_shr:8 row_mask:0xf bank_mask:0xf
	v_cndmask_b32_e64 v55, 0, v55, s3
	s_delay_alu instid0(VALU_DEP_1)
	v_add_nc_u32_e32 v54, v54, v55
	ds_store_b32 v22, v54
.LBB86_22:                              ;   in Loop: Header=BB86_2 Depth=1
	s_or_b32 exec_lo, exec_lo, s9
	v_mov_b32_e32 v54, 0
	s_waitcnt lgkmcnt(0)
	s_barrier
	buffer_gl0_inv
	s_and_saveexec_b32 s9, s6
	s_cbranch_execz .LBB86_1
; %bb.23:                               ;   in Loop: Header=BB86_2 Depth=1
	ds_load_b32 v54, v20
	s_branch .LBB86_1
.LBB86_24:
	s_add_u32 s0, s18, s11
	s_addc_u32 s1, s19, 0
	v_add_co_u32 v8, s0, s0, v8
	s_delay_alu instid0(VALU_DEP_1)
	v_add_co_ci_u32_e64 v9, null, s1, 0, s0
	s_clause 0x7
	global_store_b8 v[8:9], v0, off
	global_store_b8 v[8:9], v5, off offset:320
	global_store_b8 v[8:9], v6, off offset:640
	;; [unrolled: 1-line block ×7, first 2 shown]
	s_nop 0
	s_sendmsg sendmsg(MSG_DEALLOC_VGPRS)
	s_endpgm
	.section	.rodata,"a",@progbits
	.p2align	6, 0x0
	.amdhsa_kernel _Z16sort_keys_kernelI22helper_blocked_blockedaLj320ELj8ELj10EEvPKT0_PS1_
		.amdhsa_group_segment_fixed_size 10288
		.amdhsa_private_segment_fixed_size 0
		.amdhsa_kernarg_size 272
		.amdhsa_user_sgpr_count 15
		.amdhsa_user_sgpr_dispatch_ptr 0
		.amdhsa_user_sgpr_queue_ptr 0
		.amdhsa_user_sgpr_kernarg_segment_ptr 1
		.amdhsa_user_sgpr_dispatch_id 0
		.amdhsa_user_sgpr_private_segment_size 0
		.amdhsa_wavefront_size32 1
		.amdhsa_uses_dynamic_stack 0
		.amdhsa_enable_private_segment 0
		.amdhsa_system_sgpr_workgroup_id_x 1
		.amdhsa_system_sgpr_workgroup_id_y 0
		.amdhsa_system_sgpr_workgroup_id_z 0
		.amdhsa_system_sgpr_workgroup_info 0
		.amdhsa_system_vgpr_workitem_id 2
		.amdhsa_next_free_vgpr 56
		.amdhsa_next_free_sgpr 20
		.amdhsa_reserve_vcc 1
		.amdhsa_float_round_mode_32 0
		.amdhsa_float_round_mode_16_64 0
		.amdhsa_float_denorm_mode_32 3
		.amdhsa_float_denorm_mode_16_64 3
		.amdhsa_dx10_clamp 1
		.amdhsa_ieee_mode 1
		.amdhsa_fp16_overflow 0
		.amdhsa_workgroup_processor_mode 1
		.amdhsa_memory_ordered 1
		.amdhsa_forward_progress 0
		.amdhsa_shared_vgpr_count 0
		.amdhsa_exception_fp_ieee_invalid_op 0
		.amdhsa_exception_fp_denorm_src 0
		.amdhsa_exception_fp_ieee_div_zero 0
		.amdhsa_exception_fp_ieee_overflow 0
		.amdhsa_exception_fp_ieee_underflow 0
		.amdhsa_exception_fp_ieee_inexact 0
		.amdhsa_exception_int_div_zero 0
	.end_amdhsa_kernel
	.section	.text._Z16sort_keys_kernelI22helper_blocked_blockedaLj320ELj8ELj10EEvPKT0_PS1_,"axG",@progbits,_Z16sort_keys_kernelI22helper_blocked_blockedaLj320ELj8ELj10EEvPKT0_PS1_,comdat
.Lfunc_end86:
	.size	_Z16sort_keys_kernelI22helper_blocked_blockedaLj320ELj8ELj10EEvPKT0_PS1_, .Lfunc_end86-_Z16sort_keys_kernelI22helper_blocked_blockedaLj320ELj8ELj10EEvPKT0_PS1_
                                        ; -- End function
	.section	.AMDGPU.csdata,"",@progbits
; Kernel info:
; codeLenInByte = 4720
; NumSgprs: 22
; NumVgprs: 56
; ScratchSize: 0
; MemoryBound: 0
; FloatMode: 240
; IeeeMode: 1
; LDSByteSize: 10288 bytes/workgroup (compile time only)
; SGPRBlocks: 2
; VGPRBlocks: 6
; NumSGPRsForWavesPerEU: 22
; NumVGPRsForWavesPerEU: 56
; Occupancy: 15
; WaveLimiterHint : 1
; COMPUTE_PGM_RSRC2:SCRATCH_EN: 0
; COMPUTE_PGM_RSRC2:USER_SGPR: 15
; COMPUTE_PGM_RSRC2:TRAP_HANDLER: 0
; COMPUTE_PGM_RSRC2:TGID_X_EN: 1
; COMPUTE_PGM_RSRC2:TGID_Y_EN: 0
; COMPUTE_PGM_RSRC2:TGID_Z_EN: 0
; COMPUTE_PGM_RSRC2:TIDIG_COMP_CNT: 2
	.section	.text._Z17sort_pairs_kernelI22helper_blocked_blockedaLj320ELj8ELj10EEvPKT0_PS1_,"axG",@progbits,_Z17sort_pairs_kernelI22helper_blocked_blockedaLj320ELj8ELj10EEvPKT0_PS1_,comdat
	.protected	_Z17sort_pairs_kernelI22helper_blocked_blockedaLj320ELj8ELj10EEvPKT0_PS1_ ; -- Begin function _Z17sort_pairs_kernelI22helper_blocked_blockedaLj320ELj8ELj10EEvPKT0_PS1_
	.globl	_Z17sort_pairs_kernelI22helper_blocked_blockedaLj320ELj8ELj10EEvPKT0_PS1_
	.p2align	8
	.type	_Z17sort_pairs_kernelI22helper_blocked_blockedaLj320ELj8ELj10EEvPKT0_PS1_,@function
_Z17sort_pairs_kernelI22helper_blocked_blockedaLj320ELj8ELj10EEvPKT0_PS1_: ; @_Z17sort_pairs_kernelI22helper_blocked_blockedaLj320ELj8ELj10EEvPKT0_PS1_
; %bb.0:
	s_clause 0x1
	s_load_b128 s[16:19], s[0:1], 0x0
	s_load_b32 s8, s[0:1], 0x1c
	s_mul_i32 s11, s15, 0xa00
	v_and_b32_e32 v8, 0x3ff, v0
	v_mbcnt_lo_u32_b32 v1, -1, 0
	v_bfe_u32 v20, v0, 10, 10
	v_bfe_u32 v0, v0, 20, 10
	s_mov_b32 s12, 10
	s_delay_alu instid0(VALU_DEP_3) | instskip(SKIP_3) | instid1(VALU_DEP_4)
	v_add_nc_u32_e32 v16, -1, v1
	v_and_b32_e32 v14, 15, v1
	v_cmp_eq_u32_e32 vcc_lo, 0, v1
	v_and_b32_e32 v15, 16, v1
	v_cmp_gt_i32_e64 s7, 0, v16
	s_delay_alu instid0(VALU_DEP_2) | instskip(NEXT) | instid1(VALU_DEP_2)
	v_cmp_eq_u32_e64 s4, 0, v15
	v_cndmask_b32_e64 v16, v16, v1, s7
	s_waitcnt lgkmcnt(0)
	s_add_u32 s0, s16, s11
	s_addc_u32 s1, s17, 0
	s_clause 0x7
	global_load_u8 v2, v8, s[0:1]
	global_load_u8 v3, v8, s[0:1] offset:640
	global_load_u8 v4, v8, s[0:1] offset:1280
	;; [unrolled: 1-line block ×7, first 2 shown]
	s_mov_b32 s0, 0
	s_lshr_b32 s9, s8, 16
	s_mov_b32 s1, s0
	s_mov_b32 s2, s0
	;; [unrolled: 1-line block ×3, first 2 shown]
	v_dual_mov_b32 v10, s1 :: v_dual_mov_b32 v9, s0
	v_lshlrev_b32_e32 v17, 3, v8
	v_and_b32_e32 v18, 0x1e0, v8
	v_dual_mov_b32 v12, s3 :: v_dual_mov_b32 v11, s2
	v_cmp_eq_u32_e64 s0, 0, v14
	v_cmp_lt_u32_e64 s1, 1, v14
	v_cmp_lt_u32_e64 s2, 3, v14
	;; [unrolled: 1-line block ×3, first 2 shown]
	v_lshrrev_b32_e32 v19, 3, v8
	v_or_b32_e32 v24, v1, v18
	v_and_or_b32 v14, 0xf00, v17, v1
	v_min_u32_e32 v1, 0x120, v18
	v_lshlrev_b32_e32 v13, 5, v8
	v_and_b32_e32 v18, 60, v19
	v_lshlrev_b32_e32 v19, 3, v24
	v_mad_u32_u24 v24, v0, s9, v20
	v_or_b32_e32 v1, 31, v1
	s_and_b32 s9, s8, 0xffff
	v_lshlrev_b32_e32 v23, 2, v8
	v_mad_i32_i24 v17, 0xffffffe8, v8, v13
	v_cmp_gt_u32_e64 s5, 10, v8
	v_cmp_eq_u32_e64 s8, v1, v8
	v_mad_u64_u32 v[0:1], null, v24, s9, v[8:9]
	v_sub_nc_u32_e32 v23, 0, v23
	v_cmp_lt_u32_e64 s6, 31, v8
	v_cmp_eq_u32_e64 s7, 0, v8
	v_add_nc_u32_e32 v15, 40, v13
	v_lshlrev_b32_e32 v16, 2, v16
	v_add_nc_u32_e32 v20, -4, v18
	s_waitcnt vmcnt(7)
	v_add_nc_u16 v1, v2, 1
	s_waitcnt vmcnt(6)
	v_add_nc_u16 v24, v3, 1
	;; [unrolled: 2-line block ×3, first 2 shown]
	s_waitcnt vmcnt(4)
	v_lshlrev_b16 v5, 8, v5
	s_waitcnt vmcnt(3)
	v_lshlrev_b16 v6, 8, v6
	s_waitcnt vmcnt(2)
	v_lshlrev_b16 v7, 8, v7
	s_waitcnt vmcnt(1)
	v_lshlrev_b16 v21, 8, v21
	s_waitcnt vmcnt(0)
	v_add_nc_u16 v26, v22, 1
	v_and_b32_e32 v1, 0xff, v1
	v_and_b32_e32 v24, 0xff, v24
	;; [unrolled: 1-line block ×3, first 2 shown]
	v_or_b32_e32 v2, v2, v5
	v_and_b32_e32 v26, 0xff, v26
	v_or_b32_e32 v3, v3, v6
	v_or_b32_e32 v4, v4, v7
	;; [unrolled: 1-line block ×7, first 2 shown]
	v_add_nc_u16 v1, v1, 0x100
	v_add_nc_u16 v5, v5, 0x100
	;; [unrolled: 1-line block ×4, first 2 shown]
	v_and_b32_e32 v2, 0xffff, v2
	v_lshlrev_b32_e32 v3, 16, v3
	v_and_b32_e32 v4, 0xffff, v4
	v_lshlrev_b32_e32 v22, 16, v22
	;; [unrolled: 2-line block ×4, first 2 shown]
	v_lshrrev_b32_e32 v21, 5, v0
	v_or_b32_e32 v25, v2, v3
	v_or_b32_e32 v26, v4, v22
	v_or_b32_e32 v0, v1, v5
	v_or_b32_e32 v1, v6, v7
	v_add_nc_u32_e32 v22, v17, v23
	s_branch .LBB87_2
.LBB87_1:                               ;   in Loop: Header=BB87_2 Depth=1
	s_or_b32 exec_lo, exec_lo, s9
	s_waitcnt lgkmcnt(0)
	v_add_nc_u32_e32 v3, v62, v3
	s_add_i32 s12, s12, -1
	s_delay_alu instid0(SALU_CYCLE_1) | instskip(SKIP_3) | instid1(VALU_DEP_1)
	s_cmp_eq_u32 s12, 0
	ds_bpermute_b32 v3, v16, v3
	s_waitcnt lgkmcnt(0)
	v_cndmask_b32_e32 v3, v3, v62, vcc_lo
	v_cndmask_b32_e64 v3, v3, 0, s7
	s_delay_alu instid0(VALU_DEP_1) | instskip(NEXT) | instid1(VALU_DEP_1)
	v_add_nc_u32_e32 v4, v3, v4
	v_add_nc_u32_e32 v5, v4, v5
	s_delay_alu instid0(VALU_DEP_1) | instskip(NEXT) | instid1(VALU_DEP_1)
	v_add_nc_u32_e32 v6, v5, v6
	v_add_nc_u32_e32 v62, v6, v7
	;; [unrolled: 3-line block ×3, first 2 shown]
	s_delay_alu instid0(VALU_DEP_1)
	v_add_nc_u32_e32 v1, v0, v2
	ds_store_2addr_b64 v13, v[3:4], v[5:6] offset0:5 offset1:6
	ds_store_2addr_b64 v15, v[62:63], v[0:1] offset0:2 offset1:3
	s_waitcnt lgkmcnt(0)
	s_barrier
	buffer_gl0_inv
	ds_load_b32 v0, v40
	ds_load_b32 v1, v43
	;; [unrolled: 1-line block ×8, first 2 shown]
	s_waitcnt lgkmcnt(0)
	s_barrier
	buffer_gl0_inv
	v_add_nc_u32_e32 v39, v0, v39
	v_add3_u32 v40, v42, v41, v1
	v_add3_u32 v2, v45, v44, v2
	;; [unrolled: 1-line block ×7, first 2 shown]
	ds_store_b8 v39, v23
	ds_store_b8 v40, v24
	;; [unrolled: 1-line block ×8, first 2 shown]
	s_waitcnt lgkmcnt(0)
	s_barrier
	buffer_gl0_inv
	ds_load_b64 v[0:1], v17
	s_waitcnt lgkmcnt(0)
	s_barrier
	buffer_gl0_inv
	ds_store_b8 v39, v31
	ds_store_b8 v40, v32
	;; [unrolled: 1-line block ×8, first 2 shown]
	s_waitcnt lgkmcnt(0)
	s_barrier
	buffer_gl0_inv
	v_lshrrev_b32_e32 v3, 8, v0
	v_lshrrev_b32_e32 v4, 16, v0
	v_lshrrev_b32_e32 v5, 24, v0
	v_lshrrev_b32_e32 v25, 8, v1
	v_lshrrev_b32_e32 v26, 16, v1
	v_lshrrev_b32_e32 v27, 24, v1
	v_xor_b32_e32 v6, 0xffffff80, v0
	v_xor_b32_e32 v2, 0xffffff80, v1
	;; [unrolled: 1-line block ×8, first 2 shown]
	v_and_b32_e32 v25, 0xff, v6
	v_and_b32_e32 v26, 0xff, v2
	v_lshlrev_b16 v27, 8, v7
	v_lshlrev_b16 v28, 8, v24
	v_and_b32_e32 v29, 0xff, v23
	v_lshlrev_b16 v30, 8, v3
	v_lshlrev_b16 v31, 8, v5
	v_and_b32_e32 v32, 0xff, v4
	ds_load_b64 v[0:1], v17
	v_or_b32_e32 v25, v25, v27
	v_or_b32_e32 v27, v29, v28
	;; [unrolled: 1-line block ×4, first 2 shown]
	s_delay_alu instid0(VALU_DEP_4) | instskip(NEXT) | instid1(VALU_DEP_4)
	v_and_b32_e32 v25, 0xffff, v25
	v_lshlrev_b32_e32 v27, 16, v27
	s_delay_alu instid0(VALU_DEP_4) | instskip(NEXT) | instid1(VALU_DEP_4)
	v_and_b32_e32 v26, 0xffff, v26
	v_lshlrev_b32_e32 v28, 16, v28
	s_delay_alu instid0(VALU_DEP_3) | instskip(NEXT) | instid1(VALU_DEP_2)
	v_or_b32_e32 v25, v25, v27
	v_or_b32_e32 v26, v26, v28
	s_cbranch_scc1 .LBB87_24
.LBB87_2:                               ; =>This Inner Loop Header: Depth=1
	s_delay_alu instid0(VALU_DEP_1) | instskip(NEXT) | instid1(VALU_DEP_3)
	v_lshrrev_b32_e32 v2, 16, v26
	v_lshrrev_b32_e32 v3, 16, v25
	v_xor_b32_e32 v4, 0x80, v26
	v_xor_b32_e32 v23, 0x80, v25
	v_and_b32_e32 v5, 0xffffff00, v26
	v_xor_b32_e32 v7, 0x80, v2
	v_xor_b32_e32 v24, 0x80, v3
	v_and_b32_e32 v6, 0xffffff00, v25
	v_and_b32_e32 v4, 0xff, v4
	;; [unrolled: 1-line block ×7, first 2 shown]
	v_or_b32_e32 v4, v4, v5
	v_or_b32_e32 v2, v7, v2
	;; [unrolled: 1-line block ×3, first 2 shown]
	s_delay_alu instid0(VALU_DEP_4) | instskip(NEXT) | instid1(VALU_DEP_4)
	v_or_b32_e32 v3, v24, v3
	v_add_nc_u16 v4, v4, 0x8000
	s_delay_alu instid0(VALU_DEP_4) | instskip(NEXT) | instid1(VALU_DEP_4)
	v_add_nc_u16 v2, v2, 0x8000
	v_add_nc_u16 v5, v5, 0x8000
	s_delay_alu instid0(VALU_DEP_4) | instskip(NEXT) | instid1(VALU_DEP_4)
	v_add_nc_u16 v3, v3, 0x8000
	v_and_b32_e32 v4, 0xffff, v4
	s_delay_alu instid0(VALU_DEP_4) | instskip(NEXT) | instid1(VALU_DEP_4)
	v_lshlrev_b32_e32 v2, 16, v2
	v_and_b32_e32 v5, 0xffff, v5
	s_delay_alu instid0(VALU_DEP_4) | instskip(NEXT) | instid1(VALU_DEP_3)
	v_lshlrev_b32_e32 v6, 16, v3
	v_or_b32_e32 v3, v4, v2
	s_delay_alu instid0(VALU_DEP_2)
	v_or_b32_e32 v2, v5, v6
	ds_store_b64 v19, v[2:3]
	; wave barrier
	ds_load_u8 v23, v14
	ds_load_u8 v24, v14 offset:32
	ds_load_u8 v25, v14 offset:64
	;; [unrolled: 1-line block ×7, first 2 shown]
	; wave barrier
	s_waitcnt lgkmcnt(9)
	ds_store_b64 v19, v[0:1]
	; wave barrier
	s_waitcnt lgkmcnt(8)
	v_and_b32_e32 v2, 1, v23
	v_lshlrev_b32_e32 v3, 30, v23
	v_lshlrev_b32_e32 v4, 29, v23
	;; [unrolled: 1-line block ×4, first 2 shown]
	v_add_co_u32 v2, s9, v2, -1
	s_delay_alu instid0(VALU_DEP_1)
	v_cndmask_b32_e64 v6, 0, 1, s9
	v_not_b32_e32 v33, v3
	v_cmp_gt_i32_e64 s10, 0, v3
	v_not_b32_e32 v3, v4
	v_lshlrev_b32_e32 v31, 26, v23
	v_cmp_ne_u32_e64 s9, 0, v6
	v_ashrrev_i32_e32 v33, 31, v33
	v_lshlrev_b32_e32 v32, 25, v23
	v_ashrrev_i32_e32 v3, 31, v3
	v_lshlrev_b32_e32 v6, 24, v23
	v_xor_b32_e32 v2, s9, v2
	v_cmp_gt_i32_e64 s9, 0, v4
	v_not_b32_e32 v4, v5
	v_xor_b32_e32 v33, s10, v33
	v_cmp_gt_i32_e64 s10, 0, v5
	v_and_b32_e32 v2, exec_lo, v2
	v_not_b32_e32 v5, v7
	v_ashrrev_i32_e32 v4, 31, v4
	v_xor_b32_e32 v3, s9, v3
	v_cmp_gt_i32_e64 s9, 0, v7
	v_and_b32_e32 v2, v2, v33
	v_not_b32_e32 v7, v31
	v_ashrrev_i32_e32 v5, 31, v5
	v_xor_b32_e32 v4, s10, v4
	v_cmp_gt_i32_e64 s10, 0, v31
	v_and_b32_e32 v2, v2, v3
	;; [unrolled: 5-line block ×4, first 2 shown]
	v_ashrrev_i32_e32 v4, 31, v4
	v_xor_b32_e32 v3, s9, v3
	ds_load_u8 v31, v14
	ds_load_u8 v32, v14 offset:32
	ds_load_u8 v33, v14 offset:64
	;; [unrolled: 1-line block ×7, first 2 shown]
	s_waitcnt lgkmcnt(0)
	v_and_b32_e32 v2, v2, v7
	v_xor_b32_e32 v0, s10, v4
	s_barrier
	buffer_gl0_inv
	ds_store_2addr_b64 v13, v[9:10], v[11:12] offset0:5 offset1:6
	ds_store_2addr_b64 v15, v[9:10], v[11:12] offset0:2 offset1:3
	v_and_b32_e32 v1, v2, v3
	s_waitcnt lgkmcnt(0)
	s_barrier
	buffer_gl0_inv
	v_and_b32_e32 v0, v1, v0
	v_and_b32_e32 v1, 0xff, v23
	; wave barrier
	s_delay_alu instid0(VALU_DEP_2) | instskip(NEXT) | instid1(VALU_DEP_2)
	v_mbcnt_lo_u32_b32 v39, v0, 0
	v_mad_u32_u24 v1, v1, 10, v21
	v_cmp_ne_u32_e64 s10, 0, v0
	s_delay_alu instid0(VALU_DEP_3) | instskip(NEXT) | instid1(VALU_DEP_3)
	v_cmp_eq_u32_e64 s9, 0, v39
	v_lshl_add_u32 v40, v1, 2, 40
	s_delay_alu instid0(VALU_DEP_2) | instskip(NEXT) | instid1(SALU_CYCLE_1)
	s_and_b32 s10, s10, s9
	s_and_saveexec_b32 s9, s10
	s_cbranch_execz .LBB87_4
; %bb.3:                                ;   in Loop: Header=BB87_2 Depth=1
	v_bcnt_u32_b32 v0, v0, 0
	ds_store_b32 v40, v0
.LBB87_4:                               ;   in Loop: Header=BB87_2 Depth=1
	s_or_b32 exec_lo, exec_lo, s9
	v_and_b32_e32 v0, 1, v24
	v_lshlrev_b32_e32 v2, 30, v24
	v_lshlrev_b32_e32 v4, 29, v24
	;; [unrolled: 1-line block ×4, first 2 shown]
	v_add_co_u32 v0, s9, v0, -1
	s_delay_alu instid0(VALU_DEP_1)
	v_cndmask_b32_e64 v3, 0, 1, s9
	v_not_b32_e32 v7, v2
	v_cmp_gt_i32_e64 s10, 0, v2
	v_not_b32_e32 v2, v4
	v_and_b32_e32 v1, 0xff, v24
	v_cmp_ne_u32_e64 s9, 0, v3
	v_ashrrev_i32_e32 v7, 31, v7
	v_lshlrev_b32_e32 v3, 26, v24
	v_ashrrev_i32_e32 v2, 31, v2
	v_mul_u32_u24_e32 v1, 10, v1
	v_xor_b32_e32 v0, s9, v0
	v_cmp_gt_i32_e64 s9, 0, v4
	v_not_b32_e32 v4, v5
	v_xor_b32_e32 v7, s10, v7
	v_cmp_gt_i32_e64 s10, 0, v5
	v_and_b32_e32 v0, exec_lo, v0
	v_not_b32_e32 v5, v6
	v_ashrrev_i32_e32 v4, 31, v4
	v_xor_b32_e32 v2, s9, v2
	v_cmp_gt_i32_e64 s9, 0, v6
	v_and_b32_e32 v0, v0, v7
	v_lshlrev_b32_e32 v7, 25, v24
	v_ashrrev_i32_e32 v5, 31, v5
	v_xor_b32_e32 v4, s10, v4
	v_not_b32_e32 v6, v3
	v_and_b32_e32 v0, v0, v2
	v_lshlrev_b32_e32 v2, 24, v24
	v_not_b32_e32 v41, v7
	v_xor_b32_e32 v5, s9, v5
	v_cmp_gt_i32_e64 s9, 0, v3
	v_and_b32_e32 v0, v0, v4
	v_ashrrev_i32_e32 v3, 31, v6
	v_cmp_gt_i32_e64 s10, 0, v7
	v_ashrrev_i32_e32 v4, 31, v41
	v_add_lshl_u32 v1, v21, v1, 2
	v_and_b32_e32 v0, v0, v5
	v_not_b32_e32 v5, v2
	v_xor_b32_e32 v3, s9, v3
	v_xor_b32_e32 v4, s10, v4
	v_cmp_gt_i32_e64 s9, 0, v2
	s_delay_alu instid0(VALU_DEP_4) | instskip(NEXT) | instid1(VALU_DEP_4)
	v_ashrrev_i32_e32 v2, 31, v5
	v_and_b32_e32 v0, v0, v3
	; wave barrier
	ds_load_b32 v41, v1 offset:40
	v_add_nc_u32_e32 v43, 40, v1
	v_xor_b32_e32 v2, s9, v2
	v_and_b32_e32 v0, v0, v4
	; wave barrier
	s_delay_alu instid0(VALU_DEP_1) | instskip(NEXT) | instid1(VALU_DEP_1)
	v_and_b32_e32 v0, v0, v2
	v_mbcnt_lo_u32_b32 v42, v0, 0
	v_cmp_ne_u32_e64 s10, 0, v0
	s_delay_alu instid0(VALU_DEP_2) | instskip(NEXT) | instid1(VALU_DEP_1)
	v_cmp_eq_u32_e64 s9, 0, v42
	s_and_b32 s10, s10, s9
	s_delay_alu instid0(SALU_CYCLE_1)
	s_and_saveexec_b32 s9, s10
	s_cbranch_execz .LBB87_6
; %bb.5:                                ;   in Loop: Header=BB87_2 Depth=1
	s_waitcnt lgkmcnt(0)
	v_bcnt_u32_b32 v0, v0, v41
	ds_store_b32 v43, v0
.LBB87_6:                               ;   in Loop: Header=BB87_2 Depth=1
	s_or_b32 exec_lo, exec_lo, s9
	v_and_b32_e32 v0, 1, v25
	v_lshlrev_b32_e32 v2, 30, v25
	v_lshlrev_b32_e32 v4, 29, v25
	;; [unrolled: 1-line block ×4, first 2 shown]
	v_add_co_u32 v0, s9, v0, -1
	s_delay_alu instid0(VALU_DEP_1)
	v_cndmask_b32_e64 v3, 0, 1, s9
	v_not_b32_e32 v7, v2
	v_cmp_gt_i32_e64 s10, 0, v2
	v_not_b32_e32 v2, v4
	v_and_b32_e32 v1, 0xff, v25
	v_cmp_ne_u32_e64 s9, 0, v3
	v_ashrrev_i32_e32 v7, 31, v7
	v_lshlrev_b32_e32 v3, 26, v25
	v_ashrrev_i32_e32 v2, 31, v2
	v_mul_u32_u24_e32 v1, 10, v1
	v_xor_b32_e32 v0, s9, v0
	v_cmp_gt_i32_e64 s9, 0, v4
	v_not_b32_e32 v4, v5
	v_xor_b32_e32 v7, s10, v7
	v_cmp_gt_i32_e64 s10, 0, v5
	v_and_b32_e32 v0, exec_lo, v0
	v_not_b32_e32 v5, v6
	v_ashrrev_i32_e32 v4, 31, v4
	v_xor_b32_e32 v2, s9, v2
	v_cmp_gt_i32_e64 s9, 0, v6
	v_and_b32_e32 v0, v0, v7
	v_lshlrev_b32_e32 v7, 25, v25
	v_ashrrev_i32_e32 v5, 31, v5
	v_xor_b32_e32 v4, s10, v4
	v_not_b32_e32 v6, v3
	v_and_b32_e32 v0, v0, v2
	v_lshlrev_b32_e32 v2, 24, v25
	v_not_b32_e32 v44, v7
	v_xor_b32_e32 v5, s9, v5
	v_cmp_gt_i32_e64 s9, 0, v3
	v_and_b32_e32 v0, v0, v4
	v_ashrrev_i32_e32 v3, 31, v6
	v_cmp_gt_i32_e64 s10, 0, v7
	v_ashrrev_i32_e32 v4, 31, v44
	v_add_lshl_u32 v1, v21, v1, 2
	v_and_b32_e32 v0, v0, v5
	v_not_b32_e32 v5, v2
	v_xor_b32_e32 v3, s9, v3
	v_xor_b32_e32 v4, s10, v4
	v_cmp_gt_i32_e64 s9, 0, v2
	s_delay_alu instid0(VALU_DEP_4) | instskip(NEXT) | instid1(VALU_DEP_4)
	v_ashrrev_i32_e32 v2, 31, v5
	v_and_b32_e32 v0, v0, v3
	; wave barrier
	ds_load_b32 v44, v1 offset:40
	v_add_nc_u32_e32 v46, 40, v1
	v_xor_b32_e32 v2, s9, v2
	v_and_b32_e32 v0, v0, v4
	; wave barrier
	s_delay_alu instid0(VALU_DEP_1) | instskip(NEXT) | instid1(VALU_DEP_1)
	v_and_b32_e32 v0, v0, v2
	v_mbcnt_lo_u32_b32 v45, v0, 0
	v_cmp_ne_u32_e64 s10, 0, v0
	s_delay_alu instid0(VALU_DEP_2) | instskip(NEXT) | instid1(VALU_DEP_1)
	v_cmp_eq_u32_e64 s9, 0, v45
	s_and_b32 s10, s10, s9
	s_delay_alu instid0(SALU_CYCLE_1)
	s_and_saveexec_b32 s9, s10
	s_cbranch_execz .LBB87_8
; %bb.7:                                ;   in Loop: Header=BB87_2 Depth=1
	s_waitcnt lgkmcnt(0)
	v_bcnt_u32_b32 v0, v0, v44
	ds_store_b32 v46, v0
.LBB87_8:                               ;   in Loop: Header=BB87_2 Depth=1
	s_or_b32 exec_lo, exec_lo, s9
	v_and_b32_e32 v0, 1, v26
	v_lshlrev_b32_e32 v2, 30, v26
	v_lshlrev_b32_e32 v4, 29, v26
	;; [unrolled: 1-line block ×4, first 2 shown]
	v_add_co_u32 v0, s9, v0, -1
	s_delay_alu instid0(VALU_DEP_1)
	v_cndmask_b32_e64 v3, 0, 1, s9
	v_not_b32_e32 v7, v2
	v_cmp_gt_i32_e64 s10, 0, v2
	v_not_b32_e32 v2, v4
	v_and_b32_e32 v1, 0xff, v26
	v_cmp_ne_u32_e64 s9, 0, v3
	v_ashrrev_i32_e32 v7, 31, v7
	v_lshlrev_b32_e32 v3, 26, v26
	v_ashrrev_i32_e32 v2, 31, v2
	v_mul_u32_u24_e32 v1, 10, v1
	v_xor_b32_e32 v0, s9, v0
	v_cmp_gt_i32_e64 s9, 0, v4
	v_not_b32_e32 v4, v5
	v_xor_b32_e32 v7, s10, v7
	v_cmp_gt_i32_e64 s10, 0, v5
	v_and_b32_e32 v0, exec_lo, v0
	v_not_b32_e32 v5, v6
	v_ashrrev_i32_e32 v4, 31, v4
	v_xor_b32_e32 v2, s9, v2
	v_cmp_gt_i32_e64 s9, 0, v6
	v_and_b32_e32 v0, v0, v7
	v_lshlrev_b32_e32 v7, 25, v26
	v_ashrrev_i32_e32 v5, 31, v5
	v_xor_b32_e32 v4, s10, v4
	v_not_b32_e32 v6, v3
	v_and_b32_e32 v0, v0, v2
	v_lshlrev_b32_e32 v2, 24, v26
	v_not_b32_e32 v47, v7
	v_xor_b32_e32 v5, s9, v5
	v_cmp_gt_i32_e64 s9, 0, v3
	v_and_b32_e32 v0, v0, v4
	v_ashrrev_i32_e32 v3, 31, v6
	v_cmp_gt_i32_e64 s10, 0, v7
	v_ashrrev_i32_e32 v4, 31, v47
	v_add_lshl_u32 v1, v21, v1, 2
	v_and_b32_e32 v0, v0, v5
	v_not_b32_e32 v5, v2
	v_xor_b32_e32 v3, s9, v3
	v_xor_b32_e32 v4, s10, v4
	v_cmp_gt_i32_e64 s9, 0, v2
	s_delay_alu instid0(VALU_DEP_4) | instskip(NEXT) | instid1(VALU_DEP_4)
	v_ashrrev_i32_e32 v2, 31, v5
	v_and_b32_e32 v0, v0, v3
	; wave barrier
	ds_load_b32 v47, v1 offset:40
	v_add_nc_u32_e32 v49, 40, v1
	v_xor_b32_e32 v2, s9, v2
	v_and_b32_e32 v0, v0, v4
	; wave barrier
	s_delay_alu instid0(VALU_DEP_1) | instskip(NEXT) | instid1(VALU_DEP_1)
	v_and_b32_e32 v0, v0, v2
	v_mbcnt_lo_u32_b32 v48, v0, 0
	v_cmp_ne_u32_e64 s10, 0, v0
	s_delay_alu instid0(VALU_DEP_2) | instskip(NEXT) | instid1(VALU_DEP_1)
	v_cmp_eq_u32_e64 s9, 0, v48
	s_and_b32 s10, s10, s9
	s_delay_alu instid0(SALU_CYCLE_1)
	s_and_saveexec_b32 s9, s10
	s_cbranch_execz .LBB87_10
; %bb.9:                                ;   in Loop: Header=BB87_2 Depth=1
	s_waitcnt lgkmcnt(0)
	v_bcnt_u32_b32 v0, v0, v47
	ds_store_b32 v49, v0
.LBB87_10:                              ;   in Loop: Header=BB87_2 Depth=1
	s_or_b32 exec_lo, exec_lo, s9
	v_and_b32_e32 v0, 1, v27
	v_lshlrev_b32_e32 v2, 30, v27
	v_lshlrev_b32_e32 v4, 29, v27
	;; [unrolled: 1-line block ×4, first 2 shown]
	v_add_co_u32 v0, s9, v0, -1
	s_delay_alu instid0(VALU_DEP_1)
	v_cndmask_b32_e64 v3, 0, 1, s9
	v_not_b32_e32 v7, v2
	v_cmp_gt_i32_e64 s10, 0, v2
	v_not_b32_e32 v2, v4
	v_and_b32_e32 v1, 0xff, v27
	v_cmp_ne_u32_e64 s9, 0, v3
	v_ashrrev_i32_e32 v7, 31, v7
	v_lshlrev_b32_e32 v3, 26, v27
	v_ashrrev_i32_e32 v2, 31, v2
	v_mul_u32_u24_e32 v1, 10, v1
	v_xor_b32_e32 v0, s9, v0
	v_cmp_gt_i32_e64 s9, 0, v4
	v_not_b32_e32 v4, v5
	v_xor_b32_e32 v7, s10, v7
	v_cmp_gt_i32_e64 s10, 0, v5
	v_and_b32_e32 v0, exec_lo, v0
	v_not_b32_e32 v5, v6
	v_ashrrev_i32_e32 v4, 31, v4
	v_xor_b32_e32 v2, s9, v2
	v_cmp_gt_i32_e64 s9, 0, v6
	v_and_b32_e32 v0, v0, v7
	v_lshlrev_b32_e32 v7, 25, v27
	v_ashrrev_i32_e32 v5, 31, v5
	v_xor_b32_e32 v4, s10, v4
	v_not_b32_e32 v6, v3
	v_and_b32_e32 v0, v0, v2
	v_lshlrev_b32_e32 v2, 24, v27
	v_not_b32_e32 v50, v7
	v_xor_b32_e32 v5, s9, v5
	v_cmp_gt_i32_e64 s9, 0, v3
	v_and_b32_e32 v0, v0, v4
	v_ashrrev_i32_e32 v3, 31, v6
	v_cmp_gt_i32_e64 s10, 0, v7
	v_ashrrev_i32_e32 v4, 31, v50
	v_add_lshl_u32 v1, v21, v1, 2
	v_and_b32_e32 v0, v0, v5
	v_not_b32_e32 v5, v2
	v_xor_b32_e32 v3, s9, v3
	v_xor_b32_e32 v4, s10, v4
	v_cmp_gt_i32_e64 s9, 0, v2
	s_delay_alu instid0(VALU_DEP_4) | instskip(NEXT) | instid1(VALU_DEP_4)
	v_ashrrev_i32_e32 v2, 31, v5
	v_and_b32_e32 v0, v0, v3
	; wave barrier
	ds_load_b32 v50, v1 offset:40
	v_add_nc_u32_e32 v52, 40, v1
	v_xor_b32_e32 v2, s9, v2
	v_and_b32_e32 v0, v0, v4
	; wave barrier
	s_delay_alu instid0(VALU_DEP_1) | instskip(NEXT) | instid1(VALU_DEP_1)
	v_and_b32_e32 v0, v0, v2
	v_mbcnt_lo_u32_b32 v51, v0, 0
	v_cmp_ne_u32_e64 s10, 0, v0
	s_delay_alu instid0(VALU_DEP_2) | instskip(NEXT) | instid1(VALU_DEP_1)
	v_cmp_eq_u32_e64 s9, 0, v51
	s_and_b32 s10, s10, s9
	s_delay_alu instid0(SALU_CYCLE_1)
	s_and_saveexec_b32 s9, s10
	s_cbranch_execz .LBB87_12
; %bb.11:                               ;   in Loop: Header=BB87_2 Depth=1
	s_waitcnt lgkmcnt(0)
	v_bcnt_u32_b32 v0, v0, v50
	ds_store_b32 v52, v0
.LBB87_12:                              ;   in Loop: Header=BB87_2 Depth=1
	s_or_b32 exec_lo, exec_lo, s9
	v_and_b32_e32 v0, 1, v28
	v_lshlrev_b32_e32 v2, 30, v28
	v_lshlrev_b32_e32 v4, 29, v28
	v_lshlrev_b32_e32 v5, 28, v28
	v_lshlrev_b32_e32 v6, 27, v28
	v_add_co_u32 v0, s9, v0, -1
	s_delay_alu instid0(VALU_DEP_1)
	v_cndmask_b32_e64 v3, 0, 1, s9
	v_not_b32_e32 v7, v2
	v_cmp_gt_i32_e64 s10, 0, v2
	v_not_b32_e32 v2, v4
	v_and_b32_e32 v1, 0xff, v28
	v_cmp_ne_u32_e64 s9, 0, v3
	v_ashrrev_i32_e32 v7, 31, v7
	v_lshlrev_b32_e32 v3, 26, v28
	v_ashrrev_i32_e32 v2, 31, v2
	v_mul_u32_u24_e32 v1, 10, v1
	v_xor_b32_e32 v0, s9, v0
	v_cmp_gt_i32_e64 s9, 0, v4
	v_not_b32_e32 v4, v5
	v_xor_b32_e32 v7, s10, v7
	v_cmp_gt_i32_e64 s10, 0, v5
	v_and_b32_e32 v0, exec_lo, v0
	v_not_b32_e32 v5, v6
	v_ashrrev_i32_e32 v4, 31, v4
	v_xor_b32_e32 v2, s9, v2
	v_cmp_gt_i32_e64 s9, 0, v6
	v_and_b32_e32 v0, v0, v7
	v_lshlrev_b32_e32 v7, 25, v28
	v_ashrrev_i32_e32 v5, 31, v5
	v_xor_b32_e32 v4, s10, v4
	v_not_b32_e32 v6, v3
	v_and_b32_e32 v0, v0, v2
	v_lshlrev_b32_e32 v2, 24, v28
	v_not_b32_e32 v53, v7
	v_xor_b32_e32 v5, s9, v5
	v_cmp_gt_i32_e64 s9, 0, v3
	v_and_b32_e32 v0, v0, v4
	v_ashrrev_i32_e32 v3, 31, v6
	v_cmp_gt_i32_e64 s10, 0, v7
	v_ashrrev_i32_e32 v4, 31, v53
	v_add_lshl_u32 v1, v21, v1, 2
	v_and_b32_e32 v0, v0, v5
	v_not_b32_e32 v5, v2
	v_xor_b32_e32 v3, s9, v3
	v_xor_b32_e32 v4, s10, v4
	v_cmp_gt_i32_e64 s9, 0, v2
	s_delay_alu instid0(VALU_DEP_4) | instskip(NEXT) | instid1(VALU_DEP_4)
	v_ashrrev_i32_e32 v2, 31, v5
	v_and_b32_e32 v0, v0, v3
	; wave barrier
	ds_load_b32 v53, v1 offset:40
	v_add_nc_u32_e32 v55, 40, v1
	v_xor_b32_e32 v2, s9, v2
	v_and_b32_e32 v0, v0, v4
	; wave barrier
	s_delay_alu instid0(VALU_DEP_1) | instskip(NEXT) | instid1(VALU_DEP_1)
	v_and_b32_e32 v0, v0, v2
	v_mbcnt_lo_u32_b32 v54, v0, 0
	v_cmp_ne_u32_e64 s10, 0, v0
	s_delay_alu instid0(VALU_DEP_2) | instskip(NEXT) | instid1(VALU_DEP_1)
	v_cmp_eq_u32_e64 s9, 0, v54
	s_and_b32 s10, s10, s9
	s_delay_alu instid0(SALU_CYCLE_1)
	s_and_saveexec_b32 s9, s10
	s_cbranch_execz .LBB87_14
; %bb.13:                               ;   in Loop: Header=BB87_2 Depth=1
	s_waitcnt lgkmcnt(0)
	v_bcnt_u32_b32 v0, v0, v53
	ds_store_b32 v55, v0
.LBB87_14:                              ;   in Loop: Header=BB87_2 Depth=1
	s_or_b32 exec_lo, exec_lo, s9
	v_and_b32_e32 v0, 1, v29
	v_lshlrev_b32_e32 v2, 30, v29
	v_lshlrev_b32_e32 v4, 29, v29
	;; [unrolled: 1-line block ×4, first 2 shown]
	v_add_co_u32 v0, s9, v0, -1
	s_delay_alu instid0(VALU_DEP_1)
	v_cndmask_b32_e64 v3, 0, 1, s9
	v_not_b32_e32 v7, v2
	v_cmp_gt_i32_e64 s10, 0, v2
	v_not_b32_e32 v2, v4
	v_and_b32_e32 v1, 0xff, v29
	v_cmp_ne_u32_e64 s9, 0, v3
	v_ashrrev_i32_e32 v7, 31, v7
	v_lshlrev_b32_e32 v3, 26, v29
	v_ashrrev_i32_e32 v2, 31, v2
	v_mul_u32_u24_e32 v1, 10, v1
	v_xor_b32_e32 v0, s9, v0
	v_cmp_gt_i32_e64 s9, 0, v4
	v_not_b32_e32 v4, v5
	v_xor_b32_e32 v7, s10, v7
	v_cmp_gt_i32_e64 s10, 0, v5
	v_and_b32_e32 v0, exec_lo, v0
	v_not_b32_e32 v5, v6
	v_ashrrev_i32_e32 v4, 31, v4
	v_xor_b32_e32 v2, s9, v2
	v_cmp_gt_i32_e64 s9, 0, v6
	v_and_b32_e32 v0, v0, v7
	v_lshlrev_b32_e32 v7, 25, v29
	v_ashrrev_i32_e32 v5, 31, v5
	v_xor_b32_e32 v4, s10, v4
	v_not_b32_e32 v6, v3
	v_and_b32_e32 v0, v0, v2
	v_lshlrev_b32_e32 v2, 24, v29
	v_not_b32_e32 v56, v7
	v_xor_b32_e32 v5, s9, v5
	v_cmp_gt_i32_e64 s9, 0, v3
	v_and_b32_e32 v0, v0, v4
	v_ashrrev_i32_e32 v3, 31, v6
	v_cmp_gt_i32_e64 s10, 0, v7
	v_ashrrev_i32_e32 v4, 31, v56
	v_add_lshl_u32 v1, v21, v1, 2
	v_and_b32_e32 v0, v0, v5
	v_not_b32_e32 v5, v2
	v_xor_b32_e32 v3, s9, v3
	v_xor_b32_e32 v4, s10, v4
	v_cmp_gt_i32_e64 s9, 0, v2
	s_delay_alu instid0(VALU_DEP_4) | instskip(NEXT) | instid1(VALU_DEP_4)
	v_ashrrev_i32_e32 v2, 31, v5
	v_and_b32_e32 v0, v0, v3
	; wave barrier
	ds_load_b32 v56, v1 offset:40
	v_add_nc_u32_e32 v58, 40, v1
	v_xor_b32_e32 v2, s9, v2
	v_and_b32_e32 v0, v0, v4
	; wave barrier
	s_delay_alu instid0(VALU_DEP_1) | instskip(NEXT) | instid1(VALU_DEP_1)
	v_and_b32_e32 v0, v0, v2
	v_mbcnt_lo_u32_b32 v57, v0, 0
	v_cmp_ne_u32_e64 s10, 0, v0
	s_delay_alu instid0(VALU_DEP_2) | instskip(NEXT) | instid1(VALU_DEP_1)
	v_cmp_eq_u32_e64 s9, 0, v57
	s_and_b32 s10, s10, s9
	s_delay_alu instid0(SALU_CYCLE_1)
	s_and_saveexec_b32 s9, s10
	s_cbranch_execz .LBB87_16
; %bb.15:                               ;   in Loop: Header=BB87_2 Depth=1
	s_waitcnt lgkmcnt(0)
	v_bcnt_u32_b32 v0, v0, v56
	ds_store_b32 v58, v0
.LBB87_16:                              ;   in Loop: Header=BB87_2 Depth=1
	s_or_b32 exec_lo, exec_lo, s9
	v_and_b32_e32 v0, 1, v30
	v_lshlrev_b32_e32 v2, 30, v30
	v_lshlrev_b32_e32 v4, 29, v30
	;; [unrolled: 1-line block ×4, first 2 shown]
	v_add_co_u32 v0, s9, v0, -1
	s_delay_alu instid0(VALU_DEP_1)
	v_cndmask_b32_e64 v3, 0, 1, s9
	v_not_b32_e32 v7, v2
	v_cmp_gt_i32_e64 s10, 0, v2
	v_not_b32_e32 v2, v4
	v_and_b32_e32 v1, 0xff, v30
	v_cmp_ne_u32_e64 s9, 0, v3
	v_ashrrev_i32_e32 v7, 31, v7
	v_lshlrev_b32_e32 v3, 26, v30
	v_ashrrev_i32_e32 v2, 31, v2
	v_mul_u32_u24_e32 v1, 10, v1
	v_xor_b32_e32 v0, s9, v0
	v_cmp_gt_i32_e64 s9, 0, v4
	v_not_b32_e32 v4, v5
	v_xor_b32_e32 v7, s10, v7
	v_cmp_gt_i32_e64 s10, 0, v5
	v_and_b32_e32 v0, exec_lo, v0
	v_not_b32_e32 v5, v6
	v_ashrrev_i32_e32 v4, 31, v4
	v_xor_b32_e32 v2, s9, v2
	v_cmp_gt_i32_e64 s9, 0, v6
	v_and_b32_e32 v0, v0, v7
	v_lshlrev_b32_e32 v7, 25, v30
	v_ashrrev_i32_e32 v5, 31, v5
	v_xor_b32_e32 v4, s10, v4
	v_not_b32_e32 v6, v3
	v_and_b32_e32 v0, v0, v2
	v_lshlrev_b32_e32 v2, 24, v30
	v_not_b32_e32 v59, v7
	v_xor_b32_e32 v5, s9, v5
	v_cmp_gt_i32_e64 s9, 0, v3
	v_and_b32_e32 v0, v0, v4
	v_ashrrev_i32_e32 v3, 31, v6
	v_cmp_gt_i32_e64 s10, 0, v7
	v_ashrrev_i32_e32 v4, 31, v59
	v_add_lshl_u32 v1, v21, v1, 2
	v_and_b32_e32 v0, v0, v5
	v_not_b32_e32 v5, v2
	v_xor_b32_e32 v3, s9, v3
	v_xor_b32_e32 v4, s10, v4
	v_cmp_gt_i32_e64 s9, 0, v2
	s_delay_alu instid0(VALU_DEP_4) | instskip(NEXT) | instid1(VALU_DEP_4)
	v_ashrrev_i32_e32 v2, 31, v5
	v_and_b32_e32 v0, v0, v3
	; wave barrier
	ds_load_b32 v59, v1 offset:40
	v_add_nc_u32_e32 v61, 40, v1
	v_xor_b32_e32 v2, s9, v2
	v_and_b32_e32 v0, v0, v4
	; wave barrier
	s_delay_alu instid0(VALU_DEP_1) | instskip(NEXT) | instid1(VALU_DEP_1)
	v_and_b32_e32 v0, v0, v2
	v_mbcnt_lo_u32_b32 v60, v0, 0
	v_cmp_ne_u32_e64 s10, 0, v0
	s_delay_alu instid0(VALU_DEP_2) | instskip(NEXT) | instid1(VALU_DEP_1)
	v_cmp_eq_u32_e64 s9, 0, v60
	s_and_b32 s10, s10, s9
	s_delay_alu instid0(SALU_CYCLE_1)
	s_and_saveexec_b32 s9, s10
	s_cbranch_execz .LBB87_18
; %bb.17:                               ;   in Loop: Header=BB87_2 Depth=1
	s_waitcnt lgkmcnt(0)
	v_bcnt_u32_b32 v0, v0, v59
	ds_store_b32 v61, v0
.LBB87_18:                              ;   in Loop: Header=BB87_2 Depth=1
	s_or_b32 exec_lo, exec_lo, s9
	; wave barrier
	s_waitcnt lgkmcnt(0)
	s_barrier
	buffer_gl0_inv
	ds_load_2addr_b64 v[4:7], v13 offset0:5 offset1:6
	ds_load_2addr_b64 v[0:3], v15 offset0:2 offset1:3
	s_waitcnt lgkmcnt(1)
	v_add_nc_u32_e32 v62, v5, v4
	s_delay_alu instid0(VALU_DEP_1) | instskip(SKIP_1) | instid1(VALU_DEP_1)
	v_add3_u32 v62, v62, v6, v7
	s_waitcnt lgkmcnt(0)
	v_add3_u32 v62, v62, v0, v1
	s_delay_alu instid0(VALU_DEP_1) | instskip(NEXT) | instid1(VALU_DEP_1)
	v_add3_u32 v3, v62, v2, v3
	v_mov_b32_dpp v62, v3 row_shr:1 row_mask:0xf bank_mask:0xf
	s_delay_alu instid0(VALU_DEP_1) | instskip(NEXT) | instid1(VALU_DEP_1)
	v_cndmask_b32_e64 v62, v62, 0, s0
	v_add_nc_u32_e32 v3, v62, v3
	s_delay_alu instid0(VALU_DEP_1) | instskip(NEXT) | instid1(VALU_DEP_1)
	v_mov_b32_dpp v62, v3 row_shr:2 row_mask:0xf bank_mask:0xf
	v_cndmask_b32_e64 v62, 0, v62, s1
	s_delay_alu instid0(VALU_DEP_1) | instskip(NEXT) | instid1(VALU_DEP_1)
	v_add_nc_u32_e32 v3, v3, v62
	v_mov_b32_dpp v62, v3 row_shr:4 row_mask:0xf bank_mask:0xf
	s_delay_alu instid0(VALU_DEP_1) | instskip(NEXT) | instid1(VALU_DEP_1)
	v_cndmask_b32_e64 v62, 0, v62, s2
	v_add_nc_u32_e32 v3, v3, v62
	s_delay_alu instid0(VALU_DEP_1) | instskip(NEXT) | instid1(VALU_DEP_1)
	v_mov_b32_dpp v62, v3 row_shr:8 row_mask:0xf bank_mask:0xf
	v_cndmask_b32_e64 v62, 0, v62, s3
	s_delay_alu instid0(VALU_DEP_1) | instskip(SKIP_3) | instid1(VALU_DEP_1)
	v_add_nc_u32_e32 v3, v3, v62
	ds_swizzle_b32 v62, v3 offset:swizzle(BROADCAST,32,15)
	s_waitcnt lgkmcnt(0)
	v_cndmask_b32_e64 v62, v62, 0, s4
	v_add_nc_u32_e32 v3, v3, v62
	s_and_saveexec_b32 s9, s8
	s_cbranch_execz .LBB87_20
; %bb.19:                               ;   in Loop: Header=BB87_2 Depth=1
	ds_store_b32 v18, v3
.LBB87_20:                              ;   in Loop: Header=BB87_2 Depth=1
	s_or_b32 exec_lo, exec_lo, s9
	s_waitcnt lgkmcnt(0)
	s_barrier
	buffer_gl0_inv
	s_and_saveexec_b32 s9, s5
	s_cbranch_execz .LBB87_22
; %bb.21:                               ;   in Loop: Header=BB87_2 Depth=1
	ds_load_b32 v62, v22
	s_waitcnt lgkmcnt(0)
	v_mov_b32_dpp v63, v62 row_shr:1 row_mask:0xf bank_mask:0xf
	s_delay_alu instid0(VALU_DEP_1) | instskip(NEXT) | instid1(VALU_DEP_1)
	v_cndmask_b32_e64 v63, v63, 0, s0
	v_add_nc_u32_e32 v62, v63, v62
	s_delay_alu instid0(VALU_DEP_1) | instskip(NEXT) | instid1(VALU_DEP_1)
	v_mov_b32_dpp v63, v62 row_shr:2 row_mask:0xf bank_mask:0xf
	v_cndmask_b32_e64 v63, 0, v63, s1
	s_delay_alu instid0(VALU_DEP_1) | instskip(NEXT) | instid1(VALU_DEP_1)
	v_add_nc_u32_e32 v62, v62, v63
	v_mov_b32_dpp v63, v62 row_shr:4 row_mask:0xf bank_mask:0xf
	s_delay_alu instid0(VALU_DEP_1) | instskip(NEXT) | instid1(VALU_DEP_1)
	v_cndmask_b32_e64 v63, 0, v63, s2
	v_add_nc_u32_e32 v62, v62, v63
	s_delay_alu instid0(VALU_DEP_1) | instskip(NEXT) | instid1(VALU_DEP_1)
	v_mov_b32_dpp v63, v62 row_shr:8 row_mask:0xf bank_mask:0xf
	v_cndmask_b32_e64 v63, 0, v63, s3
	s_delay_alu instid0(VALU_DEP_1)
	v_add_nc_u32_e32 v62, v62, v63
	ds_store_b32 v22, v62
.LBB87_22:                              ;   in Loop: Header=BB87_2 Depth=1
	s_or_b32 exec_lo, exec_lo, s9
	v_mov_b32_e32 v62, 0
	s_waitcnt lgkmcnt(0)
	s_barrier
	buffer_gl0_inv
	s_and_saveexec_b32 s9, s6
	s_cbranch_execz .LBB87_1
; %bb.23:                               ;   in Loop: Header=BB87_2 Depth=1
	ds_load_b32 v62, v20
	s_branch .LBB87_1
.LBB87_24:
	s_waitcnt lgkmcnt(0)
	v_lshrrev_b32_e32 v9, 8, v0
	s_add_u32 s0, s18, s11
	v_lshrrev_b32_e32 v10, 16, v0
	v_lshrrev_b32_e32 v11, 24, v0
	v_add_nc_u16 v0, v6, v0
	s_addc_u32 s1, s19, 0
	v_add_co_u32 v6, s0, s0, v8
	v_lshrrev_b32_e32 v12, 8, v1
	v_lshrrev_b32_e32 v13, 16, v1
	;; [unrolled: 1-line block ×3, first 2 shown]
	v_add_nc_u16 v9, v7, v9
	v_add_co_ci_u32_e64 v7, null, s1, 0, s0
	v_add_nc_u16 v10, v23, v10
	v_add_nc_u16 v11, v24, v11
	;; [unrolled: 1-line block ×6, first 2 shown]
	s_clause 0x7
	global_store_b8 v[6:7], v0, off
	global_store_b8 v[6:7], v9, off offset:320
	global_store_b8 v[6:7], v10, off offset:640
	;; [unrolled: 1-line block ×7, first 2 shown]
	s_nop 0
	s_sendmsg sendmsg(MSG_DEALLOC_VGPRS)
	s_endpgm
	.section	.rodata,"a",@progbits
	.p2align	6, 0x0
	.amdhsa_kernel _Z17sort_pairs_kernelI22helper_blocked_blockedaLj320ELj8ELj10EEvPKT0_PS1_
		.amdhsa_group_segment_fixed_size 10288
		.amdhsa_private_segment_fixed_size 0
		.amdhsa_kernarg_size 272
		.amdhsa_user_sgpr_count 15
		.amdhsa_user_sgpr_dispatch_ptr 0
		.amdhsa_user_sgpr_queue_ptr 0
		.amdhsa_user_sgpr_kernarg_segment_ptr 1
		.amdhsa_user_sgpr_dispatch_id 0
		.amdhsa_user_sgpr_private_segment_size 0
		.amdhsa_wavefront_size32 1
		.amdhsa_uses_dynamic_stack 0
		.amdhsa_enable_private_segment 0
		.amdhsa_system_sgpr_workgroup_id_x 1
		.amdhsa_system_sgpr_workgroup_id_y 0
		.amdhsa_system_sgpr_workgroup_id_z 0
		.amdhsa_system_sgpr_workgroup_info 0
		.amdhsa_system_vgpr_workitem_id 2
		.amdhsa_next_free_vgpr 64
		.amdhsa_next_free_sgpr 20
		.amdhsa_reserve_vcc 1
		.amdhsa_float_round_mode_32 0
		.amdhsa_float_round_mode_16_64 0
		.amdhsa_float_denorm_mode_32 3
		.amdhsa_float_denorm_mode_16_64 3
		.amdhsa_dx10_clamp 1
		.amdhsa_ieee_mode 1
		.amdhsa_fp16_overflow 0
		.amdhsa_workgroup_processor_mode 1
		.amdhsa_memory_ordered 1
		.amdhsa_forward_progress 0
		.amdhsa_shared_vgpr_count 0
		.amdhsa_exception_fp_ieee_invalid_op 0
		.amdhsa_exception_fp_denorm_src 0
		.amdhsa_exception_fp_ieee_div_zero 0
		.amdhsa_exception_fp_ieee_overflow 0
		.amdhsa_exception_fp_ieee_underflow 0
		.amdhsa_exception_fp_ieee_inexact 0
		.amdhsa_exception_int_div_zero 0
	.end_amdhsa_kernel
	.section	.text._Z17sort_pairs_kernelI22helper_blocked_blockedaLj320ELj8ELj10EEvPKT0_PS1_,"axG",@progbits,_Z17sort_pairs_kernelI22helper_blocked_blockedaLj320ELj8ELj10EEvPKT0_PS1_,comdat
.Lfunc_end87:
	.size	_Z17sort_pairs_kernelI22helper_blocked_blockedaLj320ELj8ELj10EEvPKT0_PS1_, .Lfunc_end87-_Z17sort_pairs_kernelI22helper_blocked_blockedaLj320ELj8ELj10EEvPKT0_PS1_
                                        ; -- End function
	.section	.AMDGPU.csdata,"",@progbits
; Kernel info:
; codeLenInByte = 5136
; NumSgprs: 22
; NumVgprs: 64
; ScratchSize: 0
; MemoryBound: 0
; FloatMode: 240
; IeeeMode: 1
; LDSByteSize: 10288 bytes/workgroup (compile time only)
; SGPRBlocks: 2
; VGPRBlocks: 7
; NumSGPRsForWavesPerEU: 22
; NumVGPRsForWavesPerEU: 64
; Occupancy: 15
; WaveLimiterHint : 1
; COMPUTE_PGM_RSRC2:SCRATCH_EN: 0
; COMPUTE_PGM_RSRC2:USER_SGPR: 15
; COMPUTE_PGM_RSRC2:TRAP_HANDLER: 0
; COMPUTE_PGM_RSRC2:TGID_X_EN: 1
; COMPUTE_PGM_RSRC2:TGID_Y_EN: 0
; COMPUTE_PGM_RSRC2:TGID_Z_EN: 0
; COMPUTE_PGM_RSRC2:TIDIG_COMP_CNT: 2
	.section	.text._Z16sort_keys_kernelI22helper_blocked_blockedaLj512ELj1ELj10EEvPKT0_PS1_,"axG",@progbits,_Z16sort_keys_kernelI22helper_blocked_blockedaLj512ELj1ELj10EEvPKT0_PS1_,comdat
	.protected	_Z16sort_keys_kernelI22helper_blocked_blockedaLj512ELj1ELj10EEvPKT0_PS1_ ; -- Begin function _Z16sort_keys_kernelI22helper_blocked_blockedaLj512ELj1ELj10EEvPKT0_PS1_
	.globl	_Z16sort_keys_kernelI22helper_blocked_blockedaLj512ELj1ELj10EEvPKT0_PS1_
	.p2align	8
	.type	_Z16sort_keys_kernelI22helper_blocked_blockedaLj512ELj1ELj10EEvPKT0_PS1_,@function
_Z16sort_keys_kernelI22helper_blocked_blockedaLj512ELj1ELj10EEvPKT0_PS1_: ; @_Z16sort_keys_kernelI22helper_blocked_blockedaLj512ELj1ELj10EEvPKT0_PS1_
; %bb.0:
	s_clause 0x1
	s_load_b128 s[16:19], s[0:1], 0x0
	s_load_b32 s8, s[0:1], 0x1c
	s_lshl_b32 s12, s15, 9
	v_and_b32_e32 v8, 0x3ff, v0
	v_mbcnt_lo_u32_b32 v1, -1, 0
	v_bfe_u32 v3, v0, 10, 10
	v_bfe_u32 v0, v0, 20, 10
	s_mov_b32 s13, 10
	s_delay_alu instid0(VALU_DEP_3) | instskip(SKIP_3) | instid1(VALU_DEP_1)
	v_add_nc_u32_e32 v6, -1, v1
	v_and_b32_e32 v4, 15, v1
	v_cmp_eq_u32_e32 vcc_lo, 0, v1
	v_and_b32_e32 v5, 16, v1
	v_cmp_eq_u32_e64 s4, 0, v5
	s_waitcnt lgkmcnt(0)
	s_add_u32 s0, s16, s12
	s_addc_u32 s1, s17, 0
	s_lshr_b32 s7, s8, 16
	global_load_u8 v2, v8, s[0:1]
	s_mov_b32 s0, 0
	v_mad_u32_u24 v3, v0, s7, v3
	s_mov_b32 s3, s0
	s_mov_b32 s1, s0
	s_mov_b32 s2, s0
	v_mov_b32_e32 v12, s3
	v_cmp_gt_i32_e64 s7, 0, v6
	v_dual_mov_b32 v10, s1 :: v_dual_mov_b32 v11, s2
	v_mov_b32_e32 v9, s0
	v_lshlrev_b32_e32 v13, 5, v8
	s_delay_alu instid0(VALU_DEP_4)
	v_cndmask_b32_e64 v5, v6, v1, s7
	v_lshrrev_b32_e32 v6, 3, v8
	s_and_b32 s7, s8, 0xffff
	v_cmp_eq_u32_e64 s0, 0, v4
	v_mad_u64_u32 v[0:1], null, v3, s7, v[8:9]
	v_cmp_lt_u32_e64 s1, 1, v4
	v_cmp_lt_u32_e64 s2, 3, v4
	;; [unrolled: 1-line block ×3, first 2 shown]
	v_or_b32_e32 v4, 31, v8
	v_and_b32_e32 v14, 60, v6
	v_mul_u32_u24_e32 v1, 3, v8
	v_cmp_gt_u32_e64 s5, 16, v8
	v_cmp_lt_u32_e64 s6, 31, v8
	v_cmp_eq_u32_e64 s7, 0, v8
	v_add_nc_u32_e32 v15, 64, v13
	v_cmp_eq_u32_e64 s8, v4, v8
	v_lshlrev_b32_e32 v16, 2, v5
	v_add_nc_u32_e32 v17, -4, v14
	v_lshrrev_b32_e32 v18, 5, v0
	v_add_nc_u32_e32 v19, v8, v1
	s_waitcnt vmcnt(0)
	v_xor_b32_e32 v20, 0xffffff80, v2
	s_branch .LBB88_2
.LBB88_1:                               ;   in Loop: Header=BB88_2 Depth=1
	s_or_b32 exec_lo, exec_lo, s9
	s_waitcnt lgkmcnt(0)
	v_add_nc_u32_e32 v3, v23, v3
	s_add_i32 s13, s13, -1
	s_delay_alu instid0(SALU_CYCLE_1) | instskip(SKIP_3) | instid1(VALU_DEP_1)
	s_cmp_eq_u32 s13, 0
	ds_bpermute_b32 v3, v16, v3
	s_waitcnt lgkmcnt(0)
	v_cndmask_b32_e32 v3, v3, v23, vcc_lo
	v_cndmask_b32_e64 v3, v3, 0, s7
	s_delay_alu instid0(VALU_DEP_1) | instskip(NEXT) | instid1(VALU_DEP_1)
	v_add_nc_u32_e32 v4, v3, v4
	v_add_nc_u32_e32 v5, v4, v5
	s_delay_alu instid0(VALU_DEP_1) | instskip(NEXT) | instid1(VALU_DEP_1)
	v_add_nc_u32_e32 v6, v5, v6
	v_add_nc_u32_e32 v23, v6, v7
	;; [unrolled: 3-line block ×3, first 2 shown]
	s_delay_alu instid0(VALU_DEP_1)
	v_add_nc_u32_e32 v1, v0, v2
	ds_store_2addr_b64 v13, v[3:4], v[5:6] offset0:8 offset1:9
	ds_store_2addr_b64 v15, v[23:24], v[0:1] offset0:2 offset1:3
	s_waitcnt lgkmcnt(0)
	s_barrier
	buffer_gl0_inv
	ds_load_b32 v0, v22
	s_waitcnt lgkmcnt(0)
	s_barrier
	buffer_gl0_inv
	v_add_nc_u32_e32 v0, v0, v21
	ds_store_b8 v0, v20
	s_waitcnt lgkmcnt(0)
	s_barrier
	buffer_gl0_inv
	ds_load_u8 v20, v8
	s_cbranch_scc1 .LBB88_10
.LBB88_2:                               ; =>This Inner Loop Header: Depth=1
	s_waitcnt lgkmcnt(0)
	s_delay_alu instid0(VALU_DEP_1)
	v_and_b32_e32 v0, 1, v20
	v_lshlrev_b32_e32 v1, 30, v20
	v_lshlrev_b32_e32 v2, 29, v20
	;; [unrolled: 1-line block ×4, first 2 shown]
	v_add_co_u32 v0, s9, v0, -1
	s_delay_alu instid0(VALU_DEP_1)
	v_cndmask_b32_e64 v3, 0, 1, s9
	v_not_b32_e32 v7, v1
	v_cmp_gt_i32_e64 s10, 0, v1
	v_not_b32_e32 v1, v2
	v_lshlrev_b32_e32 v6, 26, v20
	v_cmp_ne_u32_e64 s9, 0, v3
	v_ashrrev_i32_e32 v7, 31, v7
	v_lshlrev_b32_e32 v3, 25, v20
	v_ashrrev_i32_e32 v1, 31, v1
	v_cmp_gt_i32_e64 s11, 0, v5
	v_xor_b32_e32 v0, s9, v0
	v_cmp_gt_i32_e64 s9, 0, v2
	v_not_b32_e32 v2, v4
	v_xor_b32_e32 v7, s10, v7
	v_cmp_gt_i32_e64 s10, 0, v4
	v_and_b32_e32 v0, exec_lo, v0
	v_xor_b32_e32 v1, s9, v1
	v_ashrrev_i32_e32 v2, 31, v2
	v_not_b32_e32 v4, v5
	v_not_b32_e32 v5, v6
	v_and_b32_e32 v0, v0, v7
	v_cmp_gt_i32_e64 s9, 0, v6
	v_xor_b32_e32 v2, s10, v2
	v_not_b32_e32 v6, v3
	ds_store_2addr_b64 v13, v[9:10], v[11:12] offset0:8 offset1:9
	ds_store_2addr_b64 v15, v[9:10], v[11:12] offset0:2 offset1:3
	v_and_b32_e32 v0, v0, v1
	v_ashrrev_i32_e32 v1, 31, v4
	v_ashrrev_i32_e32 v4, 31, v5
	v_lshlrev_b32_e32 v5, 24, v20
	s_waitcnt lgkmcnt(0)
	v_and_b32_e32 v0, v0, v2
	v_xor_b32_e32 v1, s11, v1
	v_xor_b32_e32 v2, s9, v4
	v_cmp_gt_i32_e64 s9, 0, v3
	v_not_b32_e32 v3, v5
	v_ashrrev_i32_e32 v4, 31, v6
	v_and_b32_e32 v0, v0, v1
	v_cmp_gt_i32_e64 s10, 0, v5
	s_barrier
	v_ashrrev_i32_e32 v1, 31, v3
	v_xor_b32_e32 v3, s9, v4
	v_and_b32_e32 v0, v0, v2
	buffer_gl0_inv
	v_xor_b32_e32 v1, s10, v1
	; wave barrier
	v_and_b32_e32 v0, v0, v3
	s_delay_alu instid0(VALU_DEP_1) | instskip(SKIP_1) | instid1(VALU_DEP_2)
	v_and_b32_e32 v0, v0, v1
	v_and_b32_e32 v1, 0xff, v20
	v_mbcnt_lo_u32_b32 v21, v0, 0
	s_delay_alu instid0(VALU_DEP_2) | instskip(SKIP_1) | instid1(VALU_DEP_3)
	v_lshl_add_u32 v1, v1, 4, v18
	v_cmp_ne_u32_e64 s10, 0, v0
	v_cmp_eq_u32_e64 s9, 0, v21
	s_delay_alu instid0(VALU_DEP_3) | instskip(NEXT) | instid1(VALU_DEP_2)
	v_lshl_add_u32 v22, v1, 2, 64
	s_and_b32 s10, s10, s9
	s_delay_alu instid0(SALU_CYCLE_1)
	s_and_saveexec_b32 s9, s10
	s_cbranch_execz .LBB88_4
; %bb.3:                                ;   in Loop: Header=BB88_2 Depth=1
	v_bcnt_u32_b32 v0, v0, 0
	ds_store_b32 v22, v0
.LBB88_4:                               ;   in Loop: Header=BB88_2 Depth=1
	s_or_b32 exec_lo, exec_lo, s9
	; wave barrier
	s_waitcnt lgkmcnt(0)
	s_barrier
	buffer_gl0_inv
	ds_load_2addr_b64 v[4:7], v13 offset0:8 offset1:9
	ds_load_2addr_b64 v[0:3], v15 offset0:2 offset1:3
	s_waitcnt lgkmcnt(1)
	v_add_nc_u32_e32 v23, v5, v4
	s_delay_alu instid0(VALU_DEP_1) | instskip(SKIP_1) | instid1(VALU_DEP_1)
	v_add3_u32 v23, v23, v6, v7
	s_waitcnt lgkmcnt(0)
	v_add3_u32 v23, v23, v0, v1
	s_delay_alu instid0(VALU_DEP_1) | instskip(NEXT) | instid1(VALU_DEP_1)
	v_add3_u32 v3, v23, v2, v3
	v_mov_b32_dpp v23, v3 row_shr:1 row_mask:0xf bank_mask:0xf
	s_delay_alu instid0(VALU_DEP_1) | instskip(NEXT) | instid1(VALU_DEP_1)
	v_cndmask_b32_e64 v23, v23, 0, s0
	v_add_nc_u32_e32 v3, v23, v3
	s_delay_alu instid0(VALU_DEP_1) | instskip(NEXT) | instid1(VALU_DEP_1)
	v_mov_b32_dpp v23, v3 row_shr:2 row_mask:0xf bank_mask:0xf
	v_cndmask_b32_e64 v23, 0, v23, s1
	s_delay_alu instid0(VALU_DEP_1) | instskip(NEXT) | instid1(VALU_DEP_1)
	v_add_nc_u32_e32 v3, v3, v23
	v_mov_b32_dpp v23, v3 row_shr:4 row_mask:0xf bank_mask:0xf
	s_delay_alu instid0(VALU_DEP_1) | instskip(NEXT) | instid1(VALU_DEP_1)
	v_cndmask_b32_e64 v23, 0, v23, s2
	v_add_nc_u32_e32 v3, v3, v23
	s_delay_alu instid0(VALU_DEP_1) | instskip(NEXT) | instid1(VALU_DEP_1)
	v_mov_b32_dpp v23, v3 row_shr:8 row_mask:0xf bank_mask:0xf
	v_cndmask_b32_e64 v23, 0, v23, s3
	s_delay_alu instid0(VALU_DEP_1) | instskip(SKIP_3) | instid1(VALU_DEP_1)
	v_add_nc_u32_e32 v3, v3, v23
	ds_swizzle_b32 v23, v3 offset:swizzle(BROADCAST,32,15)
	s_waitcnt lgkmcnt(0)
	v_cndmask_b32_e64 v23, v23, 0, s4
	v_add_nc_u32_e32 v3, v3, v23
	s_and_saveexec_b32 s9, s8
	s_cbranch_execz .LBB88_6
; %bb.5:                                ;   in Loop: Header=BB88_2 Depth=1
	ds_store_b32 v14, v3
.LBB88_6:                               ;   in Loop: Header=BB88_2 Depth=1
	s_or_b32 exec_lo, exec_lo, s9
	s_waitcnt lgkmcnt(0)
	s_barrier
	buffer_gl0_inv
	s_and_saveexec_b32 s9, s5
	s_cbranch_execz .LBB88_8
; %bb.7:                                ;   in Loop: Header=BB88_2 Depth=1
	ds_load_b32 v23, v19
	s_waitcnt lgkmcnt(0)
	v_mov_b32_dpp v24, v23 row_shr:1 row_mask:0xf bank_mask:0xf
	s_delay_alu instid0(VALU_DEP_1) | instskip(NEXT) | instid1(VALU_DEP_1)
	v_cndmask_b32_e64 v24, v24, 0, s0
	v_add_nc_u32_e32 v23, v24, v23
	s_delay_alu instid0(VALU_DEP_1) | instskip(NEXT) | instid1(VALU_DEP_1)
	v_mov_b32_dpp v24, v23 row_shr:2 row_mask:0xf bank_mask:0xf
	v_cndmask_b32_e64 v24, 0, v24, s1
	s_delay_alu instid0(VALU_DEP_1) | instskip(NEXT) | instid1(VALU_DEP_1)
	v_add_nc_u32_e32 v23, v23, v24
	v_mov_b32_dpp v24, v23 row_shr:4 row_mask:0xf bank_mask:0xf
	s_delay_alu instid0(VALU_DEP_1) | instskip(NEXT) | instid1(VALU_DEP_1)
	v_cndmask_b32_e64 v24, 0, v24, s2
	v_add_nc_u32_e32 v23, v23, v24
	s_delay_alu instid0(VALU_DEP_1) | instskip(NEXT) | instid1(VALU_DEP_1)
	v_mov_b32_dpp v24, v23 row_shr:8 row_mask:0xf bank_mask:0xf
	v_cndmask_b32_e64 v24, 0, v24, s3
	s_delay_alu instid0(VALU_DEP_1)
	v_add_nc_u32_e32 v23, v23, v24
	ds_store_b32 v19, v23
.LBB88_8:                               ;   in Loop: Header=BB88_2 Depth=1
	s_or_b32 exec_lo, exec_lo, s9
	v_mov_b32_e32 v23, 0
	s_waitcnt lgkmcnt(0)
	s_barrier
	buffer_gl0_inv
	s_and_saveexec_b32 s9, s6
	s_cbranch_execz .LBB88_1
; %bb.9:                                ;   in Loop: Header=BB88_2 Depth=1
	ds_load_b32 v23, v17
	s_branch .LBB88_1
.LBB88_10:
	s_add_u32 s0, s18, s12
	s_addc_u32 s1, s19, 0
	v_add_co_u32 v0, s0, s0, v8
	s_waitcnt lgkmcnt(0)
	v_xor_b32_e32 v2, 0x80, v20
	v_add_co_ci_u32_e64 v1, null, s1, 0, s0
	global_store_b8 v[0:1], v2, off
	s_nop 0
	s_sendmsg sendmsg(MSG_DEALLOC_VGPRS)
	s_endpgm
	.section	.rodata,"a",@progbits
	.p2align	6, 0x0
	.amdhsa_kernel _Z16sort_keys_kernelI22helper_blocked_blockedaLj512ELj1ELj10EEvPKT0_PS1_
		.amdhsa_group_segment_fixed_size 16448
		.amdhsa_private_segment_fixed_size 0
		.amdhsa_kernarg_size 272
		.amdhsa_user_sgpr_count 15
		.amdhsa_user_sgpr_dispatch_ptr 0
		.amdhsa_user_sgpr_queue_ptr 0
		.amdhsa_user_sgpr_kernarg_segment_ptr 1
		.amdhsa_user_sgpr_dispatch_id 0
		.amdhsa_user_sgpr_private_segment_size 0
		.amdhsa_wavefront_size32 1
		.amdhsa_uses_dynamic_stack 0
		.amdhsa_enable_private_segment 0
		.amdhsa_system_sgpr_workgroup_id_x 1
		.amdhsa_system_sgpr_workgroup_id_y 0
		.amdhsa_system_sgpr_workgroup_id_z 0
		.amdhsa_system_sgpr_workgroup_info 0
		.amdhsa_system_vgpr_workitem_id 2
		.amdhsa_next_free_vgpr 25
		.amdhsa_next_free_sgpr 20
		.amdhsa_reserve_vcc 1
		.amdhsa_float_round_mode_32 0
		.amdhsa_float_round_mode_16_64 0
		.amdhsa_float_denorm_mode_32 3
		.amdhsa_float_denorm_mode_16_64 3
		.amdhsa_dx10_clamp 1
		.amdhsa_ieee_mode 1
		.amdhsa_fp16_overflow 0
		.amdhsa_workgroup_processor_mode 1
		.amdhsa_memory_ordered 1
		.amdhsa_forward_progress 0
		.amdhsa_shared_vgpr_count 0
		.amdhsa_exception_fp_ieee_invalid_op 0
		.amdhsa_exception_fp_denorm_src 0
		.amdhsa_exception_fp_ieee_div_zero 0
		.amdhsa_exception_fp_ieee_overflow 0
		.amdhsa_exception_fp_ieee_underflow 0
		.amdhsa_exception_fp_ieee_inexact 0
		.amdhsa_exception_int_div_zero 0
	.end_amdhsa_kernel
	.section	.text._Z16sort_keys_kernelI22helper_blocked_blockedaLj512ELj1ELj10EEvPKT0_PS1_,"axG",@progbits,_Z16sort_keys_kernelI22helper_blocked_blockedaLj512ELj1ELj10EEvPKT0_PS1_,comdat
.Lfunc_end88:
	.size	_Z16sort_keys_kernelI22helper_blocked_blockedaLj512ELj1ELj10EEvPKT0_PS1_, .Lfunc_end88-_Z16sort_keys_kernelI22helper_blocked_blockedaLj512ELj1ELj10EEvPKT0_PS1_
                                        ; -- End function
	.section	.AMDGPU.csdata,"",@progbits
; Kernel info:
; codeLenInByte = 1340
; NumSgprs: 22
; NumVgprs: 25
; ScratchSize: 0
; MemoryBound: 0
; FloatMode: 240
; IeeeMode: 1
; LDSByteSize: 16448 bytes/workgroup (compile time only)
; SGPRBlocks: 2
; VGPRBlocks: 3
; NumSGPRsForWavesPerEU: 22
; NumVGPRsForWavesPerEU: 25
; Occupancy: 16
; WaveLimiterHint : 0
; COMPUTE_PGM_RSRC2:SCRATCH_EN: 0
; COMPUTE_PGM_RSRC2:USER_SGPR: 15
; COMPUTE_PGM_RSRC2:TRAP_HANDLER: 0
; COMPUTE_PGM_RSRC2:TGID_X_EN: 1
; COMPUTE_PGM_RSRC2:TGID_Y_EN: 0
; COMPUTE_PGM_RSRC2:TGID_Z_EN: 0
; COMPUTE_PGM_RSRC2:TIDIG_COMP_CNT: 2
	.section	.text._Z17sort_pairs_kernelI22helper_blocked_blockedaLj512ELj1ELj10EEvPKT0_PS1_,"axG",@progbits,_Z17sort_pairs_kernelI22helper_blocked_blockedaLj512ELj1ELj10EEvPKT0_PS1_,comdat
	.protected	_Z17sort_pairs_kernelI22helper_blocked_blockedaLj512ELj1ELj10EEvPKT0_PS1_ ; -- Begin function _Z17sort_pairs_kernelI22helper_blocked_blockedaLj512ELj1ELj10EEvPKT0_PS1_
	.globl	_Z17sort_pairs_kernelI22helper_blocked_blockedaLj512ELj1ELj10EEvPKT0_PS1_
	.p2align	8
	.type	_Z17sort_pairs_kernelI22helper_blocked_blockedaLj512ELj1ELj10EEvPKT0_PS1_,@function
_Z17sort_pairs_kernelI22helper_blocked_blockedaLj512ELj1ELj10EEvPKT0_PS1_: ; @_Z17sort_pairs_kernelI22helper_blocked_blockedaLj512ELj1ELj10EEvPKT0_PS1_
; %bb.0:
	s_clause 0x1
	s_load_b128 s[16:19], s[0:1], 0x0
	s_load_b32 s8, s[0:1], 0x1c
	s_lshl_b32 s12, s15, 9
	v_and_b32_e32 v8, 0x3ff, v0
	v_mbcnt_lo_u32_b32 v1, -1, 0
	v_bfe_u32 v3, v0, 10, 10
	v_bfe_u32 v0, v0, 20, 10
	s_mov_b32 s13, 10
	s_delay_alu instid0(VALU_DEP_3) | instskip(SKIP_3) | instid1(VALU_DEP_1)
	v_add_nc_u32_e32 v6, -1, v1
	v_and_b32_e32 v4, 15, v1
	v_cmp_eq_u32_e32 vcc_lo, 0, v1
	v_and_b32_e32 v5, 16, v1
	v_cmp_eq_u32_e64 s4, 0, v5
	s_waitcnt lgkmcnt(0)
	s_add_u32 s0, s16, s12
	s_addc_u32 s1, s17, 0
	s_lshr_b32 s7, s8, 16
	global_load_u8 v2, v8, s[0:1]
	s_mov_b32 s0, 0
	v_mad_u32_u24 v3, v0, s7, v3
	s_mov_b32 s3, s0
	s_mov_b32 s1, s0
	;; [unrolled: 1-line block ×3, first 2 shown]
	v_mov_b32_e32 v12, s3
	v_cmp_gt_i32_e64 s7, 0, v6
	v_dual_mov_b32 v10, s1 :: v_dual_mov_b32 v11, s2
	v_mov_b32_e32 v9, s0
	v_lshlrev_b32_e32 v13, 5, v8
	s_delay_alu instid0(VALU_DEP_4)
	v_cndmask_b32_e64 v5, v6, v1, s7
	v_lshrrev_b32_e32 v6, 3, v8
	s_and_b32 s7, s8, 0xffff
	v_cmp_eq_u32_e64 s0, 0, v4
	v_mad_u64_u32 v[0:1], null, v3, s7, v[8:9]
	v_cmp_lt_u32_e64 s1, 1, v4
	v_cmp_lt_u32_e64 s2, 3, v4
	;; [unrolled: 1-line block ×3, first 2 shown]
	v_or_b32_e32 v4, 31, v8
	v_and_b32_e32 v14, 60, v6
	v_mul_u32_u24_e32 v1, 3, v8
	v_cmp_gt_u32_e64 s5, 16, v8
	v_cmp_lt_u32_e64 s6, 31, v8
	v_cmp_eq_u32_e64 s7, 0, v8
	v_add_nc_u32_e32 v15, 64, v13
	v_cmp_eq_u32_e64 s8, v4, v8
	v_lshlrev_b32_e32 v16, 2, v5
	v_add_nc_u32_e32 v17, -4, v14
	v_lshrrev_b32_e32 v18, 5, v0
	v_add_nc_u32_e32 v19, v8, v1
	s_waitcnt vmcnt(0)
	v_add_nc_u16 v20, v2, 1
	v_xor_b32_e32 v21, 0xffffff80, v2
	s_branch .LBB89_2
.LBB89_1:                               ;   in Loop: Header=BB89_2 Depth=1
	s_or_b32 exec_lo, exec_lo, s9
	s_waitcnt lgkmcnt(0)
	v_add_nc_u32_e32 v3, v24, v3
	s_add_i32 s13, s13, -1
	s_delay_alu instid0(SALU_CYCLE_1) | instskip(SKIP_3) | instid1(VALU_DEP_1)
	s_cmp_lg_u32 s13, 0
	ds_bpermute_b32 v3, v16, v3
	s_waitcnt lgkmcnt(0)
	v_cndmask_b32_e32 v3, v3, v24, vcc_lo
	v_cndmask_b32_e64 v3, v3, 0, s7
	s_delay_alu instid0(VALU_DEP_1) | instskip(NEXT) | instid1(VALU_DEP_1)
	v_add_nc_u32_e32 v4, v3, v4
	v_add_nc_u32_e32 v5, v4, v5
	s_delay_alu instid0(VALU_DEP_1) | instskip(NEXT) | instid1(VALU_DEP_1)
	v_add_nc_u32_e32 v6, v5, v6
	v_add_nc_u32_e32 v24, v6, v7
	;; [unrolled: 3-line block ×3, first 2 shown]
	s_delay_alu instid0(VALU_DEP_1)
	v_add_nc_u32_e32 v1, v0, v2
	ds_store_2addr_b64 v13, v[3:4], v[5:6] offset0:8 offset1:9
	ds_store_2addr_b64 v15, v[24:25], v[0:1] offset0:2 offset1:3
	s_waitcnt lgkmcnt(0)
	s_barrier
	buffer_gl0_inv
	ds_load_b32 v0, v23
	s_waitcnt lgkmcnt(0)
	s_barrier
	buffer_gl0_inv
	v_add_nc_u32_e32 v0, v0, v22
	ds_store_b8 v0, v21
	s_waitcnt lgkmcnt(0)
	s_barrier
	buffer_gl0_inv
	ds_load_u8 v21, v8
	s_waitcnt lgkmcnt(0)
	s_barrier
	buffer_gl0_inv
	ds_store_b8 v0, v20
	s_waitcnt lgkmcnt(0)
	s_barrier
	buffer_gl0_inv
	ds_load_u8 v20, v8
	s_cbranch_scc0 .LBB89_10
.LBB89_2:                               ; =>This Inner Loop Header: Depth=1
	s_delay_alu instid0(VALU_DEP_1)
	v_and_b32_e32 v0, 1, v21
	v_lshlrev_b32_e32 v1, 30, v21
	v_lshlrev_b32_e32 v2, 29, v21
	;; [unrolled: 1-line block ×4, first 2 shown]
	v_add_co_u32 v0, s9, v0, -1
	s_delay_alu instid0(VALU_DEP_1)
	v_cndmask_b32_e64 v3, 0, 1, s9
	v_not_b32_e32 v7, v1
	v_cmp_gt_i32_e64 s10, 0, v1
	v_not_b32_e32 v1, v2
	v_lshlrev_b32_e32 v6, 26, v21
	v_cmp_ne_u32_e64 s9, 0, v3
	v_ashrrev_i32_e32 v7, 31, v7
	v_lshlrev_b32_e32 v3, 25, v21
	v_ashrrev_i32_e32 v1, 31, v1
	v_cmp_gt_i32_e64 s11, 0, v5
	v_xor_b32_e32 v0, s9, v0
	v_cmp_gt_i32_e64 s9, 0, v2
	v_not_b32_e32 v2, v4
	v_xor_b32_e32 v7, s10, v7
	v_cmp_gt_i32_e64 s10, 0, v4
	v_and_b32_e32 v0, exec_lo, v0
	v_xor_b32_e32 v1, s9, v1
	v_ashrrev_i32_e32 v2, 31, v2
	v_not_b32_e32 v4, v5
	v_not_b32_e32 v5, v6
	v_and_b32_e32 v0, v0, v7
	v_cmp_gt_i32_e64 s9, 0, v6
	v_xor_b32_e32 v2, s10, v2
	v_not_b32_e32 v6, v3
	ds_store_2addr_b64 v13, v[9:10], v[11:12] offset0:8 offset1:9
	ds_store_2addr_b64 v15, v[9:10], v[11:12] offset0:2 offset1:3
	v_and_b32_e32 v0, v0, v1
	v_ashrrev_i32_e32 v1, 31, v4
	v_ashrrev_i32_e32 v4, 31, v5
	v_lshlrev_b32_e32 v5, 24, v21
	s_waitcnt lgkmcnt(0)
	v_and_b32_e32 v0, v0, v2
	v_xor_b32_e32 v1, s11, v1
	v_xor_b32_e32 v2, s9, v4
	v_cmp_gt_i32_e64 s9, 0, v3
	v_not_b32_e32 v3, v5
	v_ashrrev_i32_e32 v4, 31, v6
	v_and_b32_e32 v0, v0, v1
	v_cmp_gt_i32_e64 s10, 0, v5
	s_barrier
	v_ashrrev_i32_e32 v1, 31, v3
	v_xor_b32_e32 v3, s9, v4
	v_and_b32_e32 v0, v0, v2
	buffer_gl0_inv
	v_xor_b32_e32 v1, s10, v1
	; wave barrier
	v_and_b32_e32 v0, v0, v3
	s_delay_alu instid0(VALU_DEP_1) | instskip(SKIP_1) | instid1(VALU_DEP_2)
	v_and_b32_e32 v0, v0, v1
	v_and_b32_e32 v1, 0xff, v21
	v_mbcnt_lo_u32_b32 v22, v0, 0
	s_delay_alu instid0(VALU_DEP_2) | instskip(SKIP_1) | instid1(VALU_DEP_3)
	v_lshl_add_u32 v1, v1, 4, v18
	v_cmp_ne_u32_e64 s10, 0, v0
	v_cmp_eq_u32_e64 s9, 0, v22
	s_delay_alu instid0(VALU_DEP_3) | instskip(NEXT) | instid1(VALU_DEP_2)
	v_lshl_add_u32 v23, v1, 2, 64
	s_and_b32 s10, s10, s9
	s_delay_alu instid0(SALU_CYCLE_1)
	s_and_saveexec_b32 s9, s10
	s_cbranch_execz .LBB89_4
; %bb.3:                                ;   in Loop: Header=BB89_2 Depth=1
	v_bcnt_u32_b32 v0, v0, 0
	ds_store_b32 v23, v0
.LBB89_4:                               ;   in Loop: Header=BB89_2 Depth=1
	s_or_b32 exec_lo, exec_lo, s9
	; wave barrier
	s_waitcnt lgkmcnt(0)
	s_barrier
	buffer_gl0_inv
	ds_load_2addr_b64 v[4:7], v13 offset0:8 offset1:9
	ds_load_2addr_b64 v[0:3], v15 offset0:2 offset1:3
	s_waitcnt lgkmcnt(1)
	v_add_nc_u32_e32 v24, v5, v4
	s_delay_alu instid0(VALU_DEP_1) | instskip(SKIP_1) | instid1(VALU_DEP_1)
	v_add3_u32 v24, v24, v6, v7
	s_waitcnt lgkmcnt(0)
	v_add3_u32 v24, v24, v0, v1
	s_delay_alu instid0(VALU_DEP_1) | instskip(NEXT) | instid1(VALU_DEP_1)
	v_add3_u32 v3, v24, v2, v3
	v_mov_b32_dpp v24, v3 row_shr:1 row_mask:0xf bank_mask:0xf
	s_delay_alu instid0(VALU_DEP_1) | instskip(NEXT) | instid1(VALU_DEP_1)
	v_cndmask_b32_e64 v24, v24, 0, s0
	v_add_nc_u32_e32 v3, v24, v3
	s_delay_alu instid0(VALU_DEP_1) | instskip(NEXT) | instid1(VALU_DEP_1)
	v_mov_b32_dpp v24, v3 row_shr:2 row_mask:0xf bank_mask:0xf
	v_cndmask_b32_e64 v24, 0, v24, s1
	s_delay_alu instid0(VALU_DEP_1) | instskip(NEXT) | instid1(VALU_DEP_1)
	v_add_nc_u32_e32 v3, v3, v24
	v_mov_b32_dpp v24, v3 row_shr:4 row_mask:0xf bank_mask:0xf
	s_delay_alu instid0(VALU_DEP_1) | instskip(NEXT) | instid1(VALU_DEP_1)
	v_cndmask_b32_e64 v24, 0, v24, s2
	v_add_nc_u32_e32 v3, v3, v24
	s_delay_alu instid0(VALU_DEP_1) | instskip(NEXT) | instid1(VALU_DEP_1)
	v_mov_b32_dpp v24, v3 row_shr:8 row_mask:0xf bank_mask:0xf
	v_cndmask_b32_e64 v24, 0, v24, s3
	s_delay_alu instid0(VALU_DEP_1) | instskip(SKIP_3) | instid1(VALU_DEP_1)
	v_add_nc_u32_e32 v3, v3, v24
	ds_swizzle_b32 v24, v3 offset:swizzle(BROADCAST,32,15)
	s_waitcnt lgkmcnt(0)
	v_cndmask_b32_e64 v24, v24, 0, s4
	v_add_nc_u32_e32 v3, v3, v24
	s_and_saveexec_b32 s9, s8
	s_cbranch_execz .LBB89_6
; %bb.5:                                ;   in Loop: Header=BB89_2 Depth=1
	ds_store_b32 v14, v3
.LBB89_6:                               ;   in Loop: Header=BB89_2 Depth=1
	s_or_b32 exec_lo, exec_lo, s9
	s_waitcnt lgkmcnt(0)
	s_barrier
	buffer_gl0_inv
	s_and_saveexec_b32 s9, s5
	s_cbranch_execz .LBB89_8
; %bb.7:                                ;   in Loop: Header=BB89_2 Depth=1
	ds_load_b32 v24, v19
	s_waitcnt lgkmcnt(0)
	v_mov_b32_dpp v25, v24 row_shr:1 row_mask:0xf bank_mask:0xf
	s_delay_alu instid0(VALU_DEP_1) | instskip(NEXT) | instid1(VALU_DEP_1)
	v_cndmask_b32_e64 v25, v25, 0, s0
	v_add_nc_u32_e32 v24, v25, v24
	s_delay_alu instid0(VALU_DEP_1) | instskip(NEXT) | instid1(VALU_DEP_1)
	v_mov_b32_dpp v25, v24 row_shr:2 row_mask:0xf bank_mask:0xf
	v_cndmask_b32_e64 v25, 0, v25, s1
	s_delay_alu instid0(VALU_DEP_1) | instskip(NEXT) | instid1(VALU_DEP_1)
	v_add_nc_u32_e32 v24, v24, v25
	v_mov_b32_dpp v25, v24 row_shr:4 row_mask:0xf bank_mask:0xf
	s_delay_alu instid0(VALU_DEP_1) | instskip(NEXT) | instid1(VALU_DEP_1)
	v_cndmask_b32_e64 v25, 0, v25, s2
	v_add_nc_u32_e32 v24, v24, v25
	s_delay_alu instid0(VALU_DEP_1) | instskip(NEXT) | instid1(VALU_DEP_1)
	v_mov_b32_dpp v25, v24 row_shr:8 row_mask:0xf bank_mask:0xf
	v_cndmask_b32_e64 v25, 0, v25, s3
	s_delay_alu instid0(VALU_DEP_1)
	v_add_nc_u32_e32 v24, v24, v25
	ds_store_b32 v19, v24
.LBB89_8:                               ;   in Loop: Header=BB89_2 Depth=1
	s_or_b32 exec_lo, exec_lo, s9
	v_mov_b32_e32 v24, 0
	s_waitcnt lgkmcnt(0)
	s_barrier
	buffer_gl0_inv
	s_and_saveexec_b32 s9, s6
	s_cbranch_execz .LBB89_1
; %bb.9:                                ;   in Loop: Header=BB89_2 Depth=1
	ds_load_b32 v24, v17
	s_branch .LBB89_1
.LBB89_10:
	s_waitcnt lgkmcnt(0)
	v_add_nc_u16 v0, v20, v21
	s_add_u32 s0, s18, s12
	s_addc_u32 s1, s19, 0
	s_delay_alu instid0(VALU_DEP_1) | instskip(SKIP_1) | instid1(VALU_DEP_1)
	v_add_nc_u16 v2, v0, 0xff80
	v_add_co_u32 v0, s0, s0, v8
	v_add_co_ci_u32_e64 v1, null, s1, 0, s0
	global_store_b8 v[0:1], v2, off
	s_nop 0
	s_sendmsg sendmsg(MSG_DEALLOC_VGPRS)
	s_endpgm
	.section	.rodata,"a",@progbits
	.p2align	6, 0x0
	.amdhsa_kernel _Z17sort_pairs_kernelI22helper_blocked_blockedaLj512ELj1ELj10EEvPKT0_PS1_
		.amdhsa_group_segment_fixed_size 16448
		.amdhsa_private_segment_fixed_size 0
		.amdhsa_kernarg_size 272
		.amdhsa_user_sgpr_count 15
		.amdhsa_user_sgpr_dispatch_ptr 0
		.amdhsa_user_sgpr_queue_ptr 0
		.amdhsa_user_sgpr_kernarg_segment_ptr 1
		.amdhsa_user_sgpr_dispatch_id 0
		.amdhsa_user_sgpr_private_segment_size 0
		.amdhsa_wavefront_size32 1
		.amdhsa_uses_dynamic_stack 0
		.amdhsa_enable_private_segment 0
		.amdhsa_system_sgpr_workgroup_id_x 1
		.amdhsa_system_sgpr_workgroup_id_y 0
		.amdhsa_system_sgpr_workgroup_id_z 0
		.amdhsa_system_sgpr_workgroup_info 0
		.amdhsa_system_vgpr_workitem_id 2
		.amdhsa_next_free_vgpr 26
		.amdhsa_next_free_sgpr 20
		.amdhsa_reserve_vcc 1
		.amdhsa_float_round_mode_32 0
		.amdhsa_float_round_mode_16_64 0
		.amdhsa_float_denorm_mode_32 3
		.amdhsa_float_denorm_mode_16_64 3
		.amdhsa_dx10_clamp 1
		.amdhsa_ieee_mode 1
		.amdhsa_fp16_overflow 0
		.amdhsa_workgroup_processor_mode 1
		.amdhsa_memory_ordered 1
		.amdhsa_forward_progress 0
		.amdhsa_shared_vgpr_count 0
		.amdhsa_exception_fp_ieee_invalid_op 0
		.amdhsa_exception_fp_denorm_src 0
		.amdhsa_exception_fp_ieee_div_zero 0
		.amdhsa_exception_fp_ieee_overflow 0
		.amdhsa_exception_fp_ieee_underflow 0
		.amdhsa_exception_fp_ieee_inexact 0
		.amdhsa_exception_int_div_zero 0
	.end_amdhsa_kernel
	.section	.text._Z17sort_pairs_kernelI22helper_blocked_blockedaLj512ELj1ELj10EEvPKT0_PS1_,"axG",@progbits,_Z17sort_pairs_kernelI22helper_blocked_blockedaLj512ELj1ELj10EEvPKT0_PS1_,comdat
.Lfunc_end89:
	.size	_Z17sort_pairs_kernelI22helper_blocked_blockedaLj512ELj1ELj10EEvPKT0_PS1_, .Lfunc_end89-_Z17sort_pairs_kernelI22helper_blocked_blockedaLj512ELj1ELj10EEvPKT0_PS1_
                                        ; -- End function
	.section	.AMDGPU.csdata,"",@progbits
; Kernel info:
; codeLenInByte = 1408
; NumSgprs: 22
; NumVgprs: 26
; ScratchSize: 0
; MemoryBound: 0
; FloatMode: 240
; IeeeMode: 1
; LDSByteSize: 16448 bytes/workgroup (compile time only)
; SGPRBlocks: 2
; VGPRBlocks: 3
; NumSGPRsForWavesPerEU: 22
; NumVGPRsForWavesPerEU: 26
; Occupancy: 16
; WaveLimiterHint : 0
; COMPUTE_PGM_RSRC2:SCRATCH_EN: 0
; COMPUTE_PGM_RSRC2:USER_SGPR: 15
; COMPUTE_PGM_RSRC2:TRAP_HANDLER: 0
; COMPUTE_PGM_RSRC2:TGID_X_EN: 1
; COMPUTE_PGM_RSRC2:TGID_Y_EN: 0
; COMPUTE_PGM_RSRC2:TGID_Z_EN: 0
; COMPUTE_PGM_RSRC2:TIDIG_COMP_CNT: 2
	.section	.text._Z16sort_keys_kernelI22helper_blocked_blockedaLj512ELj3ELj10EEvPKT0_PS1_,"axG",@progbits,_Z16sort_keys_kernelI22helper_blocked_blockedaLj512ELj3ELj10EEvPKT0_PS1_,comdat
	.protected	_Z16sort_keys_kernelI22helper_blocked_blockedaLj512ELj3ELj10EEvPKT0_PS1_ ; -- Begin function _Z16sort_keys_kernelI22helper_blocked_blockedaLj512ELj3ELj10EEvPKT0_PS1_
	.globl	_Z16sort_keys_kernelI22helper_blocked_blockedaLj512ELj3ELj10EEvPKT0_PS1_
	.p2align	8
	.type	_Z16sort_keys_kernelI22helper_blocked_blockedaLj512ELj3ELj10EEvPKT0_PS1_,@function
_Z16sort_keys_kernelI22helper_blocked_blockedaLj512ELj3ELj10EEvPKT0_PS1_: ; @_Z16sort_keys_kernelI22helper_blocked_blockedaLj512ELj3ELj10EEvPKT0_PS1_
; %bb.0:
	s_clause 0x1
	s_load_b128 s[16:19], s[0:1], 0x0
	s_load_b32 s9, s[0:1], 0x1c
	s_mul_i32 s11, s15, 0x600
	v_and_b32_e32 v8, 0x3ff, v0
	v_mbcnt_lo_u32_b32 v4, -1, 0
	v_bfe_u32 v6, v0, 10, 10
	v_bfe_u32 v0, v0, 20, 10
	s_mov_b32 s12, 10
	s_delay_alu instid0(VALU_DEP_3)
	v_add_nc_u32_e32 v15, -1, v4
	v_mul_u32_u24_e32 v5, 3, v4
	v_and_b32_e32 v14, 16, v4
	v_cmp_eq_u32_e32 vcc_lo, 0, v4
	v_and_b32_e32 v7, 15, v4
	v_cmp_gt_i32_e64 s7, 0, v15
	s_delay_alu instid0(VALU_DEP_4) | instskip(NEXT) | instid1(VALU_DEP_2)
	v_cmp_eq_u32_e64 s4, 0, v14
	v_cndmask_b32_e64 v17, v15, v4, s7
	s_waitcnt lgkmcnt(0)
	s_add_u32 s0, s16, s11
	s_addc_u32 s1, s17, 0
	s_clause 0x2
	global_load_u8 v1, v8, s[0:1] offset:512
	global_load_u8 v2, v8, s[0:1]
	global_load_u8 v3, v8, s[0:1] offset:1024
	s_mov_b32 s0, 0
	s_lshr_b32 s8, s9, 16
	s_mov_b32 s1, s0
	s_mov_b32 s2, s0
	;; [unrolled: 1-line block ×3, first 2 shown]
	v_dual_mov_b32 v10, s1 :: v_dual_mov_b32 v9, s0
	v_mad_u32_u24 v6, v0, s8, v6
	v_mov_b32_e32 v12, s3
	v_lshrrev_b32_e32 v16, 5, v8
	v_lshlrev_b32_e32 v13, 5, v8
	s_and_b32 s9, s9, 0xffff
	v_mov_b32_e32 v11, s2
	v_cmp_eq_u32_e64 s0, 0, v7
	v_cmp_lt_u32_e64 s1, 1, v7
	v_cmp_lt_u32_e64 s2, 3, v7
	;; [unrolled: 1-line block ×3, first 2 shown]
	v_or_b32_e32 v7, 31, v8
	v_mul_u32_u24_e32 v20, 0x60, v16
	v_lshlrev_b32_e32 v15, 2, v16
	v_lshlrev_b32_e32 v16, 2, v17
	v_mad_i32_i24 v17, 0xffffffe3, v8, v13
	v_cmp_gt_u32_e64 s5, 16, v8
	v_cmp_lt_u32_e64 s6, 31, v8
	v_cmp_eq_u32_e64 s7, 0, v8
	v_add_nc_u32_e32 v14, 64, v13
	v_cmp_eq_u32_e64 s8, v7, v8
	v_or_b32_e32 v18, v4, v20
	v_add_nc_u32_e32 v19, -4, v15
	v_add_nc_u32_e32 v20, v5, v20
	v_add_nc_u32_e32 v22, v17, v8
	s_waitcnt vmcnt(2)
	v_lshlrev_b16 v1, 8, v1
	s_waitcnt vmcnt(1)
	s_delay_alu instid0(VALU_DEP_1) | instskip(SKIP_1) | instid1(VALU_DEP_2)
	v_or_b32_e32 v2, v2, v1
	v_mad_u64_u32 v[0:1], null, v6, s9, v[8:9]
	v_and_b32_e32 v1, 0xffff, v2
	s_delay_alu instid0(VALU_DEP_2) | instskip(SKIP_1) | instid1(VALU_DEP_2)
	v_lshrrev_b32_e32 v21, 5, v0
	s_waitcnt vmcnt(0)
	v_lshl_or_b32 v3, v3, 16, v1
	s_branch .LBB90_2
.LBB90_1:                               ;   in Loop: Header=BB90_2 Depth=1
	s_or_b32 exec_lo, exec_lo, s9
	s_waitcnt lgkmcnt(0)
	v_add_nc_u32_e32 v3, v34, v3
	s_add_i32 s12, s12, -1
	s_delay_alu instid0(SALU_CYCLE_1) | instskip(SKIP_3) | instid1(VALU_DEP_1)
	s_cmp_eq_u32 s12, 0
	ds_bpermute_b32 v3, v16, v3
	s_waitcnt lgkmcnt(0)
	v_cndmask_b32_e32 v3, v3, v34, vcc_lo
	v_cndmask_b32_e64 v3, v3, 0, s7
	s_delay_alu instid0(VALU_DEP_1) | instskip(NEXT) | instid1(VALU_DEP_1)
	v_add_nc_u32_e32 v4, v3, v4
	v_add_nc_u32_e32 v5, v4, v5
	s_delay_alu instid0(VALU_DEP_1) | instskip(NEXT) | instid1(VALU_DEP_1)
	v_add_nc_u32_e32 v6, v5, v6
	v_add_nc_u32_e32 v34, v6, v7
	;; [unrolled: 3-line block ×3, first 2 shown]
	s_delay_alu instid0(VALU_DEP_1)
	v_add_nc_u32_e32 v1, v0, v2
	ds_store_2addr_b64 v13, v[3:4], v[5:6] offset0:8 offset1:9
	ds_store_2addr_b64 v14, v[34:35], v[0:1] offset0:2 offset1:3
	s_waitcnt lgkmcnt(0)
	s_barrier
	buffer_gl0_inv
	ds_load_b32 v0, v27
	ds_load_b32 v1, v30
	ds_load_b32 v2, v33
	s_waitcnt lgkmcnt(0)
	s_barrier
	buffer_gl0_inv
	v_add_nc_u32_e32 v0, v0, v26
	v_add3_u32 v1, v29, v28, v1
	v_add3_u32 v2, v32, v31, v2
	ds_store_b8 v0, v23
	ds_store_b8 v1, v24
	;; [unrolled: 1-line block ×3, first 2 shown]
	s_waitcnt lgkmcnt(0)
	s_barrier
	buffer_gl0_inv
	ds_load_u8 v0, v17 offset:1
	ds_load_u8 v1, v17
	ds_load_u8 v3, v17 offset:2
	s_waitcnt lgkmcnt(2)
	v_xor_b32_e32 v0, 0xffffff80, v0
	s_waitcnt lgkmcnt(1)
	v_xor_b32_e32 v2, 0xffffff80, v1
	;; [unrolled: 2-line block ×3, first 2 shown]
	v_lshlrev_b16 v3, 8, v0
	s_delay_alu instid0(VALU_DEP_3) | instskip(NEXT) | instid1(VALU_DEP_3)
	v_and_b32_e32 v4, 0xff, v2
	v_and_b32_e32 v5, 0xff, v1
	s_delay_alu instid0(VALU_DEP_2) | instskip(NEXT) | instid1(VALU_DEP_2)
	v_or_b32_e32 v3, v4, v3
	v_lshlrev_b32_e32 v4, 16, v5
	s_delay_alu instid0(VALU_DEP_2) | instskip(NEXT) | instid1(VALU_DEP_1)
	v_and_b32_e32 v3, 0xffff, v3
	v_or_b32_e32 v3, v3, v4
	s_cbranch_scc1 .LBB90_14
.LBB90_2:                               ; =>This Inner Loop Header: Depth=1
	s_delay_alu instid0(VALU_DEP_1) | instskip(SKIP_2) | instid1(VALU_DEP_3)
	v_lshrrev_b32_e32 v0, 8, v3
	v_lshrrev_b32_e32 v1, 16, v3
	v_xor_b32_e32 v2, 0x80, v3
	v_xor_b32_e32 v0, 0x80, v0
	s_delay_alu instid0(VALU_DEP_3)
	v_xor_b32_e32 v1, 0x80, v1
	ds_store_b8 v20, v2
	ds_store_b8 v20, v0 offset:1
	ds_store_b8 v20, v1 offset:2
	; wave barrier
	ds_load_u8 v23, v18
	ds_load_u8 v24, v18 offset:32
	ds_load_u8 v25, v18 offset:64
	; wave barrier
	; wave barrier
	s_waitcnt lgkmcnt(0)
	s_barrier
	buffer_gl0_inv
	ds_store_2addr_b64 v13, v[9:10], v[11:12] offset0:8 offset1:9
	ds_store_2addr_b64 v14, v[9:10], v[11:12] offset0:2 offset1:3
	s_waitcnt lgkmcnt(0)
	s_barrier
	buffer_gl0_inv
	; wave barrier
	v_and_b32_e32 v0, 1, v23
	v_lshlrev_b32_e32 v1, 30, v23
	v_lshlrev_b32_e32 v2, 29, v23
	v_lshlrev_b32_e32 v3, 28, v23
	v_lshlrev_b32_e32 v5, 27, v23
	v_add_co_u32 v0, s9, v0, -1
	s_delay_alu instid0(VALU_DEP_1)
	v_cndmask_b32_e64 v4, 0, 1, s9
	v_not_b32_e32 v26, v1
	v_cmp_gt_i32_e64 s10, 0, v1
	v_not_b32_e32 v1, v2
	v_lshlrev_b32_e32 v6, 26, v23
	v_cmp_ne_u32_e64 s9, 0, v4
	v_ashrrev_i32_e32 v26, 31, v26
	v_lshlrev_b32_e32 v7, 25, v23
	v_ashrrev_i32_e32 v1, 31, v1
	v_lshlrev_b32_e32 v4, 24, v23
	v_xor_b32_e32 v0, s9, v0
	v_cmp_gt_i32_e64 s9, 0, v2
	v_not_b32_e32 v2, v3
	v_xor_b32_e32 v26, s10, v26
	v_cmp_gt_i32_e64 s10, 0, v3
	v_and_b32_e32 v0, exec_lo, v0
	v_not_b32_e32 v3, v5
	v_ashrrev_i32_e32 v2, 31, v2
	v_xor_b32_e32 v1, s9, v1
	v_cmp_gt_i32_e64 s9, 0, v5
	v_and_b32_e32 v0, v0, v26
	v_not_b32_e32 v5, v6
	v_ashrrev_i32_e32 v3, 31, v3
	v_xor_b32_e32 v2, s10, v2
	v_cmp_gt_i32_e64 s10, 0, v6
	v_and_b32_e32 v0, v0, v1
	;; [unrolled: 5-line block ×4, first 2 shown]
	v_ashrrev_i32_e32 v2, 31, v2
	v_xor_b32_e32 v1, s9, v1
	s_delay_alu instid0(VALU_DEP_3) | instskip(NEXT) | instid1(VALU_DEP_3)
	v_and_b32_e32 v0, v0, v5
	v_xor_b32_e32 v2, s10, v2
	s_delay_alu instid0(VALU_DEP_2) | instskip(SKIP_1) | instid1(VALU_DEP_2)
	v_and_b32_e32 v0, v0, v1
	v_and_b32_e32 v1, 0xff, v23
	;; [unrolled: 1-line block ×3, first 2 shown]
	s_delay_alu instid0(VALU_DEP_2) | instskip(NEXT) | instid1(VALU_DEP_2)
	v_lshl_add_u32 v1, v1, 4, v21
	v_mbcnt_lo_u32_b32 v26, v0, 0
	v_cmp_ne_u32_e64 s10, 0, v0
	s_delay_alu instid0(VALU_DEP_3) | instskip(NEXT) | instid1(VALU_DEP_3)
	v_lshl_add_u32 v27, v1, 2, 64
	v_cmp_eq_u32_e64 s9, 0, v26
	s_delay_alu instid0(VALU_DEP_1) | instskip(NEXT) | instid1(SALU_CYCLE_1)
	s_and_b32 s10, s10, s9
	s_and_saveexec_b32 s9, s10
	s_cbranch_execz .LBB90_4
; %bb.3:                                ;   in Loop: Header=BB90_2 Depth=1
	v_bcnt_u32_b32 v0, v0, 0
	ds_store_b32 v27, v0
.LBB90_4:                               ;   in Loop: Header=BB90_2 Depth=1
	s_or_b32 exec_lo, exec_lo, s9
	v_and_b32_e32 v0, 1, v24
	v_lshlrev_b32_e32 v2, 30, v24
	v_lshlrev_b32_e32 v4, 29, v24
	;; [unrolled: 1-line block ×4, first 2 shown]
	v_add_co_u32 v0, s9, v0, -1
	s_delay_alu instid0(VALU_DEP_1)
	v_cndmask_b32_e64 v3, 0, 1, s9
	v_not_b32_e32 v7, v2
	v_cmp_gt_i32_e64 s10, 0, v2
	v_not_b32_e32 v2, v4
	v_and_b32_e32 v1, 0xff, v24
	v_cmp_ne_u32_e64 s9, 0, v3
	v_ashrrev_i32_e32 v7, 31, v7
	v_lshlrev_b32_e32 v3, 26, v24
	v_ashrrev_i32_e32 v2, 31, v2
	v_lshlrev_b32_e32 v1, 4, v1
	v_xor_b32_e32 v0, s9, v0
	v_cmp_gt_i32_e64 s9, 0, v4
	v_not_b32_e32 v4, v5
	v_xor_b32_e32 v7, s10, v7
	v_cmp_gt_i32_e64 s10, 0, v5
	v_and_b32_e32 v0, exec_lo, v0
	v_not_b32_e32 v5, v6
	v_ashrrev_i32_e32 v4, 31, v4
	v_xor_b32_e32 v2, s9, v2
	v_cmp_gt_i32_e64 s9, 0, v6
	v_and_b32_e32 v0, v0, v7
	v_lshlrev_b32_e32 v7, 25, v24
	v_ashrrev_i32_e32 v5, 31, v5
	v_xor_b32_e32 v4, s10, v4
	v_not_b32_e32 v6, v3
	v_and_b32_e32 v0, v0, v2
	v_lshlrev_b32_e32 v2, 24, v24
	v_not_b32_e32 v28, v7
	v_xor_b32_e32 v5, s9, v5
	v_cmp_gt_i32_e64 s9, 0, v3
	v_and_b32_e32 v0, v0, v4
	v_ashrrev_i32_e32 v3, 31, v6
	v_cmp_gt_i32_e64 s10, 0, v7
	v_ashrrev_i32_e32 v4, 31, v28
	v_add_lshl_u32 v1, v21, v1, 2
	v_and_b32_e32 v0, v0, v5
	v_not_b32_e32 v5, v2
	v_xor_b32_e32 v3, s9, v3
	v_xor_b32_e32 v4, s10, v4
	v_cmp_gt_i32_e64 s9, 0, v2
	s_delay_alu instid0(VALU_DEP_4) | instskip(NEXT) | instid1(VALU_DEP_4)
	v_ashrrev_i32_e32 v2, 31, v5
	v_and_b32_e32 v0, v0, v3
	; wave barrier
	ds_load_b32 v28, v1 offset:64
	v_add_nc_u32_e32 v30, 64, v1
	v_xor_b32_e32 v2, s9, v2
	v_and_b32_e32 v0, v0, v4
	; wave barrier
	s_delay_alu instid0(VALU_DEP_1) | instskip(NEXT) | instid1(VALU_DEP_1)
	v_and_b32_e32 v0, v0, v2
	v_mbcnt_lo_u32_b32 v29, v0, 0
	v_cmp_ne_u32_e64 s10, 0, v0
	s_delay_alu instid0(VALU_DEP_2) | instskip(NEXT) | instid1(VALU_DEP_1)
	v_cmp_eq_u32_e64 s9, 0, v29
	s_and_b32 s10, s10, s9
	s_delay_alu instid0(SALU_CYCLE_1)
	s_and_saveexec_b32 s9, s10
	s_cbranch_execz .LBB90_6
; %bb.5:                                ;   in Loop: Header=BB90_2 Depth=1
	s_waitcnt lgkmcnt(0)
	v_bcnt_u32_b32 v0, v0, v28
	ds_store_b32 v30, v0
.LBB90_6:                               ;   in Loop: Header=BB90_2 Depth=1
	s_or_b32 exec_lo, exec_lo, s9
	v_and_b32_e32 v0, 1, v25
	v_lshlrev_b32_e32 v2, 30, v25
	v_lshlrev_b32_e32 v4, 29, v25
	;; [unrolled: 1-line block ×4, first 2 shown]
	v_add_co_u32 v0, s9, v0, -1
	s_delay_alu instid0(VALU_DEP_1)
	v_cndmask_b32_e64 v3, 0, 1, s9
	v_not_b32_e32 v7, v2
	v_cmp_gt_i32_e64 s10, 0, v2
	v_not_b32_e32 v2, v4
	v_and_b32_e32 v1, 0xff, v25
	v_cmp_ne_u32_e64 s9, 0, v3
	v_ashrrev_i32_e32 v7, 31, v7
	v_lshlrev_b32_e32 v3, 26, v25
	v_ashrrev_i32_e32 v2, 31, v2
	v_lshlrev_b32_e32 v1, 4, v1
	v_xor_b32_e32 v0, s9, v0
	v_cmp_gt_i32_e64 s9, 0, v4
	v_not_b32_e32 v4, v5
	v_xor_b32_e32 v7, s10, v7
	v_cmp_gt_i32_e64 s10, 0, v5
	v_and_b32_e32 v0, exec_lo, v0
	v_not_b32_e32 v5, v6
	v_ashrrev_i32_e32 v4, 31, v4
	v_xor_b32_e32 v2, s9, v2
	v_cmp_gt_i32_e64 s9, 0, v6
	v_and_b32_e32 v0, v0, v7
	v_lshlrev_b32_e32 v7, 25, v25
	v_ashrrev_i32_e32 v5, 31, v5
	v_xor_b32_e32 v4, s10, v4
	v_not_b32_e32 v6, v3
	v_and_b32_e32 v0, v0, v2
	v_lshlrev_b32_e32 v2, 24, v25
	v_not_b32_e32 v31, v7
	v_xor_b32_e32 v5, s9, v5
	v_cmp_gt_i32_e64 s9, 0, v3
	v_and_b32_e32 v0, v0, v4
	v_ashrrev_i32_e32 v3, 31, v6
	v_cmp_gt_i32_e64 s10, 0, v7
	v_ashrrev_i32_e32 v4, 31, v31
	v_add_lshl_u32 v1, v21, v1, 2
	v_and_b32_e32 v0, v0, v5
	v_not_b32_e32 v5, v2
	v_xor_b32_e32 v3, s9, v3
	v_xor_b32_e32 v4, s10, v4
	v_cmp_gt_i32_e64 s9, 0, v2
	s_delay_alu instid0(VALU_DEP_4) | instskip(NEXT) | instid1(VALU_DEP_4)
	v_ashrrev_i32_e32 v2, 31, v5
	v_and_b32_e32 v0, v0, v3
	; wave barrier
	ds_load_b32 v31, v1 offset:64
	v_add_nc_u32_e32 v33, 64, v1
	v_xor_b32_e32 v2, s9, v2
	v_and_b32_e32 v0, v0, v4
	; wave barrier
	s_delay_alu instid0(VALU_DEP_1) | instskip(NEXT) | instid1(VALU_DEP_1)
	v_and_b32_e32 v0, v0, v2
	v_mbcnt_lo_u32_b32 v32, v0, 0
	v_cmp_ne_u32_e64 s10, 0, v0
	s_delay_alu instid0(VALU_DEP_2) | instskip(NEXT) | instid1(VALU_DEP_1)
	v_cmp_eq_u32_e64 s9, 0, v32
	s_and_b32 s10, s10, s9
	s_delay_alu instid0(SALU_CYCLE_1)
	s_and_saveexec_b32 s9, s10
	s_cbranch_execz .LBB90_8
; %bb.7:                                ;   in Loop: Header=BB90_2 Depth=1
	s_waitcnt lgkmcnt(0)
	v_bcnt_u32_b32 v0, v0, v31
	ds_store_b32 v33, v0
.LBB90_8:                               ;   in Loop: Header=BB90_2 Depth=1
	s_or_b32 exec_lo, exec_lo, s9
	; wave barrier
	s_waitcnt lgkmcnt(0)
	s_barrier
	buffer_gl0_inv
	ds_load_2addr_b64 v[4:7], v13 offset0:8 offset1:9
	ds_load_2addr_b64 v[0:3], v14 offset0:2 offset1:3
	s_waitcnt lgkmcnt(1)
	v_add_nc_u32_e32 v34, v5, v4
	s_delay_alu instid0(VALU_DEP_1) | instskip(SKIP_1) | instid1(VALU_DEP_1)
	v_add3_u32 v34, v34, v6, v7
	s_waitcnt lgkmcnt(0)
	v_add3_u32 v34, v34, v0, v1
	s_delay_alu instid0(VALU_DEP_1) | instskip(NEXT) | instid1(VALU_DEP_1)
	v_add3_u32 v3, v34, v2, v3
	v_mov_b32_dpp v34, v3 row_shr:1 row_mask:0xf bank_mask:0xf
	s_delay_alu instid0(VALU_DEP_1) | instskip(NEXT) | instid1(VALU_DEP_1)
	v_cndmask_b32_e64 v34, v34, 0, s0
	v_add_nc_u32_e32 v3, v34, v3
	s_delay_alu instid0(VALU_DEP_1) | instskip(NEXT) | instid1(VALU_DEP_1)
	v_mov_b32_dpp v34, v3 row_shr:2 row_mask:0xf bank_mask:0xf
	v_cndmask_b32_e64 v34, 0, v34, s1
	s_delay_alu instid0(VALU_DEP_1) | instskip(NEXT) | instid1(VALU_DEP_1)
	v_add_nc_u32_e32 v3, v3, v34
	v_mov_b32_dpp v34, v3 row_shr:4 row_mask:0xf bank_mask:0xf
	s_delay_alu instid0(VALU_DEP_1) | instskip(NEXT) | instid1(VALU_DEP_1)
	v_cndmask_b32_e64 v34, 0, v34, s2
	v_add_nc_u32_e32 v3, v3, v34
	s_delay_alu instid0(VALU_DEP_1) | instskip(NEXT) | instid1(VALU_DEP_1)
	v_mov_b32_dpp v34, v3 row_shr:8 row_mask:0xf bank_mask:0xf
	v_cndmask_b32_e64 v34, 0, v34, s3
	s_delay_alu instid0(VALU_DEP_1) | instskip(SKIP_3) | instid1(VALU_DEP_1)
	v_add_nc_u32_e32 v3, v3, v34
	ds_swizzle_b32 v34, v3 offset:swizzle(BROADCAST,32,15)
	s_waitcnt lgkmcnt(0)
	v_cndmask_b32_e64 v34, v34, 0, s4
	v_add_nc_u32_e32 v3, v3, v34
	s_and_saveexec_b32 s9, s8
	s_cbranch_execz .LBB90_10
; %bb.9:                                ;   in Loop: Header=BB90_2 Depth=1
	ds_store_b32 v15, v3
.LBB90_10:                              ;   in Loop: Header=BB90_2 Depth=1
	s_or_b32 exec_lo, exec_lo, s9
	s_waitcnt lgkmcnt(0)
	s_barrier
	buffer_gl0_inv
	s_and_saveexec_b32 s9, s5
	s_cbranch_execz .LBB90_12
; %bb.11:                               ;   in Loop: Header=BB90_2 Depth=1
	ds_load_b32 v34, v22
	s_waitcnt lgkmcnt(0)
	v_mov_b32_dpp v35, v34 row_shr:1 row_mask:0xf bank_mask:0xf
	s_delay_alu instid0(VALU_DEP_1) | instskip(NEXT) | instid1(VALU_DEP_1)
	v_cndmask_b32_e64 v35, v35, 0, s0
	v_add_nc_u32_e32 v34, v35, v34
	s_delay_alu instid0(VALU_DEP_1) | instskip(NEXT) | instid1(VALU_DEP_1)
	v_mov_b32_dpp v35, v34 row_shr:2 row_mask:0xf bank_mask:0xf
	v_cndmask_b32_e64 v35, 0, v35, s1
	s_delay_alu instid0(VALU_DEP_1) | instskip(NEXT) | instid1(VALU_DEP_1)
	v_add_nc_u32_e32 v34, v34, v35
	v_mov_b32_dpp v35, v34 row_shr:4 row_mask:0xf bank_mask:0xf
	s_delay_alu instid0(VALU_DEP_1) | instskip(NEXT) | instid1(VALU_DEP_1)
	v_cndmask_b32_e64 v35, 0, v35, s2
	v_add_nc_u32_e32 v34, v34, v35
	s_delay_alu instid0(VALU_DEP_1) | instskip(NEXT) | instid1(VALU_DEP_1)
	v_mov_b32_dpp v35, v34 row_shr:8 row_mask:0xf bank_mask:0xf
	v_cndmask_b32_e64 v35, 0, v35, s3
	s_delay_alu instid0(VALU_DEP_1)
	v_add_nc_u32_e32 v34, v34, v35
	ds_store_b32 v22, v34
.LBB90_12:                              ;   in Loop: Header=BB90_2 Depth=1
	s_or_b32 exec_lo, exec_lo, s9
	v_mov_b32_e32 v34, 0
	s_waitcnt lgkmcnt(0)
	s_barrier
	buffer_gl0_inv
	s_and_saveexec_b32 s9, s6
	s_cbranch_execz .LBB90_1
; %bb.13:                               ;   in Loop: Header=BB90_2 Depth=1
	ds_load_b32 v34, v19
	s_branch .LBB90_1
.LBB90_14:
	s_add_u32 s0, s18, s11
	s_addc_u32 s1, s19, 0
	v_add_co_u32 v3, s0, s0, v8
	s_delay_alu instid0(VALU_DEP_1)
	v_add_co_ci_u32_e64 v4, null, s1, 0, s0
	s_clause 0x2
	global_store_b8 v[3:4], v2, off
	global_store_b8 v[3:4], v0, off offset:512
	global_store_b8 v[3:4], v1, off offset:1024
	s_nop 0
	s_sendmsg sendmsg(MSG_DEALLOC_VGPRS)
	s_endpgm
	.section	.rodata,"a",@progbits
	.p2align	6, 0x0
	.amdhsa_kernel _Z16sort_keys_kernelI22helper_blocked_blockedaLj512ELj3ELj10EEvPKT0_PS1_
		.amdhsa_group_segment_fixed_size 16448
		.amdhsa_private_segment_fixed_size 0
		.amdhsa_kernarg_size 272
		.amdhsa_user_sgpr_count 15
		.amdhsa_user_sgpr_dispatch_ptr 0
		.amdhsa_user_sgpr_queue_ptr 0
		.amdhsa_user_sgpr_kernarg_segment_ptr 1
		.amdhsa_user_sgpr_dispatch_id 0
		.amdhsa_user_sgpr_private_segment_size 0
		.amdhsa_wavefront_size32 1
		.amdhsa_uses_dynamic_stack 0
		.amdhsa_enable_private_segment 0
		.amdhsa_system_sgpr_workgroup_id_x 1
		.amdhsa_system_sgpr_workgroup_id_y 0
		.amdhsa_system_sgpr_workgroup_id_z 0
		.amdhsa_system_sgpr_workgroup_info 0
		.amdhsa_system_vgpr_workitem_id 2
		.amdhsa_next_free_vgpr 36
		.amdhsa_next_free_sgpr 20
		.amdhsa_reserve_vcc 1
		.amdhsa_float_round_mode_32 0
		.amdhsa_float_round_mode_16_64 0
		.amdhsa_float_denorm_mode_32 3
		.amdhsa_float_denorm_mode_16_64 3
		.amdhsa_dx10_clamp 1
		.amdhsa_ieee_mode 1
		.amdhsa_fp16_overflow 0
		.amdhsa_workgroup_processor_mode 1
		.amdhsa_memory_ordered 1
		.amdhsa_forward_progress 0
		.amdhsa_shared_vgpr_count 0
		.amdhsa_exception_fp_ieee_invalid_op 0
		.amdhsa_exception_fp_denorm_src 0
		.amdhsa_exception_fp_ieee_div_zero 0
		.amdhsa_exception_fp_ieee_overflow 0
		.amdhsa_exception_fp_ieee_underflow 0
		.amdhsa_exception_fp_ieee_inexact 0
		.amdhsa_exception_int_div_zero 0
	.end_amdhsa_kernel
	.section	.text._Z16sort_keys_kernelI22helper_blocked_blockedaLj512ELj3ELj10EEvPKT0_PS1_,"axG",@progbits,_Z16sort_keys_kernelI22helper_blocked_blockedaLj512ELj3ELj10EEvPKT0_PS1_,comdat
.Lfunc_end90:
	.size	_Z16sort_keys_kernelI22helper_blocked_blockedaLj512ELj3ELj10EEvPKT0_PS1_, .Lfunc_end90-_Z16sort_keys_kernelI22helper_blocked_blockedaLj512ELj3ELj10EEvPKT0_PS1_
                                        ; -- End function
	.section	.AMDGPU.csdata,"",@progbits
; Kernel info:
; codeLenInByte = 2384
; NumSgprs: 22
; NumVgprs: 36
; ScratchSize: 0
; MemoryBound: 0
; FloatMode: 240
; IeeeMode: 1
; LDSByteSize: 16448 bytes/workgroup (compile time only)
; SGPRBlocks: 2
; VGPRBlocks: 4
; NumSGPRsForWavesPerEU: 22
; NumVGPRsForWavesPerEU: 36
; Occupancy: 16
; WaveLimiterHint : 1
; COMPUTE_PGM_RSRC2:SCRATCH_EN: 0
; COMPUTE_PGM_RSRC2:USER_SGPR: 15
; COMPUTE_PGM_RSRC2:TRAP_HANDLER: 0
; COMPUTE_PGM_RSRC2:TGID_X_EN: 1
; COMPUTE_PGM_RSRC2:TGID_Y_EN: 0
; COMPUTE_PGM_RSRC2:TGID_Z_EN: 0
; COMPUTE_PGM_RSRC2:TIDIG_COMP_CNT: 2
	.section	.text._Z17sort_pairs_kernelI22helper_blocked_blockedaLj512ELj3ELj10EEvPKT0_PS1_,"axG",@progbits,_Z17sort_pairs_kernelI22helper_blocked_blockedaLj512ELj3ELj10EEvPKT0_PS1_,comdat
	.protected	_Z17sort_pairs_kernelI22helper_blocked_blockedaLj512ELj3ELj10EEvPKT0_PS1_ ; -- Begin function _Z17sort_pairs_kernelI22helper_blocked_blockedaLj512ELj3ELj10EEvPKT0_PS1_
	.globl	_Z17sort_pairs_kernelI22helper_blocked_blockedaLj512ELj3ELj10EEvPKT0_PS1_
	.p2align	8
	.type	_Z17sort_pairs_kernelI22helper_blocked_blockedaLj512ELj3ELj10EEvPKT0_PS1_,@function
_Z17sort_pairs_kernelI22helper_blocked_blockedaLj512ELj3ELj10EEvPKT0_PS1_: ; @_Z17sort_pairs_kernelI22helper_blocked_blockedaLj512ELj3ELj10EEvPKT0_PS1_
; %bb.0:
	s_clause 0x1
	s_load_b128 s[16:19], s[0:1], 0x0
	s_load_b32 s9, s[0:1], 0x1c
	s_mul_i32 s11, s15, 0x600
	v_and_b32_e32 v8, 0x3ff, v0
	v_mbcnt_lo_u32_b32 v4, -1, 0
	v_bfe_u32 v6, v0, 10, 10
	v_bfe_u32 v0, v0, 20, 10
	s_mov_b32 s12, 10
	s_delay_alu instid0(VALU_DEP_3)
	v_add_nc_u32_e32 v15, -1, v4
	v_mul_u32_u24_e32 v5, 3, v4
	v_and_b32_e32 v14, 16, v4
	v_cmp_eq_u32_e32 vcc_lo, 0, v4
	v_and_b32_e32 v7, 15, v4
	v_cmp_gt_i32_e64 s7, 0, v15
	s_delay_alu instid0(VALU_DEP_4) | instskip(NEXT) | instid1(VALU_DEP_2)
	v_cmp_eq_u32_e64 s4, 0, v14
	v_cndmask_b32_e64 v15, v15, v4, s7
	s_waitcnt lgkmcnt(0)
	s_add_u32 s0, s16, s11
	s_addc_u32 s1, s17, 0
	s_clause 0x2
	global_load_u8 v2, v8, s[0:1]
	global_load_u8 v1, v8, s[0:1] offset:512
	global_load_u8 v3, v8, s[0:1] offset:1024
	s_mov_b32 s0, 0
	s_lshr_b32 s10, s9, 16
	s_mov_b32 s3, s0
	s_mov_b32 s2, s0
	v_mov_b32_e32 v12, s3
	s_mov_b32 s1, s0
	s_delay_alu instid0(SALU_CYCLE_1)
	v_dual_mov_b32 v11, s2 :: v_dual_mov_b32 v10, s1
	v_mov_b32_e32 v9, s0
	v_cmp_eq_u32_e64 s0, 0, v7
	v_cmp_lt_u32_e64 s1, 1, v7
	v_cmp_lt_u32_e64 s2, 3, v7
	;; [unrolled: 1-line block ×3, first 2 shown]
	v_or_b32_e32 v7, 31, v8
	v_mad_u32_u24 v6, v0, s10, v6
	v_lshrrev_b32_e32 v17, 5, v8
	s_and_b32 s9, s9, 0xffff
	v_lshlrev_b32_e32 v13, 5, v8
	v_cmp_eq_u32_e64 s8, v7, v8
	v_cmp_gt_u32_e64 s5, 16, v8
	v_mul_u32_u24_e32 v20, 0x60, v17
	v_lshlrev_b32_e32 v17, 2, v17
	v_mad_i32_i24 v16, 0xffffffe3, v8, v13
	v_cmp_lt_u32_e64 s6, 31, v8
	v_cmp_eq_u32_e64 s7, 0, v8
	v_add_nc_u32_e32 v14, 64, v13
	v_lshlrev_b32_e32 v15, 2, v15
	v_add_nc_u32_e32 v22, v16, v8
	s_waitcnt vmcnt(2)
	v_add_nc_u16 v7, v2, 1
	s_waitcnt vmcnt(1)
	v_lshlrev_b16 v18, 8, v1
	s_delay_alu instid0(VALU_DEP_2) | instskip(SKIP_3) | instid1(VALU_DEP_3)
	v_and_b32_e32 v1, 0xff, v7
	s_waitcnt vmcnt(0)
	v_add_nc_u16 v7, v3, 1
	v_lshlrev_b32_e32 v3, 16, v3
	v_or_b32_e32 v19, v18, v1
	v_mad_u64_u32 v[0:1], null, v6, s9, v[8:9]
	v_or_b32_e32 v1, v2, v18
	v_and_b32_e32 v2, 0xff, v7
	s_delay_alu instid0(VALU_DEP_4)
	v_add_nc_u16 v6, v19, 0x100
	v_or_b32_e32 v18, v4, v20
	v_add_nc_u32_e32 v19, -4, v17
	v_and_b32_e32 v1, 0xffff, v1
	v_lshlrev_b32_e32 v2, 16, v2
	v_and_b32_e32 v4, 0xffff, v6
	v_add_nc_u32_e32 v20, v5, v20
	v_lshrrev_b32_e32 v21, 5, v0
	v_or_b32_e32 v7, v1, v3
	s_delay_alu instid0(VALU_DEP_4)
	v_or_b32_e32 v0, v4, v2
	s_branch .LBB91_2
.LBB91_1:                               ;   in Loop: Header=BB91_2 Depth=1
	s_or_b32 exec_lo, exec_lo, s9
	s_waitcnt lgkmcnt(0)
	v_add_nc_u32_e32 v3, v37, v3
	s_add_i32 s12, s12, -1
	s_delay_alu instid0(SALU_CYCLE_1) | instskip(SKIP_3) | instid1(VALU_DEP_1)
	s_cmp_eq_u32 s12, 0
	ds_bpermute_b32 v3, v15, v3
	s_waitcnt lgkmcnt(0)
	v_cndmask_b32_e32 v3, v3, v37, vcc_lo
	v_cndmask_b32_e64 v3, v3, 0, s7
	s_delay_alu instid0(VALU_DEP_1) | instskip(NEXT) | instid1(VALU_DEP_1)
	v_add_nc_u32_e32 v4, v3, v4
	v_add_nc_u32_e32 v5, v4, v5
	s_delay_alu instid0(VALU_DEP_1) | instskip(NEXT) | instid1(VALU_DEP_1)
	v_add_nc_u32_e32 v6, v5, v6
	v_add_nc_u32_e32 v37, v6, v7
	;; [unrolled: 3-line block ×3, first 2 shown]
	s_delay_alu instid0(VALU_DEP_1)
	v_add_nc_u32_e32 v1, v0, v2
	ds_store_2addr_b64 v13, v[3:4], v[5:6] offset0:8 offset1:9
	ds_store_2addr_b64 v14, v[37:38], v[0:1] offset0:2 offset1:3
	s_waitcnt lgkmcnt(0)
	s_barrier
	buffer_gl0_inv
	ds_load_b32 v0, v30
	ds_load_b32 v1, v33
	;; [unrolled: 1-line block ×3, first 2 shown]
	s_waitcnt lgkmcnt(0)
	s_barrier
	buffer_gl0_inv
	v_add_nc_u32_e32 v0, v0, v29
	v_add3_u32 v1, v32, v31, v1
	v_add3_u32 v2, v35, v34, v2
	ds_store_b8 v0, v23
	ds_store_b8 v1, v24
	;; [unrolled: 1-line block ×3, first 2 shown]
	s_waitcnt lgkmcnt(0)
	s_barrier
	buffer_gl0_inv
	ds_load_u8 v5, v16
	ds_load_u8 v4, v16 offset:1
	ds_load_u8 v7, v16 offset:2
	s_waitcnt lgkmcnt(0)
	s_barrier
	buffer_gl0_inv
	ds_store_b8 v0, v26
	ds_store_b8 v1, v27
	;; [unrolled: 1-line block ×3, first 2 shown]
	s_waitcnt lgkmcnt(0)
	s_barrier
	buffer_gl0_inv
	ds_load_u8 v1, v16 offset:1
	ds_load_u8 v3, v16
	ds_load_u8 v2, v16 offset:2
	v_xor_b32_e32 v6, 0xffffff80, v5
	v_xor_b32_e32 v4, 0xffffff80, v4
	;; [unrolled: 1-line block ×3, first 2 shown]
	s_delay_alu instid0(VALU_DEP_3) | instskip(NEXT) | instid1(VALU_DEP_3)
	v_and_b32_e32 v23, 0xff, v6
	v_lshlrev_b16 v7, 8, v4
	s_delay_alu instid0(VALU_DEP_3) | instskip(SKIP_2) | instid1(VALU_DEP_3)
	v_and_b32_e32 v24, 0xff, v5
	s_waitcnt lgkmcnt(2)
	v_lshlrev_b16 v0, 8, v1
	v_or_b32_e32 v7, v23, v7
	s_waitcnt lgkmcnt(0)
	v_lshlrev_b32_e32 v23, 16, v2
	s_delay_alu instid0(VALU_DEP_3) | instskip(SKIP_2) | instid1(VALU_DEP_3)
	v_or_b32_e32 v0, v3, v0
	v_lshlrev_b32_e32 v24, 16, v24
	v_and_b32_e32 v7, 0xffff, v7
	v_and_b32_e32 v0, 0xffff, v0
	s_delay_alu instid0(VALU_DEP_2) | instskip(NEXT) | instid1(VALU_DEP_2)
	v_or_b32_e32 v7, v7, v24
	v_or_b32_e32 v0, v0, v23
	s_cbranch_scc1 .LBB91_14
.LBB91_2:                               ; =>This Inner Loop Header: Depth=1
	s_delay_alu instid0(VALU_DEP_2) | instskip(SKIP_2) | instid1(VALU_DEP_3)
	v_lshrrev_b32_e32 v1, 8, v7
	v_lshrrev_b32_e32 v2, 16, v7
	v_xor_b32_e32 v3, 0x80, v7
	v_xor_b32_e32 v1, 0x80, v1
	s_delay_alu instid0(VALU_DEP_3)
	v_xor_b32_e32 v2, 0x80, v2
	ds_store_b8 v20, v3
	ds_store_b8 v20, v1 offset:1
	ds_store_b8 v20, v2 offset:2
	; wave barrier
	ds_load_u8 v23, v18
	v_lshrrev_b32_e32 v1, 8, v0
	ds_load_u8 v24, v18 offset:32
	ds_load_u8 v25, v18 offset:64
	; wave barrier
	ds_store_b8 v20, v0
	ds_store_b8 v20, v1 offset:1
	ds_store_b8_d16_hi v20, v0 offset:2
	; wave barrier
	s_waitcnt lgkmcnt(5)
	v_and_b32_e32 v2, 1, v23
	v_lshlrev_b32_e32 v3, 30, v23
	v_lshlrev_b32_e32 v4, 29, v23
	;; [unrolled: 1-line block ×4, first 2 shown]
	v_add_co_u32 v2, s9, v2, -1
	s_delay_alu instid0(VALU_DEP_1)
	v_cndmask_b32_e64 v6, 0, 1, s9
	v_not_b32_e32 v28, v3
	v_cmp_gt_i32_e64 s10, 0, v3
	v_not_b32_e32 v3, v4
	v_lshlrev_b32_e32 v26, 26, v23
	v_cmp_ne_u32_e64 s9, 0, v6
	v_ashrrev_i32_e32 v28, 31, v28
	v_lshlrev_b32_e32 v27, 25, v23
	v_ashrrev_i32_e32 v3, 31, v3
	v_lshlrev_b32_e32 v6, 24, v23
	v_xor_b32_e32 v2, s9, v2
	v_cmp_gt_i32_e64 s9, 0, v4
	v_not_b32_e32 v4, v5
	v_xor_b32_e32 v28, s10, v28
	v_cmp_gt_i32_e64 s10, 0, v5
	v_and_b32_e32 v2, exec_lo, v2
	v_not_b32_e32 v5, v7
	v_ashrrev_i32_e32 v4, 31, v4
	v_xor_b32_e32 v3, s9, v3
	v_cmp_gt_i32_e64 s9, 0, v7
	v_and_b32_e32 v2, v2, v28
	v_not_b32_e32 v7, v26
	v_ashrrev_i32_e32 v5, 31, v5
	v_xor_b32_e32 v4, s10, v4
	v_cmp_gt_i32_e64 s10, 0, v26
	v_and_b32_e32 v2, v2, v3
	v_not_b32_e32 v3, v27
	v_ashrrev_i32_e32 v7, 31, v7
	v_xor_b32_e32 v5, s9, v5
	v_cmp_gt_i32_e64 s9, 0, v27
	v_and_b32_e32 v2, v2, v4
	v_not_b32_e32 v4, v6
	v_ashrrev_i32_e32 v3, 31, v3
	v_xor_b32_e32 v7, s10, v7
	v_cmp_gt_i32_e64 s10, 0, v6
	v_and_b32_e32 v2, v2, v5
	v_ashrrev_i32_e32 v4, 31, v4
	v_xor_b32_e32 v3, s9, v3
	ds_load_u8 v26, v18
	ds_load_u8 v27, v18 offset:32
	ds_load_u8 v28, v18 offset:64
	s_waitcnt lgkmcnt(0)
	v_and_b32_e32 v2, v2, v7
	v_xor_b32_e32 v0, s10, v4
	s_barrier
	buffer_gl0_inv
	ds_store_2addr_b64 v13, v[9:10], v[11:12] offset0:8 offset1:9
	ds_store_2addr_b64 v14, v[9:10], v[11:12] offset0:2 offset1:3
	v_and_b32_e32 v1, v2, v3
	s_waitcnt lgkmcnt(0)
	s_barrier
	buffer_gl0_inv
	v_and_b32_e32 v0, v1, v0
	v_and_b32_e32 v1, 0xff, v23
	; wave barrier
	s_delay_alu instid0(VALU_DEP_2) | instskip(NEXT) | instid1(VALU_DEP_2)
	v_mbcnt_lo_u32_b32 v29, v0, 0
	v_lshl_add_u32 v1, v1, 4, v21
	v_cmp_ne_u32_e64 s10, 0, v0
	s_delay_alu instid0(VALU_DEP_3) | instskip(NEXT) | instid1(VALU_DEP_3)
	v_cmp_eq_u32_e64 s9, 0, v29
	v_lshl_add_u32 v30, v1, 2, 64
	s_delay_alu instid0(VALU_DEP_2) | instskip(NEXT) | instid1(SALU_CYCLE_1)
	s_and_b32 s10, s10, s9
	s_and_saveexec_b32 s9, s10
	s_cbranch_execz .LBB91_4
; %bb.3:                                ;   in Loop: Header=BB91_2 Depth=1
	v_bcnt_u32_b32 v0, v0, 0
	ds_store_b32 v30, v0
.LBB91_4:                               ;   in Loop: Header=BB91_2 Depth=1
	s_or_b32 exec_lo, exec_lo, s9
	v_and_b32_e32 v0, 1, v24
	v_lshlrev_b32_e32 v2, 30, v24
	v_lshlrev_b32_e32 v4, 29, v24
	;; [unrolled: 1-line block ×4, first 2 shown]
	v_add_co_u32 v0, s9, v0, -1
	s_delay_alu instid0(VALU_DEP_1)
	v_cndmask_b32_e64 v3, 0, 1, s9
	v_not_b32_e32 v7, v2
	v_cmp_gt_i32_e64 s10, 0, v2
	v_not_b32_e32 v2, v4
	v_and_b32_e32 v1, 0xff, v24
	v_cmp_ne_u32_e64 s9, 0, v3
	v_ashrrev_i32_e32 v7, 31, v7
	v_lshlrev_b32_e32 v3, 26, v24
	v_ashrrev_i32_e32 v2, 31, v2
	v_lshlrev_b32_e32 v1, 4, v1
	v_xor_b32_e32 v0, s9, v0
	v_cmp_gt_i32_e64 s9, 0, v4
	v_not_b32_e32 v4, v5
	v_xor_b32_e32 v7, s10, v7
	v_cmp_gt_i32_e64 s10, 0, v5
	v_and_b32_e32 v0, exec_lo, v0
	v_not_b32_e32 v5, v6
	v_ashrrev_i32_e32 v4, 31, v4
	v_xor_b32_e32 v2, s9, v2
	v_cmp_gt_i32_e64 s9, 0, v6
	v_and_b32_e32 v0, v0, v7
	v_lshlrev_b32_e32 v7, 25, v24
	v_ashrrev_i32_e32 v5, 31, v5
	v_xor_b32_e32 v4, s10, v4
	v_not_b32_e32 v6, v3
	v_and_b32_e32 v0, v0, v2
	v_lshlrev_b32_e32 v2, 24, v24
	v_not_b32_e32 v31, v7
	v_xor_b32_e32 v5, s9, v5
	v_cmp_gt_i32_e64 s9, 0, v3
	v_and_b32_e32 v0, v0, v4
	v_ashrrev_i32_e32 v3, 31, v6
	v_cmp_gt_i32_e64 s10, 0, v7
	v_ashrrev_i32_e32 v4, 31, v31
	v_add_lshl_u32 v1, v21, v1, 2
	v_and_b32_e32 v0, v0, v5
	v_not_b32_e32 v5, v2
	v_xor_b32_e32 v3, s9, v3
	v_xor_b32_e32 v4, s10, v4
	v_cmp_gt_i32_e64 s9, 0, v2
	s_delay_alu instid0(VALU_DEP_4) | instskip(NEXT) | instid1(VALU_DEP_4)
	v_ashrrev_i32_e32 v2, 31, v5
	v_and_b32_e32 v0, v0, v3
	; wave barrier
	ds_load_b32 v31, v1 offset:64
	v_add_nc_u32_e32 v33, 64, v1
	v_xor_b32_e32 v2, s9, v2
	v_and_b32_e32 v0, v0, v4
	; wave barrier
	s_delay_alu instid0(VALU_DEP_1) | instskip(NEXT) | instid1(VALU_DEP_1)
	v_and_b32_e32 v0, v0, v2
	v_mbcnt_lo_u32_b32 v32, v0, 0
	v_cmp_ne_u32_e64 s10, 0, v0
	s_delay_alu instid0(VALU_DEP_2) | instskip(NEXT) | instid1(VALU_DEP_1)
	v_cmp_eq_u32_e64 s9, 0, v32
	s_and_b32 s10, s10, s9
	s_delay_alu instid0(SALU_CYCLE_1)
	s_and_saveexec_b32 s9, s10
	s_cbranch_execz .LBB91_6
; %bb.5:                                ;   in Loop: Header=BB91_2 Depth=1
	s_waitcnt lgkmcnt(0)
	v_bcnt_u32_b32 v0, v0, v31
	ds_store_b32 v33, v0
.LBB91_6:                               ;   in Loop: Header=BB91_2 Depth=1
	s_or_b32 exec_lo, exec_lo, s9
	v_and_b32_e32 v0, 1, v25
	v_lshlrev_b32_e32 v2, 30, v25
	v_lshlrev_b32_e32 v4, 29, v25
	;; [unrolled: 1-line block ×4, first 2 shown]
	v_add_co_u32 v0, s9, v0, -1
	s_delay_alu instid0(VALU_DEP_1)
	v_cndmask_b32_e64 v3, 0, 1, s9
	v_not_b32_e32 v7, v2
	v_cmp_gt_i32_e64 s10, 0, v2
	v_not_b32_e32 v2, v4
	v_and_b32_e32 v1, 0xff, v25
	v_cmp_ne_u32_e64 s9, 0, v3
	v_ashrrev_i32_e32 v7, 31, v7
	v_lshlrev_b32_e32 v3, 26, v25
	v_ashrrev_i32_e32 v2, 31, v2
	v_lshlrev_b32_e32 v1, 4, v1
	v_xor_b32_e32 v0, s9, v0
	v_cmp_gt_i32_e64 s9, 0, v4
	v_not_b32_e32 v4, v5
	v_xor_b32_e32 v7, s10, v7
	v_cmp_gt_i32_e64 s10, 0, v5
	v_and_b32_e32 v0, exec_lo, v0
	v_not_b32_e32 v5, v6
	v_ashrrev_i32_e32 v4, 31, v4
	v_xor_b32_e32 v2, s9, v2
	v_cmp_gt_i32_e64 s9, 0, v6
	v_and_b32_e32 v0, v0, v7
	v_lshlrev_b32_e32 v7, 25, v25
	v_ashrrev_i32_e32 v5, 31, v5
	v_xor_b32_e32 v4, s10, v4
	v_not_b32_e32 v6, v3
	v_and_b32_e32 v0, v0, v2
	v_lshlrev_b32_e32 v2, 24, v25
	v_not_b32_e32 v34, v7
	v_xor_b32_e32 v5, s9, v5
	v_cmp_gt_i32_e64 s9, 0, v3
	v_and_b32_e32 v0, v0, v4
	v_ashrrev_i32_e32 v3, 31, v6
	v_cmp_gt_i32_e64 s10, 0, v7
	v_ashrrev_i32_e32 v4, 31, v34
	v_add_lshl_u32 v1, v21, v1, 2
	v_and_b32_e32 v0, v0, v5
	v_not_b32_e32 v5, v2
	v_xor_b32_e32 v3, s9, v3
	v_xor_b32_e32 v4, s10, v4
	v_cmp_gt_i32_e64 s9, 0, v2
	s_delay_alu instid0(VALU_DEP_4) | instskip(NEXT) | instid1(VALU_DEP_4)
	v_ashrrev_i32_e32 v2, 31, v5
	v_and_b32_e32 v0, v0, v3
	; wave barrier
	ds_load_b32 v34, v1 offset:64
	v_add_nc_u32_e32 v36, 64, v1
	v_xor_b32_e32 v2, s9, v2
	v_and_b32_e32 v0, v0, v4
	; wave barrier
	s_delay_alu instid0(VALU_DEP_1) | instskip(NEXT) | instid1(VALU_DEP_1)
	v_and_b32_e32 v0, v0, v2
	v_mbcnt_lo_u32_b32 v35, v0, 0
	v_cmp_ne_u32_e64 s10, 0, v0
	s_delay_alu instid0(VALU_DEP_2) | instskip(NEXT) | instid1(VALU_DEP_1)
	v_cmp_eq_u32_e64 s9, 0, v35
	s_and_b32 s10, s10, s9
	s_delay_alu instid0(SALU_CYCLE_1)
	s_and_saveexec_b32 s9, s10
	s_cbranch_execz .LBB91_8
; %bb.7:                                ;   in Loop: Header=BB91_2 Depth=1
	s_waitcnt lgkmcnt(0)
	v_bcnt_u32_b32 v0, v0, v34
	ds_store_b32 v36, v0
.LBB91_8:                               ;   in Loop: Header=BB91_2 Depth=1
	s_or_b32 exec_lo, exec_lo, s9
	; wave barrier
	s_waitcnt lgkmcnt(0)
	s_barrier
	buffer_gl0_inv
	ds_load_2addr_b64 v[4:7], v13 offset0:8 offset1:9
	ds_load_2addr_b64 v[0:3], v14 offset0:2 offset1:3
	s_waitcnt lgkmcnt(1)
	v_add_nc_u32_e32 v37, v5, v4
	s_delay_alu instid0(VALU_DEP_1) | instskip(SKIP_1) | instid1(VALU_DEP_1)
	v_add3_u32 v37, v37, v6, v7
	s_waitcnt lgkmcnt(0)
	v_add3_u32 v37, v37, v0, v1
	s_delay_alu instid0(VALU_DEP_1) | instskip(NEXT) | instid1(VALU_DEP_1)
	v_add3_u32 v3, v37, v2, v3
	v_mov_b32_dpp v37, v3 row_shr:1 row_mask:0xf bank_mask:0xf
	s_delay_alu instid0(VALU_DEP_1) | instskip(NEXT) | instid1(VALU_DEP_1)
	v_cndmask_b32_e64 v37, v37, 0, s0
	v_add_nc_u32_e32 v3, v37, v3
	s_delay_alu instid0(VALU_DEP_1) | instskip(NEXT) | instid1(VALU_DEP_1)
	v_mov_b32_dpp v37, v3 row_shr:2 row_mask:0xf bank_mask:0xf
	v_cndmask_b32_e64 v37, 0, v37, s1
	s_delay_alu instid0(VALU_DEP_1) | instskip(NEXT) | instid1(VALU_DEP_1)
	v_add_nc_u32_e32 v3, v3, v37
	v_mov_b32_dpp v37, v3 row_shr:4 row_mask:0xf bank_mask:0xf
	s_delay_alu instid0(VALU_DEP_1) | instskip(NEXT) | instid1(VALU_DEP_1)
	v_cndmask_b32_e64 v37, 0, v37, s2
	v_add_nc_u32_e32 v3, v3, v37
	s_delay_alu instid0(VALU_DEP_1) | instskip(NEXT) | instid1(VALU_DEP_1)
	v_mov_b32_dpp v37, v3 row_shr:8 row_mask:0xf bank_mask:0xf
	v_cndmask_b32_e64 v37, 0, v37, s3
	s_delay_alu instid0(VALU_DEP_1) | instskip(SKIP_3) | instid1(VALU_DEP_1)
	v_add_nc_u32_e32 v3, v3, v37
	ds_swizzle_b32 v37, v3 offset:swizzle(BROADCAST,32,15)
	s_waitcnt lgkmcnt(0)
	v_cndmask_b32_e64 v37, v37, 0, s4
	v_add_nc_u32_e32 v3, v3, v37
	s_and_saveexec_b32 s9, s8
	s_cbranch_execz .LBB91_10
; %bb.9:                                ;   in Loop: Header=BB91_2 Depth=1
	ds_store_b32 v17, v3
.LBB91_10:                              ;   in Loop: Header=BB91_2 Depth=1
	s_or_b32 exec_lo, exec_lo, s9
	s_waitcnt lgkmcnt(0)
	s_barrier
	buffer_gl0_inv
	s_and_saveexec_b32 s9, s5
	s_cbranch_execz .LBB91_12
; %bb.11:                               ;   in Loop: Header=BB91_2 Depth=1
	ds_load_b32 v37, v22
	s_waitcnt lgkmcnt(0)
	v_mov_b32_dpp v38, v37 row_shr:1 row_mask:0xf bank_mask:0xf
	s_delay_alu instid0(VALU_DEP_1) | instskip(NEXT) | instid1(VALU_DEP_1)
	v_cndmask_b32_e64 v38, v38, 0, s0
	v_add_nc_u32_e32 v37, v38, v37
	s_delay_alu instid0(VALU_DEP_1) | instskip(NEXT) | instid1(VALU_DEP_1)
	v_mov_b32_dpp v38, v37 row_shr:2 row_mask:0xf bank_mask:0xf
	v_cndmask_b32_e64 v38, 0, v38, s1
	s_delay_alu instid0(VALU_DEP_1) | instskip(NEXT) | instid1(VALU_DEP_1)
	v_add_nc_u32_e32 v37, v37, v38
	v_mov_b32_dpp v38, v37 row_shr:4 row_mask:0xf bank_mask:0xf
	s_delay_alu instid0(VALU_DEP_1) | instskip(NEXT) | instid1(VALU_DEP_1)
	v_cndmask_b32_e64 v38, 0, v38, s2
	v_add_nc_u32_e32 v37, v37, v38
	s_delay_alu instid0(VALU_DEP_1) | instskip(NEXT) | instid1(VALU_DEP_1)
	v_mov_b32_dpp v38, v37 row_shr:8 row_mask:0xf bank_mask:0xf
	v_cndmask_b32_e64 v38, 0, v38, s3
	s_delay_alu instid0(VALU_DEP_1)
	v_add_nc_u32_e32 v37, v37, v38
	ds_store_b32 v22, v37
.LBB91_12:                              ;   in Loop: Header=BB91_2 Depth=1
	s_or_b32 exec_lo, exec_lo, s9
	v_mov_b32_e32 v37, 0
	s_waitcnt lgkmcnt(0)
	s_barrier
	buffer_gl0_inv
	s_and_saveexec_b32 s9, s6
	s_cbranch_execz .LBB91_1
; %bb.13:                               ;   in Loop: Header=BB91_2 Depth=1
	ds_load_b32 v37, v19
	s_branch .LBB91_1
.LBB91_14:
	s_add_u32 s0, s18, s11
	v_add_nc_u16 v0, v6, v3
	s_addc_u32 s1, s19, 0
	v_add_co_u32 v6, s0, s0, v8
	s_delay_alu instid0(VALU_DEP_1)
	v_add_co_ci_u32_e64 v7, null, s1, 0, s0
	v_add_nc_u16 v1, v4, v1
	v_add_nc_u16 v2, v5, v2
	s_clause 0x2
	global_store_b8 v[6:7], v0, off
	global_store_b8 v[6:7], v1, off offset:512
	global_store_b8 v[6:7], v2, off offset:1024
	s_nop 0
	s_sendmsg sendmsg(MSG_DEALLOC_VGPRS)
	s_endpgm
	.section	.rodata,"a",@progbits
	.p2align	6, 0x0
	.amdhsa_kernel _Z17sort_pairs_kernelI22helper_blocked_blockedaLj512ELj3ELj10EEvPKT0_PS1_
		.amdhsa_group_segment_fixed_size 16448
		.amdhsa_private_segment_fixed_size 0
		.amdhsa_kernarg_size 272
		.amdhsa_user_sgpr_count 15
		.amdhsa_user_sgpr_dispatch_ptr 0
		.amdhsa_user_sgpr_queue_ptr 0
		.amdhsa_user_sgpr_kernarg_segment_ptr 1
		.amdhsa_user_sgpr_dispatch_id 0
		.amdhsa_user_sgpr_private_segment_size 0
		.amdhsa_wavefront_size32 1
		.amdhsa_uses_dynamic_stack 0
		.amdhsa_enable_private_segment 0
		.amdhsa_system_sgpr_workgroup_id_x 1
		.amdhsa_system_sgpr_workgroup_id_y 0
		.amdhsa_system_sgpr_workgroup_id_z 0
		.amdhsa_system_sgpr_workgroup_info 0
		.amdhsa_system_vgpr_workitem_id 2
		.amdhsa_next_free_vgpr 39
		.amdhsa_next_free_sgpr 20
		.amdhsa_reserve_vcc 1
		.amdhsa_float_round_mode_32 0
		.amdhsa_float_round_mode_16_64 0
		.amdhsa_float_denorm_mode_32 3
		.amdhsa_float_denorm_mode_16_64 3
		.amdhsa_dx10_clamp 1
		.amdhsa_ieee_mode 1
		.amdhsa_fp16_overflow 0
		.amdhsa_workgroup_processor_mode 1
		.amdhsa_memory_ordered 1
		.amdhsa_forward_progress 0
		.amdhsa_shared_vgpr_count 0
		.amdhsa_exception_fp_ieee_invalid_op 0
		.amdhsa_exception_fp_denorm_src 0
		.amdhsa_exception_fp_ieee_div_zero 0
		.amdhsa_exception_fp_ieee_overflow 0
		.amdhsa_exception_fp_ieee_underflow 0
		.amdhsa_exception_fp_ieee_inexact 0
		.amdhsa_exception_int_div_zero 0
	.end_amdhsa_kernel
	.section	.text._Z17sort_pairs_kernelI22helper_blocked_blockedaLj512ELj3ELj10EEvPKT0_PS1_,"axG",@progbits,_Z17sort_pairs_kernelI22helper_blocked_blockedaLj512ELj3ELj10EEvPKT0_PS1_,comdat
.Lfunc_end91:
	.size	_Z17sort_pairs_kernelI22helper_blocked_blockedaLj512ELj3ELj10EEvPKT0_PS1_, .Lfunc_end91-_Z17sort_pairs_kernelI22helper_blocked_blockedaLj512ELj3ELj10EEvPKT0_PS1_
                                        ; -- End function
	.section	.AMDGPU.csdata,"",@progbits
; Kernel info:
; codeLenInByte = 2636
; NumSgprs: 22
; NumVgprs: 39
; ScratchSize: 0
; MemoryBound: 0
; FloatMode: 240
; IeeeMode: 1
; LDSByteSize: 16448 bytes/workgroup (compile time only)
; SGPRBlocks: 2
; VGPRBlocks: 4
; NumSGPRsForWavesPerEU: 22
; NumVGPRsForWavesPerEU: 39
; Occupancy: 16
; WaveLimiterHint : 1
; COMPUTE_PGM_RSRC2:SCRATCH_EN: 0
; COMPUTE_PGM_RSRC2:USER_SGPR: 15
; COMPUTE_PGM_RSRC2:TRAP_HANDLER: 0
; COMPUTE_PGM_RSRC2:TGID_X_EN: 1
; COMPUTE_PGM_RSRC2:TGID_Y_EN: 0
; COMPUTE_PGM_RSRC2:TGID_Z_EN: 0
; COMPUTE_PGM_RSRC2:TIDIG_COMP_CNT: 2
	.section	.text._Z16sort_keys_kernelI22helper_blocked_blockedaLj512ELj4ELj10EEvPKT0_PS1_,"axG",@progbits,_Z16sort_keys_kernelI22helper_blocked_blockedaLj512ELj4ELj10EEvPKT0_PS1_,comdat
	.protected	_Z16sort_keys_kernelI22helper_blocked_blockedaLj512ELj4ELj10EEvPKT0_PS1_ ; -- Begin function _Z16sort_keys_kernelI22helper_blocked_blockedaLj512ELj4ELj10EEvPKT0_PS1_
	.globl	_Z16sort_keys_kernelI22helper_blocked_blockedaLj512ELj4ELj10EEvPKT0_PS1_
	.p2align	8
	.type	_Z16sort_keys_kernelI22helper_blocked_blockedaLj512ELj4ELj10EEvPKT0_PS1_,@function
_Z16sort_keys_kernelI22helper_blocked_blockedaLj512ELj4ELj10EEvPKT0_PS1_: ; @_Z16sort_keys_kernelI22helper_blocked_blockedaLj512ELj4ELj10EEvPKT0_PS1_
; %bb.0:
	s_clause 0x1
	s_load_b128 s[16:19], s[0:1], 0x0
	s_load_b32 s12, s[0:1], 0x1c
	s_lshl_b32 s15, s15, 11
	v_and_b32_e32 v8, 0x3ff, v0
	v_mbcnt_lo_u32_b32 v5, -1, 0
	v_bfe_u32 v7, v0, 10, 10
	v_bfe_u32 v0, v0, 20, 10
	s_delay_alu instid0(VALU_DEP_3)
	v_and_b32_e32 v19, 16, v5
	v_add_nc_u32_e32 v20, -1, v5
	v_and_b32_e32 v6, 3, v5
	v_and_b32_e32 v18, 15, v5
	v_cmp_eq_u32_e32 vcc_lo, 0, v5
	v_cmp_eq_u32_e64 s8, 0, v19
	v_cmp_gt_i32_e64 s11, 0, v20
	v_and_b32_e32 v13, 28, v5
	v_cmp_eq_u32_e64 s4, 0, v18
	v_cmp_lt_u32_e64 s5, 1, v18
	v_cmp_lt_u32_e64 s6, 3, v18
	s_waitcnt lgkmcnt(0)
	s_add_u32 s0, s16, s15
	s_addc_u32 s1, s17, 0
	s_clause 0x3
	global_load_u8 v1, v8, s[0:1] offset:512
	global_load_u8 v2, v8, s[0:1] offset:1536
	global_load_u8 v3, v8, s[0:1]
	global_load_u8 v4, v8, s[0:1] offset:1024
	s_mov_b32 s0, 0
	s_lshr_b32 s13, s12, 16
	s_mov_b32 s1, s0
	s_mov_b32 s2, s0
	;; [unrolled: 1-line block ×3, first 2 shown]
	v_dual_mov_b32 v10, s1 :: v_dual_mov_b32 v9, s0
	v_mad_u32_u24 v7, v0, s13, v7
	v_lshrrev_b32_e32 v19, 3, v8
	s_and_b32 s12, s12, 0xffff
	v_dual_mov_b32 v12, s3 :: v_dual_mov_b32 v11, s2
	v_cmp_eq_u32_e64 s0, 3, v6
	v_cmp_eq_u32_e64 s1, 2, v6
	;; [unrolled: 1-line block ×4, first 2 shown]
	v_lshlrev_b32_e32 v17, 5, v8
	v_or_b32_e32 v6, 31, v8
	v_cndmask_b32_e64 v5, v20, v5, s11
	v_mul_i32_i24_e32 v23, 0xffffffe4, v8
	v_and_b32_e32 v19, 60, v19
	v_or_b32_e32 v14, 32, v13
	v_or_b32_e32 v15, 64, v13
	;; [unrolled: 1-line block ×3, first 2 shown]
	v_cmp_lt_u32_e64 s7, 7, v18
	v_cmp_gt_u32_e64 s9, 16, v8
	v_cmp_lt_u32_e64 s10, 31, v8
	v_cmp_eq_u32_e64 s11, 0, v8
	v_add_nc_u32_e32 v18, 64, v17
	v_lshlrev_b32_e32 v20, 2, v5
	v_add_nc_u32_e32 v21, -4, v19
	v_add_nc_u32_e32 v23, v17, v23
	s_mov_b32 s16, 10
	s_waitcnt vmcnt(3)
	v_lshlrev_b16 v1, 8, v1
	s_waitcnt vmcnt(2)
	v_lshlrev_b16 v2, 8, v2
	s_waitcnt vmcnt(1)
	s_delay_alu instid0(VALU_DEP_2) | instskip(SKIP_1) | instid1(VALU_DEP_2)
	v_or_b32_e32 v3, v3, v1
	s_waitcnt vmcnt(0)
	v_or_b32_e32 v2, v4, v2
	v_mad_u64_u32 v[0:1], null, v7, s12, v[8:9]
	v_cmp_eq_u32_e64 s12, v6, v8
	v_and_b32_e32 v1, 0xffff, v3
	s_delay_alu instid0(VALU_DEP_4) | instskip(NEXT) | instid1(VALU_DEP_4)
	v_lshlrev_b32_e32 v2, 16, v2
	v_lshrrev_b32_e32 v22, 5, v0
	s_delay_alu instid0(VALU_DEP_2)
	v_or_b32_e32 v0, v1, v2
	s_branch .LBB92_2
.LBB92_1:                               ;   in Loop: Header=BB92_2 Depth=1
	s_or_b32 exec_lo, exec_lo, s13
	s_waitcnt lgkmcnt(0)
	v_add_nc_u32_e32 v3, v39, v3
	s_add_i32 s16, s16, -1
	s_delay_alu instid0(SALU_CYCLE_1) | instskip(SKIP_3) | instid1(VALU_DEP_1)
	s_cmp_eq_u32 s16, 0
	ds_bpermute_b32 v3, v20, v3
	s_waitcnt lgkmcnt(0)
	v_cndmask_b32_e32 v3, v3, v39, vcc_lo
	v_cndmask_b32_e64 v3, v3, 0, s11
	s_delay_alu instid0(VALU_DEP_1) | instskip(NEXT) | instid1(VALU_DEP_1)
	v_add_nc_u32_e32 v4, v3, v4
	v_add_nc_u32_e32 v5, v4, v5
	s_delay_alu instid0(VALU_DEP_1) | instskip(NEXT) | instid1(VALU_DEP_1)
	v_add_nc_u32_e32 v6, v5, v6
	v_add_nc_u32_e32 v39, v6, v7
	;; [unrolled: 3-line block ×3, first 2 shown]
	s_delay_alu instid0(VALU_DEP_1)
	v_add_nc_u32_e32 v1, v0, v2
	ds_store_2addr_b64 v17, v[3:4], v[5:6] offset0:8 offset1:9
	ds_store_2addr_b64 v18, v[39:40], v[0:1] offset0:2 offset1:3
	s_waitcnt lgkmcnt(0)
	s_barrier
	buffer_gl0_inv
	ds_load_b32 v0, v26
	ds_load_b32 v1, v30
	;; [unrolled: 1-line block ×4, first 2 shown]
	s_waitcnt lgkmcnt(0)
	s_barrier
	buffer_gl0_inv
	v_add_nc_u32_e32 v0, v0, v25
	v_add3_u32 v1, v29, v28, v1
	v_add3_u32 v2, v33, v32, v2
	;; [unrolled: 1-line block ×3, first 2 shown]
	ds_store_b8 v0, v24
	ds_store_b8 v1, v27
	;; [unrolled: 1-line block ×4, first 2 shown]
	s_waitcnt lgkmcnt(0)
	s_barrier
	buffer_gl0_inv
	ds_load_b32 v0, v23
	s_waitcnt lgkmcnt(0)
	v_lshrrev_b32_e32 v2, 8, v0
	v_lshrrev_b32_e32 v3, 24, v0
	;; [unrolled: 1-line block ×3, first 2 shown]
	v_xor_b32_e32 v1, 0xffffff80, v0
	s_delay_alu instid0(VALU_DEP_4) | instskip(NEXT) | instid1(VALU_DEP_4)
	v_xor_b32_e32 v2, 0xffffff80, v2
	v_xor_b32_e32 v3, 0xffffff80, v3
	s_delay_alu instid0(VALU_DEP_4) | instskip(NEXT) | instid1(VALU_DEP_4)
	v_xor_b32_e32 v4, 0xffffff80, v4
	v_and_b32_e32 v0, 0xff, v1
	s_delay_alu instid0(VALU_DEP_4) | instskip(NEXT) | instid1(VALU_DEP_4)
	v_lshlrev_b16 v5, 8, v2
	v_lshlrev_b16 v6, 8, v3
	s_delay_alu instid0(VALU_DEP_4) | instskip(NEXT) | instid1(VALU_DEP_3)
	v_and_b32_e32 v7, 0xff, v4
	v_or_b32_e32 v0, v0, v5
	s_delay_alu instid0(VALU_DEP_2) | instskip(NEXT) | instid1(VALU_DEP_2)
	v_or_b32_e32 v5, v7, v6
	v_and_b32_e32 v0, 0xffff, v0
	s_delay_alu instid0(VALU_DEP_2) | instskip(NEXT) | instid1(VALU_DEP_1)
	v_lshlrev_b32_e32 v5, 16, v5
	v_or_b32_e32 v0, v0, v5
	s_cbranch_scc1 .LBB92_16
.LBB92_2:                               ; =>This Inner Loop Header: Depth=1
	s_delay_alu instid0(VALU_DEP_1) | instskip(SKIP_3) | instid1(VALU_DEP_4)
	v_lshrrev_b32_e32 v1, 8, v0
	v_xor_b32_e32 v2, 0x80, v0
	v_lshrrev_b32_e32 v3, 16, v0
	v_lshrrev_b32_e32 v0, 24, v0
	v_xor_b32_e32 v1, 0x80, v1
	s_delay_alu instid0(VALU_DEP_4) | instskip(NEXT) | instid1(VALU_DEP_4)
	v_and_b32_e32 v2, 0xff, v2
	v_xor_b32_e32 v3, 0x80, v3
	s_delay_alu instid0(VALU_DEP_4)
	v_xor_b32_e32 v0, 0x80, v0
	s_barrier
	v_and_b32_e32 v1, 0xff, v1
	ds_bpermute_b32 v4, v13, v2
	v_and_b32_e32 v3, 0xff, v3
	v_and_b32_e32 v0, 0xffff, v0
	s_waitcnt lgkmcnt(0)
	buffer_gl0_inv
	ds_bpermute_b32 v5, v13, v1
	ds_store_2addr_b64 v17, v[9:10], v[11:12] offset0:8 offset1:9
	ds_store_2addr_b64 v18, v[9:10], v[11:12] offset0:2 offset1:3
	ds_bpermute_b32 v6, v13, v3
	ds_bpermute_b32 v7, v13, v0
	s_waitcnt lgkmcnt(0)
	s_barrier
	buffer_gl0_inv
	; wave barrier
	v_perm_b32 v5, v5, v4, 0x3020104
	s_delay_alu instid0(VALU_DEP_1) | instskip(SKIP_2) | instid1(VALU_DEP_1)
	v_cndmask_b32_e64 v4, v4, v5, s2
	ds_bpermute_b32 v5, v14, v2
	v_perm_b32 v6, v6, v4, 0x3020104
	v_cndmask_b32_e64 v4, v4, v6, s1
	s_delay_alu instid0(VALU_DEP_1) | instskip(SKIP_4) | instid1(VALU_DEP_2)
	v_perm_b32 v6, v7, v4, 0x3020104
	ds_bpermute_b32 v7, v14, v1
	v_cndmask_b32_e64 v4, v4, v6, s0
	s_waitcnt lgkmcnt(1)
	v_lshlrev_b16 v5, 8, v5
	v_and_b32_e32 v6, 0xff, v4
	s_delay_alu instid0(VALU_DEP_1) | instskip(NEXT) | instid1(VALU_DEP_1)
	v_or_b32_e32 v5, v6, v5
	v_and_b32_e32 v5, 0xffff, v5
	s_delay_alu instid0(VALU_DEP_1) | instskip(NEXT) | instid1(VALU_DEP_1)
	v_and_or_b32 v5, 0xffff0000, v4, v5
	v_cndmask_b32_e64 v4, v4, v5, s3
	s_waitcnt lgkmcnt(0)
	v_lshlrev_b16 v5, 8, v7
	ds_bpermute_b32 v7, v14, v3
	v_and_b32_e32 v6, 0xff, v4
	s_delay_alu instid0(VALU_DEP_1) | instskip(NEXT) | instid1(VALU_DEP_1)
	v_or_b32_e32 v5, v6, v5
	v_and_b32_e32 v5, 0xffff, v5
	s_delay_alu instid0(VALU_DEP_1) | instskip(NEXT) | instid1(VALU_DEP_1)
	v_and_or_b32 v5, 0xffff0000, v4, v5
	v_cndmask_b32_e64 v4, v4, v5, s2
	s_waitcnt lgkmcnt(0)
	v_lshlrev_b16 v5, 8, v7
	ds_bpermute_b32 v7, v14, v0
	v_and_b32_e32 v6, 0xff, v4
	s_delay_alu instid0(VALU_DEP_1) | instskip(NEXT) | instid1(VALU_DEP_1)
	v_or_b32_e32 v5, v6, v5
	v_and_b32_e32 v5, 0xffff, v5
	s_delay_alu instid0(VALU_DEP_1) | instskip(NEXT) | instid1(VALU_DEP_1)
	v_and_or_b32 v5, 0xffff0000, v4, v5
	v_cndmask_b32_e64 v4, v4, v5, s1
	s_waitcnt lgkmcnt(0)
	v_lshlrev_b16 v5, 8, v7
	s_delay_alu instid0(VALU_DEP_2) | instskip(NEXT) | instid1(VALU_DEP_1)
	v_and_b32_e32 v6, 0xff, v4
	v_or_b32_e32 v5, v6, v5
	ds_bpermute_b32 v6, v15, v2
	ds_bpermute_b32 v2, v16, v2
	v_and_b32_e32 v5, 0xffff, v5
	s_delay_alu instid0(VALU_DEP_1) | instskip(NEXT) | instid1(VALU_DEP_1)
	v_and_or_b32 v5, 0xffff0000, v4, v5
	v_cndmask_b32_e64 v4, v4, v5, s0
	s_delay_alu instid0(VALU_DEP_1)
	v_lshrrev_b32_e32 v5, 16, v4
	s_waitcnt lgkmcnt(1)
	v_and_b32_e32 v6, 0xff, v6
	s_waitcnt lgkmcnt(0)
	v_lshlrev_b16 v2, 8, v2
	v_and_b32_e32 v5, 0xffffff00, v5
	s_delay_alu instid0(VALU_DEP_1) | instskip(SKIP_3) | instid1(VALU_DEP_1)
	v_or_b32_e32 v5, v6, v5
	ds_bpermute_b32 v6, v15, v1
	ds_bpermute_b32 v1, v16, v1
	v_lshlrev_b32_e32 v5, 16, v5
	v_and_or_b32 v5, 0xffff, v4, v5
	s_delay_alu instid0(VALU_DEP_1) | instskip(NEXT) | instid1(VALU_DEP_1)
	v_cndmask_b32_e64 v4, v4, v5, s3
	v_lshrrev_b32_e32 v5, 16, v4
	s_waitcnt lgkmcnt(1)
	v_and_b32_e32 v6, 0xff, v6
	s_waitcnt lgkmcnt(0)
	v_lshlrev_b16 v1, 8, v1
	v_and_b32_e32 v5, 0xffffff00, v5
	s_delay_alu instid0(VALU_DEP_1) | instskip(SKIP_3) | instid1(VALU_DEP_1)
	v_or_b32_e32 v5, v6, v5
	ds_bpermute_b32 v6, v15, v3
	ds_bpermute_b32 v3, v16, v3
	v_lshlrev_b32_e32 v5, 16, v5
	v_and_or_b32 v5, 0xffff, v4, v5
	s_delay_alu instid0(VALU_DEP_1) | instskip(NEXT) | instid1(VALU_DEP_1)
	v_cndmask_b32_e64 v4, v4, v5, s2
	;; [unrolled: 14-line block ×3, first 2 shown]
	v_lshrrev_b32_e32 v5, 16, v4
	s_waitcnt lgkmcnt(1)
	v_and_b32_e32 v6, 0xff, v6
	s_waitcnt lgkmcnt(0)
	v_lshlrev_b16 v0, 8, v0
	v_and_b32_e32 v5, 0xffffff00, v5
	s_delay_alu instid0(VALU_DEP_1) | instskip(NEXT) | instid1(VALU_DEP_1)
	v_or_b32_e32 v5, v6, v5
	v_lshlrev_b32_e32 v5, 16, v5
	s_delay_alu instid0(VALU_DEP_1) | instskip(NEXT) | instid1(VALU_DEP_1)
	v_and_or_b32 v5, 0xffff, v4, v5
	v_cndmask_b32_e64 v4, v4, v5, s0
	s_delay_alu instid0(VALU_DEP_1) | instskip(NEXT) | instid1(VALU_DEP_1)
	v_lshrrev_b32_e32 v5, 16, v4
	v_and_b32_e32 v5, 0xff, v5
	s_delay_alu instid0(VALU_DEP_1) | instskip(NEXT) | instid1(VALU_DEP_1)
	v_or_b32_e32 v2, v5, v2
	v_lshlrev_b32_e32 v2, 16, v2
	s_delay_alu instid0(VALU_DEP_1) | instskip(NEXT) | instid1(VALU_DEP_1)
	v_and_or_b32 v2, 0xffff, v4, v2
	v_cndmask_b32_e64 v2, v4, v2, s3
	s_delay_alu instid0(VALU_DEP_1) | instskip(NEXT) | instid1(VALU_DEP_1)
	v_lshrrev_b32_e32 v4, 16, v2
	;; [unrolled: 9-line block ×4, first 2 shown]
	v_and_b32_e32 v2, 0xff, v2
	s_delay_alu instid0(VALU_DEP_1) | instskip(NEXT) | instid1(VALU_DEP_1)
	v_or_b32_e32 v0, v2, v0
	v_lshlrev_b32_e32 v0, 16, v0
	s_delay_alu instid0(VALU_DEP_1) | instskip(NEXT) | instid1(VALU_DEP_1)
	v_and_or_b32 v0, 0xffff, v1, v0
	v_cndmask_b32_e64 v24, v1, v0, s0
	s_delay_alu instid0(VALU_DEP_1)
	v_and_b32_e32 v0, 1, v24
	v_lshlrev_b32_e32 v1, 30, v24
	v_lshlrev_b32_e32 v2, 29, v24
	;; [unrolled: 1-line block ×4, first 2 shown]
	v_add_co_u32 v0, s13, v0, -1
	s_delay_alu instid0(VALU_DEP_1)
	v_cndmask_b32_e64 v4, 0, 1, s13
	v_not_b32_e32 v25, v1
	v_cmp_gt_i32_e64 s14, 0, v1
	v_not_b32_e32 v1, v2
	v_lshlrev_b32_e32 v6, 26, v24
	v_cmp_ne_u32_e64 s13, 0, v4
	v_ashrrev_i32_e32 v25, 31, v25
	v_lshlrev_b32_e32 v7, 25, v24
	v_ashrrev_i32_e32 v1, 31, v1
	v_lshlrev_b32_e32 v4, 24, v24
	v_xor_b32_e32 v0, s13, v0
	v_cmp_gt_i32_e64 s13, 0, v2
	v_not_b32_e32 v2, v3
	v_xor_b32_e32 v25, s14, v25
	v_cmp_gt_i32_e64 s14, 0, v3
	v_and_b32_e32 v0, exec_lo, v0
	v_not_b32_e32 v3, v5
	v_ashrrev_i32_e32 v2, 31, v2
	v_xor_b32_e32 v1, s13, v1
	v_cmp_gt_i32_e64 s13, 0, v5
	v_and_b32_e32 v0, v0, v25
	v_not_b32_e32 v5, v6
	v_ashrrev_i32_e32 v3, 31, v3
	v_xor_b32_e32 v2, s14, v2
	v_cmp_gt_i32_e64 s14, 0, v6
	v_and_b32_e32 v0, v0, v1
	;; [unrolled: 5-line block ×4, first 2 shown]
	v_ashrrev_i32_e32 v2, 31, v2
	v_xor_b32_e32 v1, s13, v1
	s_delay_alu instid0(VALU_DEP_3) | instskip(NEXT) | instid1(VALU_DEP_3)
	v_and_b32_e32 v0, v0, v5
	v_xor_b32_e32 v2, s14, v2
	s_delay_alu instid0(VALU_DEP_2) | instskip(SKIP_1) | instid1(VALU_DEP_2)
	v_and_b32_e32 v0, v0, v1
	v_and_b32_e32 v1, 0xff, v24
	;; [unrolled: 1-line block ×3, first 2 shown]
	s_delay_alu instid0(VALU_DEP_2) | instskip(NEXT) | instid1(VALU_DEP_2)
	v_lshl_add_u32 v1, v1, 4, v22
	v_mbcnt_lo_u32_b32 v25, v0, 0
	v_cmp_ne_u32_e64 s14, 0, v0
	s_delay_alu instid0(VALU_DEP_3) | instskip(NEXT) | instid1(VALU_DEP_3)
	v_lshl_add_u32 v26, v1, 2, 64
	v_cmp_eq_u32_e64 s13, 0, v25
	s_delay_alu instid0(VALU_DEP_1) | instskip(NEXT) | instid1(SALU_CYCLE_1)
	s_and_b32 s14, s13, s14
	s_and_saveexec_b32 s13, s14
	s_cbranch_execz .LBB92_4
; %bb.3:                                ;   in Loop: Header=BB92_2 Depth=1
	v_bcnt_u32_b32 v0, v0, 0
	ds_store_b32 v26, v0
.LBB92_4:                               ;   in Loop: Header=BB92_2 Depth=1
	s_or_b32 exec_lo, exec_lo, s13
	v_bfe_u32 v0, v24, 8, 1
	v_lshrrev_b32_e32 v27, 8, v24
	; wave barrier
	s_delay_alu instid0(VALU_DEP_2) | instskip(NEXT) | instid1(VALU_DEP_1)
	v_add_co_u32 v0, s13, v0, -1
	v_cndmask_b32_e64 v1, 0, 1, s13
	s_delay_alu instid0(VALU_DEP_3)
	v_lshlrev_b32_e32 v2, 30, v27
	v_lshlrev_b32_e32 v3, 29, v27
	;; [unrolled: 1-line block ×4, first 2 shown]
	v_cmp_ne_u32_e64 s13, 0, v1
	v_not_b32_e32 v1, v2
	v_cmp_gt_i32_e64 s14, 0, v2
	v_not_b32_e32 v2, v3
	v_lshlrev_b32_e32 v6, 26, v27
	v_xor_b32_e32 v0, s13, v0
	v_ashrrev_i32_e32 v1, 31, v1
	v_cmp_gt_i32_e64 s13, 0, v3
	v_not_b32_e32 v3, v4
	v_ashrrev_i32_e32 v2, 31, v2
	v_and_b32_e32 v0, exec_lo, v0
	v_xor_b32_e32 v1, s14, v1
	v_cmp_gt_i32_e64 s14, 0, v4
	v_not_b32_e32 v4, v5
	v_ashrrev_i32_e32 v3, 31, v3
	v_xor_b32_e32 v2, s13, v2
	v_and_b32_e32 v0, v0, v1
	v_cmp_gt_i32_e64 s13, 0, v5
	v_not_b32_e32 v1, v6
	v_ashrrev_i32_e32 v4, 31, v4
	v_xor_b32_e32 v3, s14, v3
	v_and_b32_e32 v0, v0, v2
	v_lshlrev_b32_e32 v2, 25, v27
	v_cmp_gt_i32_e64 s14, 0, v6
	v_ashrrev_i32_e32 v1, 31, v1
	v_xor_b32_e32 v4, s13, v4
	v_and_b32_e32 v0, v0, v3
	v_not_b32_e32 v5, v2
	v_lshlrev_b32_e32 v6, 24, v27
	v_lshrrev_b32_e32 v3, 4, v24
	v_xor_b32_e32 v1, s14, v1
	v_and_b32_e32 v0, v0, v4
	v_cmp_gt_i32_e64 s13, 0, v2
	v_ashrrev_i32_e32 v2, 31, v5
	v_not_b32_e32 v4, v6
	v_and_b32_e32 v3, 0xff0, v3
	v_and_b32_e32 v0, v0, v1
	s_delay_alu instid0(VALU_DEP_4) | instskip(SKIP_3) | instid1(VALU_DEP_4)
	v_xor_b32_e32 v1, s13, v2
	v_cmp_gt_i32_e64 s13, 0, v6
	v_ashrrev_i32_e32 v2, 31, v4
	v_add_lshl_u32 v3, v3, v22, 2
	v_and_b32_e32 v0, v0, v1
	s_delay_alu instid0(VALU_DEP_3) | instskip(SKIP_3) | instid1(VALU_DEP_1)
	v_xor_b32_e32 v1, s13, v2
	ds_load_b32 v28, v3 offset:64
	v_add_nc_u32_e32 v30, 64, v3
	; wave barrier
	v_and_b32_e32 v0, v0, v1
	v_mbcnt_lo_u32_b32 v29, v0, 0
	v_cmp_ne_u32_e64 s14, 0, v0
	s_delay_alu instid0(VALU_DEP_2) | instskip(NEXT) | instid1(VALU_DEP_1)
	v_cmp_eq_u32_e64 s13, 0, v29
	s_and_b32 s14, s14, s13
	s_delay_alu instid0(SALU_CYCLE_1)
	s_and_saveexec_b32 s13, s14
	s_cbranch_execz .LBB92_6
; %bb.5:                                ;   in Loop: Header=BB92_2 Depth=1
	s_waitcnt lgkmcnt(0)
	v_bcnt_u32_b32 v0, v0, v28
	ds_store_b32 v30, v0
.LBB92_6:                               ;   in Loop: Header=BB92_2 Depth=1
	s_or_b32 exec_lo, exec_lo, s13
	v_bfe_u32 v0, v24, 16, 1
	v_lshrrev_b32_e32 v31, 16, v24
	; wave barrier
	s_delay_alu instid0(VALU_DEP_2) | instskip(NEXT) | instid1(VALU_DEP_1)
	v_add_co_u32 v0, s13, v0, -1
	v_cndmask_b32_e64 v1, 0, 1, s13
	s_delay_alu instid0(VALU_DEP_3)
	v_lshlrev_b32_e32 v2, 30, v31
	v_lshlrev_b32_e32 v3, 29, v31
	;; [unrolled: 1-line block ×4, first 2 shown]
	v_cmp_ne_u32_e64 s13, 0, v1
	v_not_b32_e32 v1, v2
	v_cmp_gt_i32_e64 s14, 0, v2
	v_not_b32_e32 v2, v3
	v_lshlrev_b32_e32 v6, 26, v31
	v_xor_b32_e32 v0, s13, v0
	v_ashrrev_i32_e32 v1, 31, v1
	v_cmp_gt_i32_e64 s13, 0, v3
	v_not_b32_e32 v3, v4
	v_ashrrev_i32_e32 v2, 31, v2
	v_and_b32_e32 v0, exec_lo, v0
	v_xor_b32_e32 v1, s14, v1
	v_cmp_gt_i32_e64 s14, 0, v4
	v_not_b32_e32 v4, v5
	v_ashrrev_i32_e32 v3, 31, v3
	v_xor_b32_e32 v2, s13, v2
	v_and_b32_e32 v0, v0, v1
	v_cmp_gt_i32_e64 s13, 0, v5
	v_not_b32_e32 v1, v6
	v_ashrrev_i32_e32 v4, 31, v4
	v_xor_b32_e32 v3, s14, v3
	v_and_b32_e32 v0, v0, v2
	v_lshlrev_b32_e32 v2, 25, v31
	v_cmp_gt_i32_e64 s14, 0, v6
	v_ashrrev_i32_e32 v1, 31, v1
	v_xor_b32_e32 v4, s13, v4
	v_and_b32_e32 v0, v0, v3
	v_not_b32_e32 v5, v2
	v_lshlrev_b32_e32 v6, 24, v31
	v_lshrrev_b32_e32 v3, 12, v24
	v_xor_b32_e32 v1, s14, v1
	v_and_b32_e32 v0, v0, v4
	v_cmp_gt_i32_e64 s13, 0, v2
	v_ashrrev_i32_e32 v2, 31, v5
	v_not_b32_e32 v4, v6
	v_and_b32_e32 v3, 0xff0, v3
	v_and_b32_e32 v0, v0, v1
	s_delay_alu instid0(VALU_DEP_4) | instskip(SKIP_3) | instid1(VALU_DEP_4)
	v_xor_b32_e32 v1, s13, v2
	v_cmp_gt_i32_e64 s13, 0, v6
	v_ashrrev_i32_e32 v2, 31, v4
	v_add_lshl_u32 v3, v3, v22, 2
	v_and_b32_e32 v0, v0, v1
	s_delay_alu instid0(VALU_DEP_3) | instskip(SKIP_3) | instid1(VALU_DEP_1)
	v_xor_b32_e32 v1, s13, v2
	ds_load_b32 v32, v3 offset:64
	v_add_nc_u32_e32 v34, 64, v3
	; wave barrier
	v_and_b32_e32 v0, v0, v1
	v_mbcnt_lo_u32_b32 v33, v0, 0
	v_cmp_ne_u32_e64 s14, 0, v0
	s_delay_alu instid0(VALU_DEP_2) | instskip(NEXT) | instid1(VALU_DEP_1)
	v_cmp_eq_u32_e64 s13, 0, v33
	s_and_b32 s14, s14, s13
	s_delay_alu instid0(SALU_CYCLE_1)
	s_and_saveexec_b32 s13, s14
	s_cbranch_execz .LBB92_8
; %bb.7:                                ;   in Loop: Header=BB92_2 Depth=1
	s_waitcnt lgkmcnt(0)
	v_bcnt_u32_b32 v0, v0, v32
	ds_store_b32 v34, v0
.LBB92_8:                               ;   in Loop: Header=BB92_2 Depth=1
	s_or_b32 exec_lo, exec_lo, s13
	v_bfe_u32 v0, v24, 24, 1
	v_lshrrev_b32_e32 v35, 24, v24
	; wave barrier
	s_delay_alu instid0(VALU_DEP_2) | instskip(NEXT) | instid1(VALU_DEP_1)
	v_add_co_u32 v0, s13, v0, -1
	v_cndmask_b32_e64 v1, 0, 1, s13
	s_delay_alu instid0(VALU_DEP_3)
	v_lshlrev_b32_e32 v2, 30, v35
	v_lshlrev_b32_e32 v3, 29, v35
	;; [unrolled: 1-line block ×4, first 2 shown]
	v_cmp_ne_u32_e64 s13, 0, v1
	v_not_b32_e32 v1, v2
	v_cmp_gt_i32_e64 s14, 0, v2
	v_not_b32_e32 v2, v3
	v_lshlrev_b32_e32 v6, 26, v35
	v_xor_b32_e32 v0, s13, v0
	v_ashrrev_i32_e32 v1, 31, v1
	v_cmp_gt_i32_e64 s13, 0, v3
	v_not_b32_e32 v3, v4
	v_ashrrev_i32_e32 v2, 31, v2
	v_and_b32_e32 v0, exec_lo, v0
	v_xor_b32_e32 v1, s14, v1
	v_cmp_gt_i32_e64 s14, 0, v4
	v_not_b32_e32 v4, v5
	v_ashrrev_i32_e32 v3, 31, v3
	v_xor_b32_e32 v2, s13, v2
	v_and_b32_e32 v0, v0, v1
	v_lshlrev_b32_e32 v1, 25, v35
	v_cmp_gt_i32_e64 s13, 0, v5
	v_ashrrev_i32_e32 v4, 31, v4
	v_xor_b32_e32 v3, s14, v3
	v_and_b32_e32 v0, v0, v2
	v_not_b32_e32 v5, v6
	v_not_b32_e32 v7, v1
	v_xor_b32_e32 v4, s13, v4
	v_cmp_gt_i32_e64 s13, 0, v6
	v_and_b32_e32 v0, v0, v3
	v_ashrrev_i32_e32 v3, 31, v5
	v_and_b32_e32 v2, 0xff000000, v24
	v_cmp_gt_i32_e64 s14, 0, v1
	v_ashrrev_i32_e32 v1, 31, v7
	v_and_b32_e32 v0, v0, v4
	v_not_b32_e32 v4, v24
	v_xor_b32_e32 v3, s13, v3
	v_lshlrev_b32_e32 v5, 4, v35
	v_xor_b32_e32 v1, s14, v1
	v_cmp_gt_i32_e64 s13, 0, v2
	v_ashrrev_i32_e32 v2, 31, v4
	v_and_b32_e32 v0, v0, v3
	v_add_lshl_u32 v3, v5, v22, 2
	s_delay_alu instid0(VALU_DEP_3) | instskip(NEXT) | instid1(VALU_DEP_3)
	v_xor_b32_e32 v2, s13, v2
	v_and_b32_e32 v0, v0, v1
	ds_load_b32 v36, v3 offset:64
	v_add_nc_u32_e32 v38, 64, v3
	; wave barrier
	v_and_b32_e32 v0, v0, v2
	s_delay_alu instid0(VALU_DEP_1) | instskip(SKIP_1) | instid1(VALU_DEP_2)
	v_mbcnt_lo_u32_b32 v37, v0, 0
	v_cmp_ne_u32_e64 s14, 0, v0
	v_cmp_eq_u32_e64 s13, 0, v37
	s_delay_alu instid0(VALU_DEP_1) | instskip(NEXT) | instid1(SALU_CYCLE_1)
	s_and_b32 s14, s14, s13
	s_and_saveexec_b32 s13, s14
	s_cbranch_execz .LBB92_10
; %bb.9:                                ;   in Loop: Header=BB92_2 Depth=1
	s_waitcnt lgkmcnt(0)
	v_bcnt_u32_b32 v0, v0, v36
	ds_store_b32 v38, v0
.LBB92_10:                              ;   in Loop: Header=BB92_2 Depth=1
	s_or_b32 exec_lo, exec_lo, s13
	; wave barrier
	s_waitcnt lgkmcnt(0)
	s_barrier
	buffer_gl0_inv
	ds_load_2addr_b64 v[4:7], v17 offset0:8 offset1:9
	ds_load_2addr_b64 v[0:3], v18 offset0:2 offset1:3
	s_waitcnt lgkmcnt(1)
	v_add_nc_u32_e32 v39, v5, v4
	s_delay_alu instid0(VALU_DEP_1) | instskip(SKIP_1) | instid1(VALU_DEP_1)
	v_add3_u32 v39, v39, v6, v7
	s_waitcnt lgkmcnt(0)
	v_add3_u32 v39, v39, v0, v1
	s_delay_alu instid0(VALU_DEP_1) | instskip(NEXT) | instid1(VALU_DEP_1)
	v_add3_u32 v3, v39, v2, v3
	v_mov_b32_dpp v39, v3 row_shr:1 row_mask:0xf bank_mask:0xf
	s_delay_alu instid0(VALU_DEP_1) | instskip(NEXT) | instid1(VALU_DEP_1)
	v_cndmask_b32_e64 v39, v39, 0, s4
	v_add_nc_u32_e32 v3, v39, v3
	s_delay_alu instid0(VALU_DEP_1) | instskip(NEXT) | instid1(VALU_DEP_1)
	v_mov_b32_dpp v39, v3 row_shr:2 row_mask:0xf bank_mask:0xf
	v_cndmask_b32_e64 v39, 0, v39, s5
	s_delay_alu instid0(VALU_DEP_1) | instskip(NEXT) | instid1(VALU_DEP_1)
	v_add_nc_u32_e32 v3, v3, v39
	v_mov_b32_dpp v39, v3 row_shr:4 row_mask:0xf bank_mask:0xf
	s_delay_alu instid0(VALU_DEP_1) | instskip(NEXT) | instid1(VALU_DEP_1)
	v_cndmask_b32_e64 v39, 0, v39, s6
	v_add_nc_u32_e32 v3, v3, v39
	s_delay_alu instid0(VALU_DEP_1) | instskip(NEXT) | instid1(VALU_DEP_1)
	v_mov_b32_dpp v39, v3 row_shr:8 row_mask:0xf bank_mask:0xf
	v_cndmask_b32_e64 v39, 0, v39, s7
	s_delay_alu instid0(VALU_DEP_1) | instskip(SKIP_3) | instid1(VALU_DEP_1)
	v_add_nc_u32_e32 v3, v3, v39
	ds_swizzle_b32 v39, v3 offset:swizzle(BROADCAST,32,15)
	s_waitcnt lgkmcnt(0)
	v_cndmask_b32_e64 v39, v39, 0, s8
	v_add_nc_u32_e32 v3, v3, v39
	s_and_saveexec_b32 s13, s12
	s_cbranch_execz .LBB92_12
; %bb.11:                               ;   in Loop: Header=BB92_2 Depth=1
	ds_store_b32 v19, v3
.LBB92_12:                              ;   in Loop: Header=BB92_2 Depth=1
	s_or_b32 exec_lo, exec_lo, s13
	s_waitcnt lgkmcnt(0)
	s_barrier
	buffer_gl0_inv
	s_and_saveexec_b32 s13, s9
	s_cbranch_execz .LBB92_14
; %bb.13:                               ;   in Loop: Header=BB92_2 Depth=1
	ds_load_b32 v39, v23
	s_waitcnt lgkmcnt(0)
	v_mov_b32_dpp v40, v39 row_shr:1 row_mask:0xf bank_mask:0xf
	s_delay_alu instid0(VALU_DEP_1) | instskip(NEXT) | instid1(VALU_DEP_1)
	v_cndmask_b32_e64 v40, v40, 0, s4
	v_add_nc_u32_e32 v39, v40, v39
	s_delay_alu instid0(VALU_DEP_1) | instskip(NEXT) | instid1(VALU_DEP_1)
	v_mov_b32_dpp v40, v39 row_shr:2 row_mask:0xf bank_mask:0xf
	v_cndmask_b32_e64 v40, 0, v40, s5
	s_delay_alu instid0(VALU_DEP_1) | instskip(NEXT) | instid1(VALU_DEP_1)
	v_add_nc_u32_e32 v39, v39, v40
	v_mov_b32_dpp v40, v39 row_shr:4 row_mask:0xf bank_mask:0xf
	s_delay_alu instid0(VALU_DEP_1) | instskip(NEXT) | instid1(VALU_DEP_1)
	v_cndmask_b32_e64 v40, 0, v40, s6
	v_add_nc_u32_e32 v39, v39, v40
	s_delay_alu instid0(VALU_DEP_1) | instskip(NEXT) | instid1(VALU_DEP_1)
	v_mov_b32_dpp v40, v39 row_shr:8 row_mask:0xf bank_mask:0xf
	v_cndmask_b32_e64 v40, 0, v40, s7
	s_delay_alu instid0(VALU_DEP_1)
	v_add_nc_u32_e32 v39, v39, v40
	ds_store_b32 v23, v39
.LBB92_14:                              ;   in Loop: Header=BB92_2 Depth=1
	s_or_b32 exec_lo, exec_lo, s13
	v_mov_b32_e32 v39, 0
	s_waitcnt lgkmcnt(0)
	s_barrier
	buffer_gl0_inv
	s_and_saveexec_b32 s13, s10
	s_cbranch_execz .LBB92_1
; %bb.15:                               ;   in Loop: Header=BB92_2 Depth=1
	ds_load_b32 v39, v21
	s_branch .LBB92_1
.LBB92_16:
	s_add_u32 s0, s18, s15
	s_addc_u32 s1, s19, 0
	v_add_co_u32 v5, s0, s0, v8
	s_delay_alu instid0(VALU_DEP_1)
	v_add_co_ci_u32_e64 v6, null, s1, 0, s0
	s_clause 0x3
	global_store_b8 v[5:6], v1, off
	global_store_b8 v[5:6], v2, off offset:512
	global_store_b8 v[5:6], v4, off offset:1024
	;; [unrolled: 1-line block ×3, first 2 shown]
	s_nop 0
	s_sendmsg sendmsg(MSG_DEALLOC_VGPRS)
	s_endpgm
	.section	.rodata,"a",@progbits
	.p2align	6, 0x0
	.amdhsa_kernel _Z16sort_keys_kernelI22helper_blocked_blockedaLj512ELj4ELj10EEvPKT0_PS1_
		.amdhsa_group_segment_fixed_size 16448
		.amdhsa_private_segment_fixed_size 0
		.amdhsa_kernarg_size 272
		.amdhsa_user_sgpr_count 15
		.amdhsa_user_sgpr_dispatch_ptr 0
		.amdhsa_user_sgpr_queue_ptr 0
		.amdhsa_user_sgpr_kernarg_segment_ptr 1
		.amdhsa_user_sgpr_dispatch_id 0
		.amdhsa_user_sgpr_private_segment_size 0
		.amdhsa_wavefront_size32 1
		.amdhsa_uses_dynamic_stack 0
		.amdhsa_enable_private_segment 0
		.amdhsa_system_sgpr_workgroup_id_x 1
		.amdhsa_system_sgpr_workgroup_id_y 0
		.amdhsa_system_sgpr_workgroup_id_z 0
		.amdhsa_system_sgpr_workgroup_info 0
		.amdhsa_system_vgpr_workitem_id 2
		.amdhsa_next_free_vgpr 41
		.amdhsa_next_free_sgpr 20
		.amdhsa_reserve_vcc 1
		.amdhsa_float_round_mode_32 0
		.amdhsa_float_round_mode_16_64 0
		.amdhsa_float_denorm_mode_32 3
		.amdhsa_float_denorm_mode_16_64 3
		.amdhsa_dx10_clamp 1
		.amdhsa_ieee_mode 1
		.amdhsa_fp16_overflow 0
		.amdhsa_workgroup_processor_mode 1
		.amdhsa_memory_ordered 1
		.amdhsa_forward_progress 0
		.amdhsa_shared_vgpr_count 0
		.amdhsa_exception_fp_ieee_invalid_op 0
		.amdhsa_exception_fp_denorm_src 0
		.amdhsa_exception_fp_ieee_div_zero 0
		.amdhsa_exception_fp_ieee_overflow 0
		.amdhsa_exception_fp_ieee_underflow 0
		.amdhsa_exception_fp_ieee_inexact 0
		.amdhsa_exception_int_div_zero 0
	.end_amdhsa_kernel
	.section	.text._Z16sort_keys_kernelI22helper_blocked_blockedaLj512ELj4ELj10EEvPKT0_PS1_,"axG",@progbits,_Z16sort_keys_kernelI22helper_blocked_blockedaLj512ELj4ELj10EEvPKT0_PS1_,comdat
.Lfunc_end92:
	.size	_Z16sort_keys_kernelI22helper_blocked_blockedaLj512ELj4ELj10EEvPKT0_PS1_, .Lfunc_end92-_Z16sort_keys_kernelI22helper_blocked_blockedaLj512ELj4ELj10EEvPKT0_PS1_
                                        ; -- End function
	.section	.AMDGPU.csdata,"",@progbits
; Kernel info:
; codeLenInByte = 3800
; NumSgprs: 22
; NumVgprs: 41
; ScratchSize: 0
; MemoryBound: 0
; FloatMode: 240
; IeeeMode: 1
; LDSByteSize: 16448 bytes/workgroup (compile time only)
; SGPRBlocks: 2
; VGPRBlocks: 5
; NumSGPRsForWavesPerEU: 22
; NumVGPRsForWavesPerEU: 41
; Occupancy: 16
; WaveLimiterHint : 1
; COMPUTE_PGM_RSRC2:SCRATCH_EN: 0
; COMPUTE_PGM_RSRC2:USER_SGPR: 15
; COMPUTE_PGM_RSRC2:TRAP_HANDLER: 0
; COMPUTE_PGM_RSRC2:TGID_X_EN: 1
; COMPUTE_PGM_RSRC2:TGID_Y_EN: 0
; COMPUTE_PGM_RSRC2:TGID_Z_EN: 0
; COMPUTE_PGM_RSRC2:TIDIG_COMP_CNT: 2
	.section	.text._Z17sort_pairs_kernelI22helper_blocked_blockedaLj512ELj4ELj10EEvPKT0_PS1_,"axG",@progbits,_Z17sort_pairs_kernelI22helper_blocked_blockedaLj512ELj4ELj10EEvPKT0_PS1_,comdat
	.protected	_Z17sort_pairs_kernelI22helper_blocked_blockedaLj512ELj4ELj10EEvPKT0_PS1_ ; -- Begin function _Z17sort_pairs_kernelI22helper_blocked_blockedaLj512ELj4ELj10EEvPKT0_PS1_
	.globl	_Z17sort_pairs_kernelI22helper_blocked_blockedaLj512ELj4ELj10EEvPKT0_PS1_
	.p2align	8
	.type	_Z17sort_pairs_kernelI22helper_blocked_blockedaLj512ELj4ELj10EEvPKT0_PS1_,@function
_Z17sort_pairs_kernelI22helper_blocked_blockedaLj512ELj4ELj10EEvPKT0_PS1_: ; @_Z17sort_pairs_kernelI22helper_blocked_blockedaLj512ELj4ELj10EEvPKT0_PS1_
; %bb.0:
	s_clause 0x1
	s_load_b128 s[16:19], s[0:1], 0x0
	s_load_b32 s13, s[0:1], 0x1c
	s_lshl_b32 s15, s15, 11
	v_and_b32_e32 v8, 0x3ff, v0
	v_mbcnt_lo_u32_b32 v5, -1, 0
	v_bfe_u32 v7, v0, 10, 10
	v_bfe_u32 v0, v0, 20, 10
	s_delay_alu instid0(VALU_DEP_3)
	v_add_nc_u32_e32 v20, -1, v5
	v_and_b32_e32 v6, 3, v5
	v_and_b32_e32 v18, 15, v5
	;; [unrolled: 1-line block ×3, first 2 shown]
	v_cmp_eq_u32_e32 vcc_lo, 0, v5
	v_cmp_gt_i32_e64 s11, 0, v20
	v_and_b32_e32 v13, 28, v5
	v_cmp_eq_u32_e64 s4, 0, v18
	v_cmp_eq_u32_e64 s8, 0, v19
	v_cmp_lt_u32_e64 s5, 1, v18
	v_cndmask_b32_e64 v5, v20, v5, s11
	s_waitcnt lgkmcnt(0)
	s_add_u32 s0, s16, s15
	s_addc_u32 s1, s17, 0
	s_clause 0x3
	global_load_u8 v2, v8, s[0:1]
	global_load_u8 v3, v8, s[0:1] offset:1024
	global_load_u8 v1, v8, s[0:1] offset:512
	global_load_u8 v4, v8, s[0:1] offset:1536
	s_mov_b32 s0, 0
	s_lshr_b32 s14, s13, 16
	s_mov_b32 s3, s0
	s_mov_b32 s2, s0
	v_mov_b32_e32 v12, s3
	s_mov_b32 s1, s0
	s_delay_alu instid0(SALU_CYCLE_1)
	v_dual_mov_b32 v11, s2 :: v_dual_mov_b32 v10, s1
	v_mov_b32_e32 v9, s0
	v_cmp_eq_u32_e64 s0, 3, v6
	v_cmp_eq_u32_e64 s1, 2, v6
	;; [unrolled: 1-line block ×4, first 2 shown]
	v_or_b32_e32 v6, 31, v8
	s_and_b32 s13, s13, 0xffff
	v_lshrrev_b32_e32 v19, 3, v8
	v_lshlrev_b32_e32 v17, 5, v8
	v_mul_i32_i24_e32 v23, 0xffffffe4, v8
	v_cmp_eq_u32_e64 s12, v6, v8
	v_mad_u32_u24 v6, v0, s14, v7
	v_and_b32_e32 v19, 60, v19
	v_or_b32_e32 v14, 32, v13
	v_or_b32_e32 v15, 64, v13
	;; [unrolled: 1-line block ×3, first 2 shown]
	v_cmp_lt_u32_e64 s6, 3, v18
	v_cmp_lt_u32_e64 s7, 7, v18
	v_cmp_gt_u32_e64 s9, 16, v8
	v_cmp_lt_u32_e64 s10, 31, v8
	v_cmp_eq_u32_e64 s11, 0, v8
	v_add_nc_u32_e32 v18, 64, v17
	v_add_nc_u32_e32 v23, v17, v23
	s_mov_b32 s16, 10
	s_waitcnt vmcnt(3)
	v_add_nc_u16 v20, v2, 1
	s_waitcnt vmcnt(2)
	v_add_nc_u16 v21, v3, 1
	s_waitcnt vmcnt(1)
	v_lshlrev_b16 v22, 8, v1
	s_waitcnt vmcnt(0)
	v_lshlrev_b16 v4, 8, v4
	v_and_b32_e32 v1, 0xff, v20
	v_and_b32_e32 v20, 0xff, v21
	v_add_nc_u32_e32 v21, -4, v19
	s_delay_alu instid0(VALU_DEP_3) | instskip(NEXT) | instid1(VALU_DEP_3)
	v_or_b32_e32 v7, v22, v1
	v_or_b32_e32 v20, v4, v20
	v_mad_u64_u32 v[0:1], null, v6, s13, v[8:9]
	v_or_b32_e32 v1, v2, v22
	v_or_b32_e32 v2, v3, v4
	v_add_nc_u16 v3, v7, 0x100
	v_add_nc_u16 v4, v20, 0x100
	v_lshlrev_b32_e32 v20, 2, v5
	v_and_b32_e32 v1, 0xffff, v1
	v_lshlrev_b32_e32 v2, 16, v2
	v_and_b32_e32 v3, 0xffff, v3
	v_lshlrev_b32_e32 v6, 16, v4
	v_lshrrev_b32_e32 v22, 5, v0
	s_delay_alu instid0(VALU_DEP_4) | instskip(NEXT) | instid1(VALU_DEP_3)
	v_or_b32_e32 v4, v1, v2
	v_or_b32_e32 v0, v3, v6
	s_branch .LBB93_2
.LBB93_1:                               ;   in Loop: Header=BB93_2 Depth=1
	s_or_b32 exec_lo, exec_lo, s13
	v_perm_b32 v36, v36, v30, 0x3020104
	s_waitcnt lgkmcnt(0)
	v_add_nc_u32_e32 v3, v55, v3
	s_add_i32 s16, s16, -1
	s_delay_alu instid0(SALU_CYCLE_1) | instskip(SKIP_4) | instid1(VALU_DEP_1)
	s_cmp_eq_u32 s16, 0
	v_cndmask_b32_e64 v30, v30, v36, s2
	ds_bpermute_b32 v3, v20, v3
	v_and_b32_e32 v26, 0xff, v26
	v_perm_b32 v35, v35, v30, 0x3020104
	v_cndmask_b32_e64 v30, v30, v35, s1
	s_delay_alu instid0(VALU_DEP_1) | instskip(NEXT) | instid1(VALU_DEP_1)
	v_perm_b32 v34, v34, v30, 0x3020104
	v_cndmask_b32_e64 v30, v30, v34, s0
	s_waitcnt lgkmcnt(0)
	v_cndmask_b32_e32 v3, v3, v55, vcc_lo
	s_delay_alu instid0(VALU_DEP_2) | instskip(NEXT) | instid1(VALU_DEP_2)
	v_perm_b32 v31, v30, v31, 0x7060004
	v_cndmask_b32_e64 v3, v3, 0, s11
	s_delay_alu instid0(VALU_DEP_2) | instskip(NEXT) | instid1(VALU_DEP_2)
	v_cndmask_b32_e64 v30, v30, v31, s3
	v_add_nc_u32_e32 v4, v3, v4
	s_delay_alu instid0(VALU_DEP_2) | instskip(NEXT) | instid1(VALU_DEP_2)
	v_perm_b32 v31, v30, v32, 0x7060004
	v_add_nc_u32_e32 v5, v4, v5
	s_delay_alu instid0(VALU_DEP_2) | instskip(NEXT) | instid1(VALU_DEP_2)
	v_cndmask_b32_e64 v30, v30, v31, s2
	v_add_nc_u32_e32 v6, v5, v6
	s_delay_alu instid0(VALU_DEP_2) | instskip(NEXT) | instid1(VALU_DEP_1)
	v_perm_b32 v29, v30, v29, 0x7060004
	v_cndmask_b32_e64 v29, v30, v29, s1
	s_delay_alu instid0(VALU_DEP_1) | instskip(NEXT) | instid1(VALU_DEP_1)
	v_perm_b32 v28, v29, v28, 0x7060004
	v_cndmask_b32_e64 v28, v29, v28, s0
	s_delay_alu instid0(VALU_DEP_1) | instskip(NEXT) | instid1(VALU_DEP_1)
	v_lshrrev_b32_e32 v29, 16, v28
	v_and_b32_e32 v29, 0xffffff00, v29
	s_delay_alu instid0(VALU_DEP_1) | instskip(SKIP_1) | instid1(VALU_DEP_2)
	v_or_b32_e32 v26, v26, v29
	v_and_b32_e32 v29, 0xff, v43
	v_lshlrev_b32_e32 v26, 16, v26
	s_delay_alu instid0(VALU_DEP_1) | instskip(NEXT) | instid1(VALU_DEP_1)
	v_and_or_b32 v26, 0xffff, v28, v26
	v_cndmask_b32_e64 v26, v28, v26, s3
	s_delay_alu instid0(VALU_DEP_1) | instskip(NEXT) | instid1(VALU_DEP_1)
	v_lshrrev_b32_e32 v28, 16, v26
	v_and_b32_e32 v28, 0xffffff00, v28
	s_delay_alu instid0(VALU_DEP_1) | instskip(SKIP_1) | instid1(VALU_DEP_2)
	v_or_b32_e32 v28, v29, v28
	v_and_b32_e32 v29, 0xff, v42
	v_lshlrev_b32_e32 v28, 16, v28
	s_delay_alu instid0(VALU_DEP_1) | instskip(NEXT) | instid1(VALU_DEP_1)
	v_and_or_b32 v28, 0xffff, v26, v28
	;; [unrolled: 10-line block ×3, first 2 shown]
	v_cndmask_b32_e64 v26, v26, v28, s1
	s_delay_alu instid0(VALU_DEP_1) | instskip(NEXT) | instid1(VALU_DEP_1)
	v_lshrrev_b32_e32 v28, 16, v26
	v_and_b32_e32 v28, 0xffffff00, v28
	s_delay_alu instid0(VALU_DEP_1) | instskip(SKIP_1) | instid1(VALU_DEP_2)
	v_or_b32_e32 v28, v29, v28
	v_lshlrev_b16 v29, 8, v40
	v_lshlrev_b32_e32 v28, 16, v28
	s_delay_alu instid0(VALU_DEP_1) | instskip(NEXT) | instid1(VALU_DEP_1)
	v_and_or_b32 v28, 0xffff, v26, v28
	v_cndmask_b32_e64 v26, v26, v28, s0
	s_delay_alu instid0(VALU_DEP_1) | instskip(NEXT) | instid1(VALU_DEP_1)
	v_lshrrev_b32_e32 v28, 16, v26
	v_and_b32_e32 v28, 0xff, v28
	s_delay_alu instid0(VALU_DEP_1) | instskip(NEXT) | instid1(VALU_DEP_1)
	v_or_b32_e32 v28, v28, v29
	v_lshlrev_b32_e32 v28, 16, v28
	s_delay_alu instid0(VALU_DEP_1) | instskip(NEXT) | instid1(VALU_DEP_1)
	v_and_or_b32 v28, 0xffff, v26, v28
	v_cndmask_b32_e64 v26, v26, v28, s3
	v_add_nc_u32_e32 v28, v6, v7
	v_lshlrev_b16 v7, 8, v38
	s_delay_alu instid0(VALU_DEP_3) | instskip(NEXT) | instid1(VALU_DEP_1)
	v_lshrrev_b32_e32 v29, 16, v26
	v_and_b32_e32 v30, 0xff, v29
	s_delay_alu instid0(VALU_DEP_4) | instskip(NEXT) | instid1(VALU_DEP_2)
	v_add_nc_u32_e32 v29, v28, v0
	v_or_b32_e32 v7, v30, v7
	s_delay_alu instid0(VALU_DEP_2) | instskip(NEXT) | instid1(VALU_DEP_2)
	v_add_nc_u32_e32 v0, v29, v1
	v_lshlrev_b32_e32 v7, 16, v7
	s_delay_alu instid0(VALU_DEP_2)
	v_add_nc_u32_e32 v1, v0, v2
	ds_store_2addr_b64 v17, v[3:4], v[5:6] offset0:8 offset1:9
	ds_store_2addr_b64 v18, v[28:29], v[0:1] offset0:2 offset1:3
	v_and_or_b32 v2, 0xffff, v26, v7
	s_waitcnt lgkmcnt(0)
	s_barrier
	buffer_gl0_inv
	v_lshlrev_b16 v6, 8, v27
	v_cndmask_b32_e64 v0, v26, v2, s2
	ds_load_b32 v1, v37
	ds_load_b32 v2, v46
	;; [unrolled: 1-line block ×4, first 2 shown]
	s_waitcnt lgkmcnt(0)
	s_barrier
	buffer_gl0_inv
	v_lshrrev_b32_e32 v5, 16, v0
	s_delay_alu instid0(VALU_DEP_1) | instskip(NEXT) | instid1(VALU_DEP_1)
	v_and_b32_e32 v5, 0xff, v5
	v_or_b32_e32 v5, v5, v6
	v_add_nc_u32_e32 v6, v1, v33
	v_add3_u32 v7, v45, v44, v2
	s_delay_alu instid0(VALU_DEP_3)
	v_lshlrev_b32_e32 v5, 16, v5
	v_add3_u32 v26, v49, v48, v3
	v_add3_u32 v4, v53, v52, v4
	ds_store_b8 v6, v24
	ds_store_b8 v7, v39
	;; [unrolled: 1-line block ×4, first 2 shown]
	v_and_or_b32 v1, 0xffff, v0, v5
	s_waitcnt lgkmcnt(0)
	s_barrier
	buffer_gl0_inv
	v_lshlrev_b16 v3, 8, v25
	v_cndmask_b32_e64 v0, v0, v1, s1
	ds_load_b32 v1, v23
	s_waitcnt lgkmcnt(0)
	s_barrier
	buffer_gl0_inv
	v_lshrrev_b32_e32 v2, 16, v0
	s_delay_alu instid0(VALU_DEP_1) | instskip(NEXT) | instid1(VALU_DEP_1)
	v_and_b32_e32 v2, 0xff, v2
	v_or_b32_e32 v2, v2, v3
	s_delay_alu instid0(VALU_DEP_1)
	v_lshlrev_b32_e32 v2, 16, v2
	v_lshrrev_b32_e32 v3, 8, v1
	v_lshrrev_b32_e32 v24, 24, v1
	;; [unrolled: 1-line block ×3, first 2 shown]
	v_xor_b32_e32 v5, 0xffffff80, v1
	v_and_or_b32 v2, 0xffff, v0, v2
	v_xor_b32_e32 v1, 0xffffff80, v3
	s_delay_alu instid0(VALU_DEP_4) | instskip(NEXT) | instid1(VALU_DEP_3)
	v_xor_b32_e32 v3, 0xffffff80, v25
	v_cndmask_b32_e64 v0, v0, v2, s0
	v_xor_b32_e32 v2, 0xffffff80, v24
	v_and_b32_e32 v24, 0xff, v5
	v_lshlrev_b16 v25, 8, v1
	v_and_b32_e32 v30, 0xff, v3
	v_lshrrev_b32_e32 v27, 8, v0
	v_lshrrev_b32_e32 v29, 24, v0
	v_lshlrev_b16 v28, 8, v2
	ds_store_b8 v6, v0
	ds_store_b8 v7, v27
	ds_store_b8_d16_hi v26, v0
	ds_store_b8 v4, v29
	s_waitcnt lgkmcnt(0)
	s_barrier
	buffer_gl0_inv
	ds_load_b32 v0, v23
	v_or_b32_e32 v4, v24, v25
	v_or_b32_e32 v6, v30, v28
	s_delay_alu instid0(VALU_DEP_2) | instskip(NEXT) | instid1(VALU_DEP_2)
	v_and_b32_e32 v4, 0xffff, v4
	v_lshlrev_b32_e32 v6, 16, v6
	s_delay_alu instid0(VALU_DEP_1)
	v_or_b32_e32 v4, v4, v6
	s_cbranch_scc1 .LBB93_16
.LBB93_2:                               ; =>This Inner Loop Header: Depth=1
	s_delay_alu instid0(VALU_DEP_1) | instskip(SKIP_3) | instid1(VALU_DEP_4)
	v_lshrrev_b32_e32 v1, 8, v4
	v_xor_b32_e32 v2, 0x80, v4
	v_lshrrev_b32_e32 v3, 16, v4
	v_lshrrev_b32_e32 v4, 24, v4
	v_xor_b32_e32 v1, 0x80, v1
	s_delay_alu instid0(VALU_DEP_4) | instskip(NEXT) | instid1(VALU_DEP_4)
	v_and_b32_e32 v2, 0xff, v2
	v_xor_b32_e32 v3, 0x80, v3
	s_delay_alu instid0(VALU_DEP_4)
	v_xor_b32_e32 v4, 0x80, v4
	s_waitcnt lgkmcnt(0)
	s_barrier
	v_and_b32_e32 v1, 0xff, v1
	ds_bpermute_b32 v5, v13, v2
	v_and_b32_e32 v3, 0xff, v3
	v_and_b32_e32 v4, 0xffff, v4
	s_waitcnt lgkmcnt(0)
	buffer_gl0_inv
	ds_bpermute_b32 v6, v13, v1
	ds_store_2addr_b64 v17, v[9:10], v[11:12] offset0:8 offset1:9
	ds_store_2addr_b64 v18, v[9:10], v[11:12] offset0:2 offset1:3
	ds_bpermute_b32 v7, v13, v3
	ds_bpermute_b32 v24, v13, v4
	s_waitcnt lgkmcnt(0)
	s_barrier
	buffer_gl0_inv
	; wave barrier
	v_perm_b32 v6, v6, v5, 0x3020104
	s_delay_alu instid0(VALU_DEP_1) | instskip(SKIP_2) | instid1(VALU_DEP_1)
	v_cndmask_b32_e64 v5, v5, v6, s2
	ds_bpermute_b32 v6, v14, v2
	v_perm_b32 v7, v7, v5, 0x3020104
	v_cndmask_b32_e64 v5, v5, v7, s1
	s_delay_alu instid0(VALU_DEP_1) | instskip(SKIP_4) | instid1(VALU_DEP_2)
	v_perm_b32 v7, v24, v5, 0x3020104
	ds_bpermute_b32 v24, v14, v1
	v_cndmask_b32_e64 v5, v5, v7, s0
	s_waitcnt lgkmcnt(1)
	v_lshlrev_b16 v6, 8, v6
	v_and_b32_e32 v7, 0xff, v5
	s_delay_alu instid0(VALU_DEP_1) | instskip(NEXT) | instid1(VALU_DEP_1)
	v_or_b32_e32 v6, v7, v6
	v_and_b32_e32 v6, 0xffff, v6
	s_delay_alu instid0(VALU_DEP_1) | instskip(NEXT) | instid1(VALU_DEP_1)
	v_and_or_b32 v6, 0xffff0000, v5, v6
	v_cndmask_b32_e64 v5, v5, v6, s3
	s_waitcnt lgkmcnt(0)
	v_lshlrev_b16 v6, 8, v24
	ds_bpermute_b32 v24, v14, v3
	v_and_b32_e32 v7, 0xff, v5
	s_delay_alu instid0(VALU_DEP_1) | instskip(NEXT) | instid1(VALU_DEP_1)
	v_or_b32_e32 v6, v7, v6
	v_and_b32_e32 v6, 0xffff, v6
	s_delay_alu instid0(VALU_DEP_1) | instskip(NEXT) | instid1(VALU_DEP_1)
	v_and_or_b32 v6, 0xffff0000, v5, v6
	v_cndmask_b32_e64 v5, v5, v6, s2
	s_waitcnt lgkmcnt(0)
	v_lshlrev_b16 v6, 8, v24
	ds_bpermute_b32 v24, v14, v4
	v_and_b32_e32 v7, 0xff, v5
	s_delay_alu instid0(VALU_DEP_1) | instskip(NEXT) | instid1(VALU_DEP_1)
	v_or_b32_e32 v6, v7, v6
	v_and_b32_e32 v6, 0xffff, v6
	s_delay_alu instid0(VALU_DEP_1) | instskip(NEXT) | instid1(VALU_DEP_1)
	v_and_or_b32 v6, 0xffff0000, v5, v6
	v_cndmask_b32_e64 v5, v5, v6, s1
	s_waitcnt lgkmcnt(0)
	v_lshlrev_b16 v6, 8, v24
	s_delay_alu instid0(VALU_DEP_2) | instskip(NEXT) | instid1(VALU_DEP_1)
	v_and_b32_e32 v7, 0xff, v5
	v_or_b32_e32 v6, v7, v6
	ds_bpermute_b32 v7, v15, v2
	ds_bpermute_b32 v2, v16, v2
	v_and_b32_e32 v6, 0xffff, v6
	s_delay_alu instid0(VALU_DEP_1) | instskip(NEXT) | instid1(VALU_DEP_1)
	v_and_or_b32 v6, 0xffff0000, v5, v6
	v_cndmask_b32_e64 v5, v5, v6, s0
	s_delay_alu instid0(VALU_DEP_1)
	v_lshrrev_b32_e32 v6, 16, v5
	s_waitcnt lgkmcnt(1)
	v_and_b32_e32 v7, 0xff, v7
	s_waitcnt lgkmcnt(0)
	v_lshlrev_b16 v2, 8, v2
	v_and_b32_e32 v6, 0xffffff00, v6
	s_delay_alu instid0(VALU_DEP_1) | instskip(SKIP_3) | instid1(VALU_DEP_1)
	v_or_b32_e32 v6, v7, v6
	ds_bpermute_b32 v7, v15, v1
	ds_bpermute_b32 v1, v16, v1
	v_lshlrev_b32_e32 v6, 16, v6
	v_and_or_b32 v6, 0xffff, v5, v6
	s_delay_alu instid0(VALU_DEP_1) | instskip(NEXT) | instid1(VALU_DEP_1)
	v_cndmask_b32_e64 v5, v5, v6, s3
	v_lshrrev_b32_e32 v6, 16, v5
	s_waitcnt lgkmcnt(1)
	v_and_b32_e32 v7, 0xff, v7
	s_waitcnt lgkmcnt(0)
	v_lshlrev_b16 v1, 8, v1
	v_and_b32_e32 v6, 0xffffff00, v6
	s_delay_alu instid0(VALU_DEP_1) | instskip(SKIP_3) | instid1(VALU_DEP_1)
	v_or_b32_e32 v6, v7, v6
	ds_bpermute_b32 v7, v15, v3
	ds_bpermute_b32 v3, v16, v3
	v_lshlrev_b32_e32 v6, 16, v6
	v_and_or_b32 v6, 0xffff, v5, v6
	s_delay_alu instid0(VALU_DEP_1) | instskip(NEXT) | instid1(VALU_DEP_1)
	v_cndmask_b32_e64 v5, v5, v6, s2
	v_lshrrev_b32_e32 v6, 16, v5
	s_waitcnt lgkmcnt(1)
	v_and_b32_e32 v7, 0xff, v7
	s_waitcnt lgkmcnt(0)
	v_lshlrev_b16 v3, 8, v3
	v_and_b32_e32 v6, 0xffffff00, v6
	s_delay_alu instid0(VALU_DEP_1) | instskip(SKIP_2) | instid1(VALU_DEP_1)
	v_or_b32_e32 v6, v7, v6
	ds_bpermute_b32 v7, v15, v4
	v_lshlrev_b32_e32 v6, 16, v6
	v_and_or_b32 v6, 0xffff, v5, v6
	s_delay_alu instid0(VALU_DEP_1) | instskip(NEXT) | instid1(VALU_DEP_1)
	v_cndmask_b32_e64 v5, v5, v6, s1
	v_lshrrev_b32_e32 v6, 16, v5
	s_waitcnt lgkmcnt(0)
	v_and_b32_e32 v7, 0xff, v7
	s_delay_alu instid0(VALU_DEP_2) | instskip(NEXT) | instid1(VALU_DEP_1)
	v_and_b32_e32 v6, 0xffffff00, v6
	v_or_b32_e32 v6, v7, v6
	s_delay_alu instid0(VALU_DEP_1) | instskip(NEXT) | instid1(VALU_DEP_1)
	v_lshlrev_b32_e32 v6, 16, v6
	v_and_or_b32 v6, 0xffff, v5, v6
	s_delay_alu instid0(VALU_DEP_1) | instskip(NEXT) | instid1(VALU_DEP_1)
	v_cndmask_b32_e64 v5, v5, v6, s0
	v_lshrrev_b32_e32 v6, 16, v5
	s_delay_alu instid0(VALU_DEP_1) | instskip(NEXT) | instid1(VALU_DEP_1)
	v_and_b32_e32 v6, 0xff, v6
	v_or_b32_e32 v2, v6, v2
	s_delay_alu instid0(VALU_DEP_1) | instskip(NEXT) | instid1(VALU_DEP_1)
	v_lshlrev_b32_e32 v2, 16, v2
	v_and_or_b32 v2, 0xffff, v5, v2
	s_delay_alu instid0(VALU_DEP_1) | instskip(NEXT) | instid1(VALU_DEP_1)
	v_cndmask_b32_e64 v2, v5, v2, s3
	v_lshrrev_b32_e32 v5, 16, v2
	s_delay_alu instid0(VALU_DEP_1) | instskip(NEXT) | instid1(VALU_DEP_1)
	v_and_b32_e32 v5, 0xff, v5
	v_or_b32_e32 v1, v5, v1
	v_bfe_u32 v5, v0, 16, 8
	s_delay_alu instid0(VALU_DEP_2) | instskip(SKIP_4) | instid1(VALU_DEP_1)
	v_lshlrev_b32_e32 v1, 16, v1
	ds_bpermute_b32 v35, v13, v5
	ds_bpermute_b32 v29, v14, v5
	;; [unrolled: 1-line block ×3, first 2 shown]
	v_and_or_b32 v1, 0xffff, v2, v1
	v_cndmask_b32_e64 v1, v2, v1, s2
	s_delay_alu instid0(VALU_DEP_1) | instskip(NEXT) | instid1(VALU_DEP_1)
	v_lshrrev_b32_e32 v2, 16, v1
	v_and_b32_e32 v2, 0xff, v2
	s_delay_alu instid0(VALU_DEP_1)
	v_or_b32_e32 v2, v2, v3
	ds_bpermute_b32 v3, v16, v4
	v_bfe_u32 v4, v0, 8, 8
	v_lshlrev_b32_e32 v2, 16, v2
	ds_bpermute_b32 v36, v13, v4
	ds_bpermute_b32 v32, v14, v4
	;; [unrolled: 1-line block ×3, first 2 shown]
	v_and_or_b32 v2, 0xffff, v1, v2
	s_delay_alu instid0(VALU_DEP_1) | instskip(NEXT) | instid1(VALU_DEP_1)
	v_cndmask_b32_e64 v1, v1, v2, s1
	v_lshrrev_b32_e32 v2, 16, v1
	s_waitcnt lgkmcnt(3)
	v_lshlrev_b16 v3, 8, v3
	s_delay_alu instid0(VALU_DEP_2) | instskip(NEXT) | instid1(VALU_DEP_1)
	v_and_b32_e32 v2, 0xff, v2
	v_or_b32_e32 v2, v2, v3
	v_and_b32_e32 v3, 0xff, v0
	v_lshrrev_b32_e32 v0, 24, v0
	s_delay_alu instid0(VALU_DEP_3)
	v_lshlrev_b32_e32 v2, 16, v2
	ds_bpermute_b32 v30, v13, v3
	ds_bpermute_b32 v31, v14, v3
	;; [unrolled: 1-line block ×4, first 2 shown]
	v_and_or_b32 v2, 0xffff, v1, v2
	ds_bpermute_b32 v34, v13, v0
	ds_bpermute_b32 v28, v14, v0
	;; [unrolled: 1-line block ×3, first 2 shown]
	v_cndmask_b32_e64 v24, v1, v2, s0
	s_delay_alu instid0(VALU_DEP_1)
	v_and_b32_e32 v1, 1, v24
	v_lshlrev_b32_e32 v2, 30, v24
	v_lshlrev_b32_e32 v6, 29, v24
	;; [unrolled: 1-line block ×4, first 2 shown]
	v_add_co_u32 v1, s13, v1, -1
	s_delay_alu instid0(VALU_DEP_1)
	v_cndmask_b32_e64 v25, 0, 1, s13
	v_not_b32_e32 v38, v2
	v_cmp_gt_i32_e64 s14, 0, v2
	v_not_b32_e32 v2, v6
	v_lshlrev_b32_e32 v33, 26, v24
	v_cmp_ne_u32_e64 s13, 0, v25
	v_ashrrev_i32_e32 v38, 31, v38
	v_lshlrev_b32_e32 v37, 25, v24
	v_ashrrev_i32_e32 v2, 31, v2
	v_lshlrev_b32_e32 v25, 24, v24
	v_xor_b32_e32 v1, s13, v1
	v_cmp_gt_i32_e64 s13, 0, v6
	v_not_b32_e32 v6, v7
	v_xor_b32_e32 v38, s14, v38
	v_cmp_gt_i32_e64 s14, 0, v7
	v_and_b32_e32 v1, exec_lo, v1
	v_not_b32_e32 v7, v27
	v_ashrrev_i32_e32 v6, 31, v6
	v_xor_b32_e32 v2, s13, v2
	v_cmp_gt_i32_e64 s13, 0, v27
	v_and_b32_e32 v1, v1, v38
	v_not_b32_e32 v27, v33
	v_ashrrev_i32_e32 v7, 31, v7
	v_xor_b32_e32 v6, s14, v6
	v_cmp_gt_i32_e64 s14, 0, v33
	v_and_b32_e32 v1, v1, v2
	;; [unrolled: 5-line block ×4, first 2 shown]
	v_ashrrev_i32_e32 v6, 31, v6
	v_xor_b32_e32 v2, s13, v2
	ds_bpermute_b32 v38, v16, v4
	ds_bpermute_b32 v25, v16, v0
	v_and_b32_e32 v1, v1, v27
	v_xor_b32_e32 v3, s14, v6
	ds_bpermute_b32 v27, v16, v5
	v_and_b32_e32 v1, v1, v2
	s_delay_alu instid0(VALU_DEP_1) | instskip(SKIP_1) | instid1(VALU_DEP_2)
	v_and_b32_e32 v0, v1, v3
	v_and_b32_e32 v1, 0xff, v24
	v_mbcnt_lo_u32_b32 v33, v0, 0
	s_delay_alu instid0(VALU_DEP_2) | instskip(SKIP_1) | instid1(VALU_DEP_3)
	v_lshl_add_u32 v1, v1, 4, v22
	v_cmp_ne_u32_e64 s14, 0, v0
	v_cmp_eq_u32_e64 s13, 0, v33
	s_delay_alu instid0(VALU_DEP_3) | instskip(NEXT) | instid1(VALU_DEP_2)
	v_lshl_add_u32 v37, v1, 2, 64
	s_and_b32 s14, s14, s13
	s_delay_alu instid0(SALU_CYCLE_1)
	s_and_saveexec_b32 s13, s14
	s_cbranch_execz .LBB93_4
; %bb.3:                                ;   in Loop: Header=BB93_2 Depth=1
	v_bcnt_u32_b32 v0, v0, 0
	ds_store_b32 v37, v0
.LBB93_4:                               ;   in Loop: Header=BB93_2 Depth=1
	s_or_b32 exec_lo, exec_lo, s13
	v_bfe_u32 v0, v24, 8, 1
	v_lshrrev_b32_e32 v39, 8, v24
	; wave barrier
	s_delay_alu instid0(VALU_DEP_2) | instskip(NEXT) | instid1(VALU_DEP_1)
	v_add_co_u32 v0, s13, v0, -1
	v_cndmask_b32_e64 v1, 0, 1, s13
	s_delay_alu instid0(VALU_DEP_3)
	v_lshlrev_b32_e32 v2, 30, v39
	v_lshlrev_b32_e32 v3, 29, v39
	;; [unrolled: 1-line block ×4, first 2 shown]
	v_cmp_ne_u32_e64 s13, 0, v1
	v_not_b32_e32 v1, v2
	v_cmp_gt_i32_e64 s14, 0, v2
	v_not_b32_e32 v2, v3
	v_lshlrev_b32_e32 v6, 26, v39
	v_xor_b32_e32 v0, s13, v0
	v_ashrrev_i32_e32 v1, 31, v1
	v_cmp_gt_i32_e64 s13, 0, v3
	v_not_b32_e32 v3, v4
	v_ashrrev_i32_e32 v2, 31, v2
	v_and_b32_e32 v0, exec_lo, v0
	v_xor_b32_e32 v1, s14, v1
	v_cmp_gt_i32_e64 s14, 0, v4
	v_not_b32_e32 v4, v5
	v_ashrrev_i32_e32 v3, 31, v3
	v_xor_b32_e32 v2, s13, v2
	v_and_b32_e32 v0, v0, v1
	v_cmp_gt_i32_e64 s13, 0, v5
	v_not_b32_e32 v1, v6
	v_ashrrev_i32_e32 v4, 31, v4
	v_xor_b32_e32 v3, s14, v3
	v_and_b32_e32 v0, v0, v2
	v_lshlrev_b32_e32 v2, 25, v39
	v_cmp_gt_i32_e64 s14, 0, v6
	v_ashrrev_i32_e32 v1, 31, v1
	v_xor_b32_e32 v4, s13, v4
	v_and_b32_e32 v0, v0, v3
	v_not_b32_e32 v5, v2
	v_lshlrev_b32_e32 v6, 24, v39
	v_lshrrev_b32_e32 v3, 4, v24
	v_xor_b32_e32 v1, s14, v1
	v_and_b32_e32 v0, v0, v4
	v_cmp_gt_i32_e64 s13, 0, v2
	v_ashrrev_i32_e32 v2, 31, v5
	v_not_b32_e32 v4, v6
	v_and_b32_e32 v3, 0xff0, v3
	v_and_b32_e32 v0, v0, v1
	s_delay_alu instid0(VALU_DEP_4) | instskip(SKIP_3) | instid1(VALU_DEP_4)
	v_xor_b32_e32 v1, s13, v2
	v_cmp_gt_i32_e64 s13, 0, v6
	v_ashrrev_i32_e32 v2, 31, v4
	v_add_lshl_u32 v3, v22, v3, 2
	v_and_b32_e32 v0, v0, v1
	s_delay_alu instid0(VALU_DEP_3) | instskip(SKIP_3) | instid1(VALU_DEP_1)
	v_xor_b32_e32 v1, s13, v2
	ds_load_b32 v44, v3 offset:64
	v_add_nc_u32_e32 v46, 64, v3
	; wave barrier
	v_and_b32_e32 v0, v0, v1
	v_mbcnt_lo_u32_b32 v45, v0, 0
	v_cmp_ne_u32_e64 s14, 0, v0
	s_delay_alu instid0(VALU_DEP_2) | instskip(NEXT) | instid1(VALU_DEP_1)
	v_cmp_eq_u32_e64 s13, 0, v45
	s_and_b32 s14, s14, s13
	s_delay_alu instid0(SALU_CYCLE_1)
	s_and_saveexec_b32 s13, s14
	s_cbranch_execz .LBB93_6
; %bb.5:                                ;   in Loop: Header=BB93_2 Depth=1
	s_waitcnt lgkmcnt(0)
	v_bcnt_u32_b32 v0, v0, v44
	ds_store_b32 v46, v0
.LBB93_6:                               ;   in Loop: Header=BB93_2 Depth=1
	s_or_b32 exec_lo, exec_lo, s13
	v_bfe_u32 v0, v24, 16, 1
	v_lshrrev_b32_e32 v47, 16, v24
	; wave barrier
	s_delay_alu instid0(VALU_DEP_2) | instskip(NEXT) | instid1(VALU_DEP_1)
	v_add_co_u32 v0, s13, v0, -1
	v_cndmask_b32_e64 v1, 0, 1, s13
	s_delay_alu instid0(VALU_DEP_3)
	v_lshlrev_b32_e32 v2, 30, v47
	v_lshlrev_b32_e32 v3, 29, v47
	;; [unrolled: 1-line block ×4, first 2 shown]
	v_cmp_ne_u32_e64 s13, 0, v1
	v_not_b32_e32 v1, v2
	v_cmp_gt_i32_e64 s14, 0, v2
	v_not_b32_e32 v2, v3
	v_lshlrev_b32_e32 v6, 26, v47
	v_xor_b32_e32 v0, s13, v0
	v_ashrrev_i32_e32 v1, 31, v1
	v_cmp_gt_i32_e64 s13, 0, v3
	v_not_b32_e32 v3, v4
	v_ashrrev_i32_e32 v2, 31, v2
	v_and_b32_e32 v0, exec_lo, v0
	v_xor_b32_e32 v1, s14, v1
	v_cmp_gt_i32_e64 s14, 0, v4
	v_not_b32_e32 v4, v5
	v_ashrrev_i32_e32 v3, 31, v3
	v_xor_b32_e32 v2, s13, v2
	v_and_b32_e32 v0, v0, v1
	v_cmp_gt_i32_e64 s13, 0, v5
	v_not_b32_e32 v1, v6
	v_ashrrev_i32_e32 v4, 31, v4
	v_xor_b32_e32 v3, s14, v3
	v_and_b32_e32 v0, v0, v2
	v_lshlrev_b32_e32 v2, 25, v47
	v_cmp_gt_i32_e64 s14, 0, v6
	v_ashrrev_i32_e32 v1, 31, v1
	v_xor_b32_e32 v4, s13, v4
	v_and_b32_e32 v0, v0, v3
	v_not_b32_e32 v5, v2
	v_lshlrev_b32_e32 v6, 24, v47
	v_lshrrev_b32_e32 v3, 12, v24
	v_xor_b32_e32 v1, s14, v1
	v_and_b32_e32 v0, v0, v4
	v_cmp_gt_i32_e64 s13, 0, v2
	v_ashrrev_i32_e32 v2, 31, v5
	v_not_b32_e32 v4, v6
	v_and_b32_e32 v3, 0xff0, v3
	v_and_b32_e32 v0, v0, v1
	s_delay_alu instid0(VALU_DEP_4) | instskip(SKIP_3) | instid1(VALU_DEP_4)
	v_xor_b32_e32 v1, s13, v2
	v_cmp_gt_i32_e64 s13, 0, v6
	v_ashrrev_i32_e32 v2, 31, v4
	v_add_lshl_u32 v3, v22, v3, 2
	v_and_b32_e32 v0, v0, v1
	s_delay_alu instid0(VALU_DEP_3) | instskip(SKIP_3) | instid1(VALU_DEP_1)
	v_xor_b32_e32 v1, s13, v2
	ds_load_b32 v48, v3 offset:64
	v_add_nc_u32_e32 v50, 64, v3
	; wave barrier
	v_and_b32_e32 v0, v0, v1
	v_mbcnt_lo_u32_b32 v49, v0, 0
	v_cmp_ne_u32_e64 s14, 0, v0
	s_delay_alu instid0(VALU_DEP_2) | instskip(NEXT) | instid1(VALU_DEP_1)
	v_cmp_eq_u32_e64 s13, 0, v49
	s_and_b32 s14, s14, s13
	s_delay_alu instid0(SALU_CYCLE_1)
	s_and_saveexec_b32 s13, s14
	s_cbranch_execz .LBB93_8
; %bb.7:                                ;   in Loop: Header=BB93_2 Depth=1
	s_waitcnt lgkmcnt(0)
	v_bcnt_u32_b32 v0, v0, v48
	ds_store_b32 v50, v0
.LBB93_8:                               ;   in Loop: Header=BB93_2 Depth=1
	s_or_b32 exec_lo, exec_lo, s13
	v_bfe_u32 v0, v24, 24, 1
	v_lshrrev_b32_e32 v51, 24, v24
	; wave barrier
	s_delay_alu instid0(VALU_DEP_2) | instskip(NEXT) | instid1(VALU_DEP_1)
	v_add_co_u32 v0, s13, v0, -1
	v_cndmask_b32_e64 v1, 0, 1, s13
	s_delay_alu instid0(VALU_DEP_3)
	v_lshlrev_b32_e32 v2, 30, v51
	v_lshlrev_b32_e32 v3, 29, v51
	;; [unrolled: 1-line block ×4, first 2 shown]
	v_cmp_ne_u32_e64 s13, 0, v1
	v_not_b32_e32 v1, v2
	v_cmp_gt_i32_e64 s14, 0, v2
	v_not_b32_e32 v2, v3
	v_lshlrev_b32_e32 v6, 26, v51
	v_xor_b32_e32 v0, s13, v0
	v_ashrrev_i32_e32 v1, 31, v1
	v_cmp_gt_i32_e64 s13, 0, v3
	v_not_b32_e32 v3, v4
	v_ashrrev_i32_e32 v2, 31, v2
	v_and_b32_e32 v0, exec_lo, v0
	v_xor_b32_e32 v1, s14, v1
	v_cmp_gt_i32_e64 s14, 0, v4
	v_not_b32_e32 v4, v5
	v_ashrrev_i32_e32 v3, 31, v3
	v_xor_b32_e32 v2, s13, v2
	v_and_b32_e32 v0, v0, v1
	v_lshlrev_b32_e32 v1, 25, v51
	v_cmp_gt_i32_e64 s13, 0, v5
	v_ashrrev_i32_e32 v4, 31, v4
	v_xor_b32_e32 v3, s14, v3
	v_and_b32_e32 v0, v0, v2
	v_not_b32_e32 v5, v6
	v_not_b32_e32 v7, v1
	v_xor_b32_e32 v4, s13, v4
	v_cmp_gt_i32_e64 s13, 0, v6
	v_and_b32_e32 v0, v0, v3
	v_ashrrev_i32_e32 v3, 31, v5
	v_and_b32_e32 v2, 0xff000000, v24
	v_cmp_gt_i32_e64 s14, 0, v1
	v_ashrrev_i32_e32 v1, 31, v7
	v_and_b32_e32 v0, v0, v4
	v_not_b32_e32 v4, v24
	v_xor_b32_e32 v3, s13, v3
	v_lshlrev_b32_e32 v5, 4, v51
	v_xor_b32_e32 v1, s14, v1
	v_cmp_gt_i32_e64 s13, 0, v2
	v_ashrrev_i32_e32 v2, 31, v4
	v_and_b32_e32 v0, v0, v3
	v_add_lshl_u32 v3, v22, v5, 2
	s_delay_alu instid0(VALU_DEP_3) | instskip(NEXT) | instid1(VALU_DEP_3)
	v_xor_b32_e32 v2, s13, v2
	v_and_b32_e32 v0, v0, v1
	ds_load_b32 v52, v3 offset:64
	v_add_nc_u32_e32 v54, 64, v3
	; wave barrier
	v_and_b32_e32 v0, v0, v2
	s_delay_alu instid0(VALU_DEP_1) | instskip(SKIP_1) | instid1(VALU_DEP_2)
	v_mbcnt_lo_u32_b32 v53, v0, 0
	v_cmp_ne_u32_e64 s14, 0, v0
	v_cmp_eq_u32_e64 s13, 0, v53
	s_delay_alu instid0(VALU_DEP_1) | instskip(NEXT) | instid1(SALU_CYCLE_1)
	s_and_b32 s14, s14, s13
	s_and_saveexec_b32 s13, s14
	s_cbranch_execz .LBB93_10
; %bb.9:                                ;   in Loop: Header=BB93_2 Depth=1
	s_waitcnt lgkmcnt(0)
	v_bcnt_u32_b32 v0, v0, v52
	ds_store_b32 v54, v0
.LBB93_10:                              ;   in Loop: Header=BB93_2 Depth=1
	s_or_b32 exec_lo, exec_lo, s13
	; wave barrier
	s_waitcnt lgkmcnt(0)
	s_barrier
	buffer_gl0_inv
	ds_load_2addr_b64 v[4:7], v17 offset0:8 offset1:9
	ds_load_2addr_b64 v[0:3], v18 offset0:2 offset1:3
	s_waitcnt lgkmcnt(1)
	v_add_nc_u32_e32 v55, v5, v4
	s_delay_alu instid0(VALU_DEP_1) | instskip(SKIP_1) | instid1(VALU_DEP_1)
	v_add3_u32 v55, v55, v6, v7
	s_waitcnt lgkmcnt(0)
	v_add3_u32 v55, v55, v0, v1
	s_delay_alu instid0(VALU_DEP_1) | instskip(NEXT) | instid1(VALU_DEP_1)
	v_add3_u32 v3, v55, v2, v3
	v_mov_b32_dpp v55, v3 row_shr:1 row_mask:0xf bank_mask:0xf
	s_delay_alu instid0(VALU_DEP_1) | instskip(NEXT) | instid1(VALU_DEP_1)
	v_cndmask_b32_e64 v55, v55, 0, s4
	v_add_nc_u32_e32 v3, v55, v3
	s_delay_alu instid0(VALU_DEP_1) | instskip(NEXT) | instid1(VALU_DEP_1)
	v_mov_b32_dpp v55, v3 row_shr:2 row_mask:0xf bank_mask:0xf
	v_cndmask_b32_e64 v55, 0, v55, s5
	s_delay_alu instid0(VALU_DEP_1) | instskip(NEXT) | instid1(VALU_DEP_1)
	v_add_nc_u32_e32 v3, v3, v55
	v_mov_b32_dpp v55, v3 row_shr:4 row_mask:0xf bank_mask:0xf
	s_delay_alu instid0(VALU_DEP_1) | instskip(NEXT) | instid1(VALU_DEP_1)
	v_cndmask_b32_e64 v55, 0, v55, s6
	v_add_nc_u32_e32 v3, v3, v55
	s_delay_alu instid0(VALU_DEP_1) | instskip(NEXT) | instid1(VALU_DEP_1)
	v_mov_b32_dpp v55, v3 row_shr:8 row_mask:0xf bank_mask:0xf
	v_cndmask_b32_e64 v55, 0, v55, s7
	s_delay_alu instid0(VALU_DEP_1) | instskip(SKIP_3) | instid1(VALU_DEP_1)
	v_add_nc_u32_e32 v3, v3, v55
	ds_swizzle_b32 v55, v3 offset:swizzle(BROADCAST,32,15)
	s_waitcnt lgkmcnt(0)
	v_cndmask_b32_e64 v55, v55, 0, s8
	v_add_nc_u32_e32 v3, v3, v55
	s_and_saveexec_b32 s13, s12
	s_cbranch_execz .LBB93_12
; %bb.11:                               ;   in Loop: Header=BB93_2 Depth=1
	ds_store_b32 v19, v3
.LBB93_12:                              ;   in Loop: Header=BB93_2 Depth=1
	s_or_b32 exec_lo, exec_lo, s13
	s_waitcnt lgkmcnt(0)
	s_barrier
	buffer_gl0_inv
	s_and_saveexec_b32 s13, s9
	s_cbranch_execz .LBB93_14
; %bb.13:                               ;   in Loop: Header=BB93_2 Depth=1
	ds_load_b32 v55, v23
	s_waitcnt lgkmcnt(0)
	v_mov_b32_dpp v56, v55 row_shr:1 row_mask:0xf bank_mask:0xf
	s_delay_alu instid0(VALU_DEP_1) | instskip(NEXT) | instid1(VALU_DEP_1)
	v_cndmask_b32_e64 v56, v56, 0, s4
	v_add_nc_u32_e32 v55, v56, v55
	s_delay_alu instid0(VALU_DEP_1) | instskip(NEXT) | instid1(VALU_DEP_1)
	v_mov_b32_dpp v56, v55 row_shr:2 row_mask:0xf bank_mask:0xf
	v_cndmask_b32_e64 v56, 0, v56, s5
	s_delay_alu instid0(VALU_DEP_1) | instskip(NEXT) | instid1(VALU_DEP_1)
	v_add_nc_u32_e32 v55, v55, v56
	v_mov_b32_dpp v56, v55 row_shr:4 row_mask:0xf bank_mask:0xf
	s_delay_alu instid0(VALU_DEP_1) | instskip(NEXT) | instid1(VALU_DEP_1)
	v_cndmask_b32_e64 v56, 0, v56, s6
	v_add_nc_u32_e32 v55, v55, v56
	s_delay_alu instid0(VALU_DEP_1) | instskip(NEXT) | instid1(VALU_DEP_1)
	v_mov_b32_dpp v56, v55 row_shr:8 row_mask:0xf bank_mask:0xf
	v_cndmask_b32_e64 v56, 0, v56, s7
	s_delay_alu instid0(VALU_DEP_1)
	v_add_nc_u32_e32 v55, v55, v56
	ds_store_b32 v23, v55
.LBB93_14:                              ;   in Loop: Header=BB93_2 Depth=1
	s_or_b32 exec_lo, exec_lo, s13
	v_mov_b32_e32 v55, 0
	s_waitcnt lgkmcnt(0)
	s_barrier
	buffer_gl0_inv
	s_and_saveexec_b32 s13, s10
	s_cbranch_execz .LBB93_1
; %bb.15:                               ;   in Loop: Header=BB93_2 Depth=1
	ds_load_b32 v55, v21
	s_branch .LBB93_1
.LBB93_16:
	s_waitcnt lgkmcnt(0)
	v_lshrrev_b32_e32 v7, 8, v0
	s_add_u32 s0, s18, s15
	v_lshrrev_b32_e32 v6, 16, v0
	v_lshrrev_b32_e32 v9, 24, v0
	s_addc_u32 s1, s19, 0
	v_add_co_u32 v4, s0, s0, v8
	v_add_nc_u16 v0, v5, v0
	v_add_co_ci_u32_e64 v5, null, s1, 0, s0
	v_add_nc_u16 v1, v1, v7
	v_add_nc_u16 v3, v3, v6
	;; [unrolled: 1-line block ×3, first 2 shown]
	s_clause 0x3
	global_store_b8 v[4:5], v0, off
	global_store_b8 v[4:5], v1, off offset:512
	global_store_b8 v[4:5], v3, off offset:1024
	;; [unrolled: 1-line block ×3, first 2 shown]
	s_nop 0
	s_sendmsg sendmsg(MSG_DEALLOC_VGPRS)
	s_endpgm
	.section	.rodata,"a",@progbits
	.p2align	6, 0x0
	.amdhsa_kernel _Z17sort_pairs_kernelI22helper_blocked_blockedaLj512ELj4ELj10EEvPKT0_PS1_
		.amdhsa_group_segment_fixed_size 16448
		.amdhsa_private_segment_fixed_size 0
		.amdhsa_kernarg_size 272
		.amdhsa_user_sgpr_count 15
		.amdhsa_user_sgpr_dispatch_ptr 0
		.amdhsa_user_sgpr_queue_ptr 0
		.amdhsa_user_sgpr_kernarg_segment_ptr 1
		.amdhsa_user_sgpr_dispatch_id 0
		.amdhsa_user_sgpr_private_segment_size 0
		.amdhsa_wavefront_size32 1
		.amdhsa_uses_dynamic_stack 0
		.amdhsa_enable_private_segment 0
		.amdhsa_system_sgpr_workgroup_id_x 1
		.amdhsa_system_sgpr_workgroup_id_y 0
		.amdhsa_system_sgpr_workgroup_id_z 0
		.amdhsa_system_sgpr_workgroup_info 0
		.amdhsa_system_vgpr_workitem_id 2
		.amdhsa_next_free_vgpr 57
		.amdhsa_next_free_sgpr 20
		.amdhsa_reserve_vcc 1
		.amdhsa_float_round_mode_32 0
		.amdhsa_float_round_mode_16_64 0
		.amdhsa_float_denorm_mode_32 3
		.amdhsa_float_denorm_mode_16_64 3
		.amdhsa_dx10_clamp 1
		.amdhsa_ieee_mode 1
		.amdhsa_fp16_overflow 0
		.amdhsa_workgroup_processor_mode 1
		.amdhsa_memory_ordered 1
		.amdhsa_forward_progress 0
		.amdhsa_shared_vgpr_count 0
		.amdhsa_exception_fp_ieee_invalid_op 0
		.amdhsa_exception_fp_denorm_src 0
		.amdhsa_exception_fp_ieee_div_zero 0
		.amdhsa_exception_fp_ieee_overflow 0
		.amdhsa_exception_fp_ieee_underflow 0
		.amdhsa_exception_fp_ieee_inexact 0
		.amdhsa_exception_int_div_zero 0
	.end_amdhsa_kernel
	.section	.text._Z17sort_pairs_kernelI22helper_blocked_blockedaLj512ELj4ELj10EEvPKT0_PS1_,"axG",@progbits,_Z17sort_pairs_kernelI22helper_blocked_blockedaLj512ELj4ELj10EEvPKT0_PS1_,comdat
.Lfunc_end93:
	.size	_Z17sort_pairs_kernelI22helper_blocked_blockedaLj512ELj4ELj10EEvPKT0_PS1_, .Lfunc_end93-_Z17sort_pairs_kernelI22helper_blocked_blockedaLj512ELj4ELj10EEvPKT0_PS1_
                                        ; -- End function
	.section	.AMDGPU.csdata,"",@progbits
; Kernel info:
; codeLenInByte = 4768
; NumSgprs: 22
; NumVgprs: 57
; ScratchSize: 0
; MemoryBound: 0
; FloatMode: 240
; IeeeMode: 1
; LDSByteSize: 16448 bytes/workgroup (compile time only)
; SGPRBlocks: 2
; VGPRBlocks: 7
; NumSGPRsForWavesPerEU: 22
; NumVGPRsForWavesPerEU: 57
; Occupancy: 16
; WaveLimiterHint : 1
; COMPUTE_PGM_RSRC2:SCRATCH_EN: 0
; COMPUTE_PGM_RSRC2:USER_SGPR: 15
; COMPUTE_PGM_RSRC2:TRAP_HANDLER: 0
; COMPUTE_PGM_RSRC2:TGID_X_EN: 1
; COMPUTE_PGM_RSRC2:TGID_Y_EN: 0
; COMPUTE_PGM_RSRC2:TGID_Z_EN: 0
; COMPUTE_PGM_RSRC2:TIDIG_COMP_CNT: 2
	.section	.text._Z16sort_keys_kernelI22helper_blocked_blockedaLj512ELj8ELj10EEvPKT0_PS1_,"axG",@progbits,_Z16sort_keys_kernelI22helper_blocked_blockedaLj512ELj8ELj10EEvPKT0_PS1_,comdat
	.protected	_Z16sort_keys_kernelI22helper_blocked_blockedaLj512ELj8ELj10EEvPKT0_PS1_ ; -- Begin function _Z16sort_keys_kernelI22helper_blocked_blockedaLj512ELj8ELj10EEvPKT0_PS1_
	.globl	_Z16sort_keys_kernelI22helper_blocked_blockedaLj512ELj8ELj10EEvPKT0_PS1_
	.p2align	8
	.type	_Z16sort_keys_kernelI22helper_blocked_blockedaLj512ELj8ELj10EEvPKT0_PS1_,@function
_Z16sort_keys_kernelI22helper_blocked_blockedaLj512ELj8ELj10EEvPKT0_PS1_: ; @_Z16sort_keys_kernelI22helper_blocked_blockedaLj512ELj8ELj10EEvPKT0_PS1_
; %bb.0:
	s_clause 0x1
	s_load_b128 s[16:19], s[0:1], 0x0
	s_load_b32 s8, s[0:1], 0x1c
	s_lshl_b32 s11, s15, 12
	v_and_b32_e32 v8, 0x3ff, v0
	v_mbcnt_lo_u32_b32 v14, -1, 0
	v_bfe_u32 v20, v0, 10, 10
	v_bfe_u32 v0, v0, 20, 10
	s_mov_b32 s12, 10
	s_delay_alu instid0(VALU_DEP_3) | instskip(SKIP_3) | instid1(VALU_DEP_4)
	v_add_nc_u32_e32 v17, -1, v14
	v_and_b32_e32 v16, 16, v14
	v_cmp_eq_u32_e32 vcc_lo, 0, v14
	v_and_b32_e32 v15, 15, v14
	v_cmp_gt_i32_e64 s7, 0, v17
	s_delay_alu instid0(VALU_DEP_4) | instskip(NEXT) | instid1(VALU_DEP_2)
	v_cmp_eq_u32_e64 s4, 0, v16
	v_cndmask_b32_e64 v16, v17, v14, s7
	s_waitcnt lgkmcnt(0)
	s_add_u32 s0, s16, s11
	s_addc_u32 s1, s17, 0
	s_clause 0x7
	global_load_u8 v1, v8, s[0:1] offset:512
	global_load_u8 v2, v8, s[0:1] offset:1536
	;; [unrolled: 1-line block ×4, first 2 shown]
	global_load_u8 v5, v8, s[0:1]
	global_load_u8 v6, v8, s[0:1] offset:1024
	global_load_u8 v7, v8, s[0:1] offset:2048
	;; [unrolled: 1-line block ×3, first 2 shown]
	s_mov_b32 s0, 0
	s_lshr_b32 s9, s8, 16
	s_mov_b32 s1, s0
	s_mov_b32 s2, s0
	;; [unrolled: 1-line block ×3, first 2 shown]
	v_dual_mov_b32 v10, s1 :: v_dual_mov_b32 v9, s0
	v_lshlrev_b32_e32 v18, 3, v8
	v_and_b32_e32 v21, 0x1e0, v8
	v_lshrrev_b32_e32 v22, 3, v8
	v_lshlrev_b32_e32 v23, 2, v8
	v_mad_u32_u24 v20, v0, s9, v20
	v_mov_b32_e32 v12, s3
	v_or_b32_e32 v24, v14, v21
	v_and_or_b32 v14, 0xf00, v18, v14
	v_and_b32_e32 v18, 60, v22
	v_sub_nc_u32_e32 v22, 0, v23
	s_and_b32 s8, s8, 0xffff
	v_lshlrev_b32_e32 v13, 5, v8
	v_or_b32_e32 v21, 31, v21
	v_mov_b32_e32 v11, s2
	v_cmp_eq_u32_e64 s0, 0, v15
	v_cmp_lt_u32_e64 s1, 1, v15
	v_mad_i32_i24 v17, 0xffffffe8, v8, v13
	v_cmp_lt_u32_e64 s2, 3, v15
	v_cmp_lt_u32_e64 s3, 7, v15
	v_cmp_gt_u32_e64 s5, 16, v8
	v_cmp_lt_u32_e64 s6, 31, v8
	v_cmp_eq_u32_e64 s7, 0, v8
	v_add_nc_u32_e32 v15, 64, v13
	v_lshlrev_b32_e32 v16, 2, v16
	v_add_nc_u32_e32 v22, v17, v22
	s_waitcnt vmcnt(7)
	v_lshlrev_b16 v23, 8, v1
	s_waitcnt vmcnt(6)
	v_lshlrev_b16 v2, 8, v2
	;; [unrolled: 2-line block ×4, first 2 shown]
	v_mad_u64_u32 v[0:1], null, v20, s8, v[8:9]
	s_waitcnt vmcnt(3)
	v_or_b32_e32 v1, v5, v23
	s_waitcnt vmcnt(2)
	v_or_b32_e32 v2, v6, v2
	;; [unrolled: 2-line block ×4, first 2 shown]
	v_lshlrev_b32_e32 v19, 3, v24
	v_and_b32_e32 v1, 0xffff, v1
	v_lshlrev_b32_e32 v2, 16, v2
	v_and_b32_e32 v3, 0xffff, v3
	v_lshlrev_b32_e32 v4, 16, v4
	v_cmp_eq_u32_e64 s8, v21, v8
	v_add_nc_u32_e32 v20, -4, v18
	v_lshrrev_b32_e32 v21, 5, v0
	v_or_b32_e32 v23, v1, v2
	v_or_b32_e32 v24, v3, v4
	s_branch .LBB94_2
.LBB94_1:                               ;   in Loop: Header=BB94_2 Depth=1
	s_or_b32 exec_lo, exec_lo, s9
	s_waitcnt lgkmcnt(0)
	v_add_nc_u32_e32 v3, v54, v3
	s_add_i32 s12, s12, -1
	s_delay_alu instid0(SALU_CYCLE_1) | instskip(SKIP_3) | instid1(VALU_DEP_1)
	s_cmp_eq_u32 s12, 0
	ds_bpermute_b32 v3, v16, v3
	s_waitcnt lgkmcnt(0)
	v_cndmask_b32_e32 v3, v3, v54, vcc_lo
	v_cndmask_b32_e64 v3, v3, 0, s7
	s_delay_alu instid0(VALU_DEP_1) | instskip(NEXT) | instid1(VALU_DEP_1)
	v_add_nc_u32_e32 v4, v3, v4
	v_add_nc_u32_e32 v5, v4, v5
	s_delay_alu instid0(VALU_DEP_1) | instskip(NEXT) | instid1(VALU_DEP_1)
	v_add_nc_u32_e32 v6, v5, v6
	v_add_nc_u32_e32 v54, v6, v7
	;; [unrolled: 3-line block ×3, first 2 shown]
	s_delay_alu instid0(VALU_DEP_1)
	v_add_nc_u32_e32 v1, v0, v2
	ds_store_2addr_b64 v13, v[3:4], v[5:6] offset0:8 offset1:9
	ds_store_2addr_b64 v15, v[54:55], v[0:1] offset0:2 offset1:3
	s_waitcnt lgkmcnt(0)
	s_barrier
	buffer_gl0_inv
	ds_load_b32 v0, v32
	ds_load_b32 v1, v35
	;; [unrolled: 1-line block ×8, first 2 shown]
	s_waitcnt lgkmcnt(0)
	s_barrier
	buffer_gl0_inv
	v_add_nc_u32_e32 v0, v0, v31
	v_add3_u32 v1, v34, v33, v1
	v_add3_u32 v2, v37, v36, v2
	;; [unrolled: 1-line block ×7, first 2 shown]
	ds_store_b8 v0, v23
	ds_store_b8 v1, v24
	;; [unrolled: 1-line block ×8, first 2 shown]
	s_waitcnt lgkmcnt(0)
	s_barrier
	buffer_gl0_inv
	ds_load_b64 v[0:1], v17
	s_waitcnt lgkmcnt(0)
	v_lshrrev_b32_e32 v2, 8, v0
	v_lshrrev_b32_e32 v3, 16, v0
	;; [unrolled: 1-line block ×6, first 2 shown]
	v_xor_b32_e32 v0, 0xffffff80, v0
	v_xor_b32_e32 v1, 0xffffff80, v1
	;; [unrolled: 1-line block ×8, first 2 shown]
	v_and_b32_e32 v23, 0xff, v0
	v_and_b32_e32 v24, 0xff, v1
	v_lshlrev_b16 v25, 8, v5
	v_lshlrev_b16 v26, 8, v7
	v_and_b32_e32 v27, 0xff, v6
	v_lshlrev_b16 v28, 8, v2
	v_lshlrev_b16 v29, 8, v4
	v_and_b32_e32 v30, 0xff, v3
	v_or_b32_e32 v23, v23, v25
	v_or_b32_e32 v25, v27, v26
	;; [unrolled: 1-line block ×3, first 2 shown]
	s_delay_alu instid0(VALU_DEP_4) | instskip(NEXT) | instid1(VALU_DEP_4)
	v_or_b32_e32 v26, v30, v29
	v_and_b32_e32 v23, 0xffff, v23
	s_delay_alu instid0(VALU_DEP_4) | instskip(NEXT) | instid1(VALU_DEP_4)
	v_lshlrev_b32_e32 v25, 16, v25
	v_and_b32_e32 v24, 0xffff, v24
	s_delay_alu instid0(VALU_DEP_4) | instskip(NEXT) | instid1(VALU_DEP_3)
	v_lshlrev_b32_e32 v26, 16, v26
	v_or_b32_e32 v23, v23, v25
	s_delay_alu instid0(VALU_DEP_2)
	v_or_b32_e32 v24, v24, v26
	s_cbranch_scc1 .LBB94_24
.LBB94_2:                               ; =>This Inner Loop Header: Depth=1
	s_delay_alu instid0(VALU_DEP_1) | instskip(NEXT) | instid1(VALU_DEP_3)
	v_lshrrev_b32_e32 v0, 16, v24
	v_lshrrev_b32_e32 v1, 16, v23
	v_xor_b32_e32 v2, 0x80, v24
	v_xor_b32_e32 v6, 0x80, v23
	v_and_b32_e32 v3, 0xffffff00, v24
	v_xor_b32_e32 v5, 0x80, v0
	v_xor_b32_e32 v7, 0x80, v1
	v_and_b32_e32 v4, 0xffffff00, v23
	v_and_b32_e32 v2, 0xff, v2
	;; [unrolled: 1-line block ×7, first 2 shown]
	v_or_b32_e32 v2, v2, v3
	v_or_b32_e32 v0, v5, v0
	;; [unrolled: 1-line block ×3, first 2 shown]
	s_delay_alu instid0(VALU_DEP_4) | instskip(NEXT) | instid1(VALU_DEP_4)
	v_or_b32_e32 v1, v7, v1
	v_add_nc_u16 v2, v2, 0x8000
	s_delay_alu instid0(VALU_DEP_4) | instskip(NEXT) | instid1(VALU_DEP_4)
	v_add_nc_u16 v0, v0, 0x8000
	v_add_nc_u16 v3, v3, 0x8000
	s_delay_alu instid0(VALU_DEP_4) | instskip(NEXT) | instid1(VALU_DEP_4)
	v_add_nc_u16 v1, v1, 0x8000
	v_and_b32_e32 v2, 0xffff, v2
	s_delay_alu instid0(VALU_DEP_4) | instskip(NEXT) | instid1(VALU_DEP_4)
	v_lshlrev_b32_e32 v0, 16, v0
	v_and_b32_e32 v3, 0xffff, v3
	s_delay_alu instid0(VALU_DEP_4) | instskip(NEXT) | instid1(VALU_DEP_3)
	v_lshlrev_b32_e32 v4, 16, v1
	v_or_b32_e32 v1, v2, v0
	s_delay_alu instid0(VALU_DEP_2)
	v_or_b32_e32 v0, v3, v4
	ds_store_b64 v19, v[0:1]
	; wave barrier
	ds_load_u8 v23, v14
	ds_load_u8 v24, v14 offset:32
	ds_load_u8 v25, v14 offset:64
	ds_load_u8 v26, v14 offset:96
	ds_load_u8 v27, v14 offset:128
	ds_load_u8 v28, v14 offset:160
	ds_load_u8 v29, v14 offset:192
	ds_load_u8 v30, v14 offset:224
	; wave barrier
	; wave barrier
	s_waitcnt lgkmcnt(0)
	s_barrier
	buffer_gl0_inv
	ds_store_2addr_b64 v13, v[9:10], v[11:12] offset0:8 offset1:9
	ds_store_2addr_b64 v15, v[9:10], v[11:12] offset0:2 offset1:3
	s_waitcnt lgkmcnt(0)
	s_barrier
	buffer_gl0_inv
	v_and_b32_e32 v0, 1, v23
	v_lshlrev_b32_e32 v1, 30, v23
	v_lshlrev_b32_e32 v2, 29, v23
	;; [unrolled: 1-line block ×4, first 2 shown]
	v_add_co_u32 v0, s9, v0, -1
	s_delay_alu instid0(VALU_DEP_1)
	v_cndmask_b32_e64 v4, 0, 1, s9
	v_not_b32_e32 v31, v1
	v_cmp_gt_i32_e64 s10, 0, v1
	v_not_b32_e32 v1, v2
	v_lshlrev_b32_e32 v6, 26, v23
	v_cmp_ne_u32_e64 s9, 0, v4
	v_ashrrev_i32_e32 v31, 31, v31
	v_lshlrev_b32_e32 v7, 25, v23
	v_ashrrev_i32_e32 v1, 31, v1
	v_lshlrev_b32_e32 v4, 24, v23
	v_xor_b32_e32 v0, s9, v0
	v_cmp_gt_i32_e64 s9, 0, v2
	v_not_b32_e32 v2, v3
	v_xor_b32_e32 v31, s10, v31
	v_cmp_gt_i32_e64 s10, 0, v3
	v_and_b32_e32 v0, exec_lo, v0
	v_not_b32_e32 v3, v5
	v_ashrrev_i32_e32 v2, 31, v2
	v_xor_b32_e32 v1, s9, v1
	v_cmp_gt_i32_e64 s9, 0, v5
	v_and_b32_e32 v0, v0, v31
	v_not_b32_e32 v5, v6
	v_ashrrev_i32_e32 v3, 31, v3
	v_xor_b32_e32 v2, s10, v2
	v_cmp_gt_i32_e64 s10, 0, v6
	v_and_b32_e32 v0, v0, v1
	;; [unrolled: 5-line block ×4, first 2 shown]
	v_ashrrev_i32_e32 v2, 31, v2
	v_xor_b32_e32 v1, s9, v1
	; wave barrier
	s_delay_alu instid0(VALU_DEP_3) | instskip(NEXT) | instid1(VALU_DEP_3)
	v_and_b32_e32 v0, v0, v5
	v_xor_b32_e32 v2, s10, v2
	s_delay_alu instid0(VALU_DEP_2) | instskip(SKIP_1) | instid1(VALU_DEP_2)
	v_and_b32_e32 v0, v0, v1
	v_and_b32_e32 v1, 0xff, v23
	;; [unrolled: 1-line block ×3, first 2 shown]
	s_delay_alu instid0(VALU_DEP_2) | instskip(NEXT) | instid1(VALU_DEP_2)
	v_lshl_add_u32 v1, v1, 4, v21
	v_mbcnt_lo_u32_b32 v31, v0, 0
	v_cmp_ne_u32_e64 s10, 0, v0
	s_delay_alu instid0(VALU_DEP_3) | instskip(NEXT) | instid1(VALU_DEP_3)
	v_lshl_add_u32 v32, v1, 2, 64
	v_cmp_eq_u32_e64 s9, 0, v31
	s_delay_alu instid0(VALU_DEP_1) | instskip(NEXT) | instid1(SALU_CYCLE_1)
	s_and_b32 s10, s10, s9
	s_and_saveexec_b32 s9, s10
	s_cbranch_execz .LBB94_4
; %bb.3:                                ;   in Loop: Header=BB94_2 Depth=1
	v_bcnt_u32_b32 v0, v0, 0
	ds_store_b32 v32, v0
.LBB94_4:                               ;   in Loop: Header=BB94_2 Depth=1
	s_or_b32 exec_lo, exec_lo, s9
	v_and_b32_e32 v0, 1, v24
	v_lshlrev_b32_e32 v2, 30, v24
	v_lshlrev_b32_e32 v4, 29, v24
	;; [unrolled: 1-line block ×4, first 2 shown]
	v_add_co_u32 v0, s9, v0, -1
	s_delay_alu instid0(VALU_DEP_1)
	v_cndmask_b32_e64 v3, 0, 1, s9
	v_not_b32_e32 v7, v2
	v_cmp_gt_i32_e64 s10, 0, v2
	v_not_b32_e32 v2, v4
	v_and_b32_e32 v1, 0xff, v24
	v_cmp_ne_u32_e64 s9, 0, v3
	v_ashrrev_i32_e32 v7, 31, v7
	v_lshlrev_b32_e32 v3, 26, v24
	v_ashrrev_i32_e32 v2, 31, v2
	v_lshlrev_b32_e32 v1, 4, v1
	v_xor_b32_e32 v0, s9, v0
	v_cmp_gt_i32_e64 s9, 0, v4
	v_not_b32_e32 v4, v5
	v_xor_b32_e32 v7, s10, v7
	v_cmp_gt_i32_e64 s10, 0, v5
	v_and_b32_e32 v0, exec_lo, v0
	v_not_b32_e32 v5, v6
	v_ashrrev_i32_e32 v4, 31, v4
	v_xor_b32_e32 v2, s9, v2
	v_cmp_gt_i32_e64 s9, 0, v6
	v_and_b32_e32 v0, v0, v7
	v_lshlrev_b32_e32 v7, 25, v24
	v_ashrrev_i32_e32 v5, 31, v5
	v_xor_b32_e32 v4, s10, v4
	v_not_b32_e32 v6, v3
	v_and_b32_e32 v0, v0, v2
	v_lshlrev_b32_e32 v2, 24, v24
	v_not_b32_e32 v33, v7
	v_xor_b32_e32 v5, s9, v5
	v_cmp_gt_i32_e64 s9, 0, v3
	v_and_b32_e32 v0, v0, v4
	v_ashrrev_i32_e32 v3, 31, v6
	v_cmp_gt_i32_e64 s10, 0, v7
	v_ashrrev_i32_e32 v4, 31, v33
	v_add_lshl_u32 v1, v21, v1, 2
	v_and_b32_e32 v0, v0, v5
	v_not_b32_e32 v5, v2
	v_xor_b32_e32 v3, s9, v3
	v_xor_b32_e32 v4, s10, v4
	v_cmp_gt_i32_e64 s9, 0, v2
	s_delay_alu instid0(VALU_DEP_4) | instskip(NEXT) | instid1(VALU_DEP_4)
	v_ashrrev_i32_e32 v2, 31, v5
	v_and_b32_e32 v0, v0, v3
	; wave barrier
	ds_load_b32 v33, v1 offset:64
	v_add_nc_u32_e32 v35, 64, v1
	v_xor_b32_e32 v2, s9, v2
	v_and_b32_e32 v0, v0, v4
	; wave barrier
	s_delay_alu instid0(VALU_DEP_1) | instskip(NEXT) | instid1(VALU_DEP_1)
	v_and_b32_e32 v0, v0, v2
	v_mbcnt_lo_u32_b32 v34, v0, 0
	v_cmp_ne_u32_e64 s10, 0, v0
	s_delay_alu instid0(VALU_DEP_2) | instskip(NEXT) | instid1(VALU_DEP_1)
	v_cmp_eq_u32_e64 s9, 0, v34
	s_and_b32 s10, s10, s9
	s_delay_alu instid0(SALU_CYCLE_1)
	s_and_saveexec_b32 s9, s10
	s_cbranch_execz .LBB94_6
; %bb.5:                                ;   in Loop: Header=BB94_2 Depth=1
	s_waitcnt lgkmcnt(0)
	v_bcnt_u32_b32 v0, v0, v33
	ds_store_b32 v35, v0
.LBB94_6:                               ;   in Loop: Header=BB94_2 Depth=1
	s_or_b32 exec_lo, exec_lo, s9
	v_and_b32_e32 v0, 1, v25
	v_lshlrev_b32_e32 v2, 30, v25
	v_lshlrev_b32_e32 v4, 29, v25
	;; [unrolled: 1-line block ×4, first 2 shown]
	v_add_co_u32 v0, s9, v0, -1
	s_delay_alu instid0(VALU_DEP_1)
	v_cndmask_b32_e64 v3, 0, 1, s9
	v_not_b32_e32 v7, v2
	v_cmp_gt_i32_e64 s10, 0, v2
	v_not_b32_e32 v2, v4
	v_and_b32_e32 v1, 0xff, v25
	v_cmp_ne_u32_e64 s9, 0, v3
	v_ashrrev_i32_e32 v7, 31, v7
	v_lshlrev_b32_e32 v3, 26, v25
	v_ashrrev_i32_e32 v2, 31, v2
	v_lshlrev_b32_e32 v1, 4, v1
	v_xor_b32_e32 v0, s9, v0
	v_cmp_gt_i32_e64 s9, 0, v4
	v_not_b32_e32 v4, v5
	v_xor_b32_e32 v7, s10, v7
	v_cmp_gt_i32_e64 s10, 0, v5
	v_and_b32_e32 v0, exec_lo, v0
	v_not_b32_e32 v5, v6
	v_ashrrev_i32_e32 v4, 31, v4
	v_xor_b32_e32 v2, s9, v2
	v_cmp_gt_i32_e64 s9, 0, v6
	v_and_b32_e32 v0, v0, v7
	v_lshlrev_b32_e32 v7, 25, v25
	v_ashrrev_i32_e32 v5, 31, v5
	v_xor_b32_e32 v4, s10, v4
	v_not_b32_e32 v6, v3
	v_and_b32_e32 v0, v0, v2
	v_lshlrev_b32_e32 v2, 24, v25
	v_not_b32_e32 v36, v7
	v_xor_b32_e32 v5, s9, v5
	v_cmp_gt_i32_e64 s9, 0, v3
	v_and_b32_e32 v0, v0, v4
	v_ashrrev_i32_e32 v3, 31, v6
	v_cmp_gt_i32_e64 s10, 0, v7
	v_ashrrev_i32_e32 v4, 31, v36
	v_add_lshl_u32 v1, v21, v1, 2
	v_and_b32_e32 v0, v0, v5
	v_not_b32_e32 v5, v2
	v_xor_b32_e32 v3, s9, v3
	v_xor_b32_e32 v4, s10, v4
	v_cmp_gt_i32_e64 s9, 0, v2
	s_delay_alu instid0(VALU_DEP_4) | instskip(NEXT) | instid1(VALU_DEP_4)
	v_ashrrev_i32_e32 v2, 31, v5
	v_and_b32_e32 v0, v0, v3
	; wave barrier
	ds_load_b32 v36, v1 offset:64
	v_add_nc_u32_e32 v38, 64, v1
	v_xor_b32_e32 v2, s9, v2
	v_and_b32_e32 v0, v0, v4
	; wave barrier
	s_delay_alu instid0(VALU_DEP_1) | instskip(NEXT) | instid1(VALU_DEP_1)
	v_and_b32_e32 v0, v0, v2
	v_mbcnt_lo_u32_b32 v37, v0, 0
	v_cmp_ne_u32_e64 s10, 0, v0
	s_delay_alu instid0(VALU_DEP_2) | instskip(NEXT) | instid1(VALU_DEP_1)
	v_cmp_eq_u32_e64 s9, 0, v37
	s_and_b32 s10, s10, s9
	s_delay_alu instid0(SALU_CYCLE_1)
	s_and_saveexec_b32 s9, s10
	s_cbranch_execz .LBB94_8
; %bb.7:                                ;   in Loop: Header=BB94_2 Depth=1
	s_waitcnt lgkmcnt(0)
	v_bcnt_u32_b32 v0, v0, v36
	ds_store_b32 v38, v0
.LBB94_8:                               ;   in Loop: Header=BB94_2 Depth=1
	s_or_b32 exec_lo, exec_lo, s9
	v_and_b32_e32 v0, 1, v26
	v_lshlrev_b32_e32 v2, 30, v26
	v_lshlrev_b32_e32 v4, 29, v26
	;; [unrolled: 1-line block ×4, first 2 shown]
	v_add_co_u32 v0, s9, v0, -1
	s_delay_alu instid0(VALU_DEP_1)
	v_cndmask_b32_e64 v3, 0, 1, s9
	v_not_b32_e32 v7, v2
	v_cmp_gt_i32_e64 s10, 0, v2
	v_not_b32_e32 v2, v4
	v_and_b32_e32 v1, 0xff, v26
	v_cmp_ne_u32_e64 s9, 0, v3
	v_ashrrev_i32_e32 v7, 31, v7
	v_lshlrev_b32_e32 v3, 26, v26
	v_ashrrev_i32_e32 v2, 31, v2
	v_lshlrev_b32_e32 v1, 4, v1
	v_xor_b32_e32 v0, s9, v0
	v_cmp_gt_i32_e64 s9, 0, v4
	v_not_b32_e32 v4, v5
	v_xor_b32_e32 v7, s10, v7
	v_cmp_gt_i32_e64 s10, 0, v5
	v_and_b32_e32 v0, exec_lo, v0
	v_not_b32_e32 v5, v6
	v_ashrrev_i32_e32 v4, 31, v4
	v_xor_b32_e32 v2, s9, v2
	v_cmp_gt_i32_e64 s9, 0, v6
	v_and_b32_e32 v0, v0, v7
	v_lshlrev_b32_e32 v7, 25, v26
	v_ashrrev_i32_e32 v5, 31, v5
	v_xor_b32_e32 v4, s10, v4
	v_not_b32_e32 v6, v3
	v_and_b32_e32 v0, v0, v2
	v_lshlrev_b32_e32 v2, 24, v26
	v_not_b32_e32 v39, v7
	v_xor_b32_e32 v5, s9, v5
	v_cmp_gt_i32_e64 s9, 0, v3
	v_and_b32_e32 v0, v0, v4
	v_ashrrev_i32_e32 v3, 31, v6
	v_cmp_gt_i32_e64 s10, 0, v7
	v_ashrrev_i32_e32 v4, 31, v39
	v_add_lshl_u32 v1, v21, v1, 2
	v_and_b32_e32 v0, v0, v5
	v_not_b32_e32 v5, v2
	v_xor_b32_e32 v3, s9, v3
	v_xor_b32_e32 v4, s10, v4
	v_cmp_gt_i32_e64 s9, 0, v2
	s_delay_alu instid0(VALU_DEP_4) | instskip(NEXT) | instid1(VALU_DEP_4)
	v_ashrrev_i32_e32 v2, 31, v5
	v_and_b32_e32 v0, v0, v3
	; wave barrier
	ds_load_b32 v39, v1 offset:64
	v_add_nc_u32_e32 v41, 64, v1
	v_xor_b32_e32 v2, s9, v2
	v_and_b32_e32 v0, v0, v4
	; wave barrier
	s_delay_alu instid0(VALU_DEP_1) | instskip(NEXT) | instid1(VALU_DEP_1)
	v_and_b32_e32 v0, v0, v2
	v_mbcnt_lo_u32_b32 v40, v0, 0
	v_cmp_ne_u32_e64 s10, 0, v0
	s_delay_alu instid0(VALU_DEP_2) | instskip(NEXT) | instid1(VALU_DEP_1)
	v_cmp_eq_u32_e64 s9, 0, v40
	s_and_b32 s10, s10, s9
	s_delay_alu instid0(SALU_CYCLE_1)
	s_and_saveexec_b32 s9, s10
	s_cbranch_execz .LBB94_10
; %bb.9:                                ;   in Loop: Header=BB94_2 Depth=1
	s_waitcnt lgkmcnt(0)
	v_bcnt_u32_b32 v0, v0, v39
	ds_store_b32 v41, v0
.LBB94_10:                              ;   in Loop: Header=BB94_2 Depth=1
	s_or_b32 exec_lo, exec_lo, s9
	v_and_b32_e32 v0, 1, v27
	v_lshlrev_b32_e32 v2, 30, v27
	v_lshlrev_b32_e32 v4, 29, v27
	;; [unrolled: 1-line block ×4, first 2 shown]
	v_add_co_u32 v0, s9, v0, -1
	s_delay_alu instid0(VALU_DEP_1)
	v_cndmask_b32_e64 v3, 0, 1, s9
	v_not_b32_e32 v7, v2
	v_cmp_gt_i32_e64 s10, 0, v2
	v_not_b32_e32 v2, v4
	v_and_b32_e32 v1, 0xff, v27
	v_cmp_ne_u32_e64 s9, 0, v3
	v_ashrrev_i32_e32 v7, 31, v7
	v_lshlrev_b32_e32 v3, 26, v27
	v_ashrrev_i32_e32 v2, 31, v2
	v_lshlrev_b32_e32 v1, 4, v1
	v_xor_b32_e32 v0, s9, v0
	v_cmp_gt_i32_e64 s9, 0, v4
	v_not_b32_e32 v4, v5
	v_xor_b32_e32 v7, s10, v7
	v_cmp_gt_i32_e64 s10, 0, v5
	v_and_b32_e32 v0, exec_lo, v0
	v_not_b32_e32 v5, v6
	v_ashrrev_i32_e32 v4, 31, v4
	v_xor_b32_e32 v2, s9, v2
	v_cmp_gt_i32_e64 s9, 0, v6
	v_and_b32_e32 v0, v0, v7
	v_lshlrev_b32_e32 v7, 25, v27
	v_ashrrev_i32_e32 v5, 31, v5
	v_xor_b32_e32 v4, s10, v4
	v_not_b32_e32 v6, v3
	v_and_b32_e32 v0, v0, v2
	v_lshlrev_b32_e32 v2, 24, v27
	v_not_b32_e32 v42, v7
	v_xor_b32_e32 v5, s9, v5
	v_cmp_gt_i32_e64 s9, 0, v3
	v_and_b32_e32 v0, v0, v4
	v_ashrrev_i32_e32 v3, 31, v6
	v_cmp_gt_i32_e64 s10, 0, v7
	v_ashrrev_i32_e32 v4, 31, v42
	v_add_lshl_u32 v1, v21, v1, 2
	v_and_b32_e32 v0, v0, v5
	v_not_b32_e32 v5, v2
	v_xor_b32_e32 v3, s9, v3
	v_xor_b32_e32 v4, s10, v4
	v_cmp_gt_i32_e64 s9, 0, v2
	s_delay_alu instid0(VALU_DEP_4) | instskip(NEXT) | instid1(VALU_DEP_4)
	v_ashrrev_i32_e32 v2, 31, v5
	v_and_b32_e32 v0, v0, v3
	; wave barrier
	ds_load_b32 v42, v1 offset:64
	v_add_nc_u32_e32 v44, 64, v1
	v_xor_b32_e32 v2, s9, v2
	v_and_b32_e32 v0, v0, v4
	; wave barrier
	s_delay_alu instid0(VALU_DEP_1) | instskip(NEXT) | instid1(VALU_DEP_1)
	v_and_b32_e32 v0, v0, v2
	v_mbcnt_lo_u32_b32 v43, v0, 0
	v_cmp_ne_u32_e64 s10, 0, v0
	s_delay_alu instid0(VALU_DEP_2) | instskip(NEXT) | instid1(VALU_DEP_1)
	v_cmp_eq_u32_e64 s9, 0, v43
	s_and_b32 s10, s10, s9
	s_delay_alu instid0(SALU_CYCLE_1)
	s_and_saveexec_b32 s9, s10
	s_cbranch_execz .LBB94_12
; %bb.11:                               ;   in Loop: Header=BB94_2 Depth=1
	s_waitcnt lgkmcnt(0)
	v_bcnt_u32_b32 v0, v0, v42
	ds_store_b32 v44, v0
.LBB94_12:                              ;   in Loop: Header=BB94_2 Depth=1
	s_or_b32 exec_lo, exec_lo, s9
	v_and_b32_e32 v0, 1, v28
	v_lshlrev_b32_e32 v2, 30, v28
	v_lshlrev_b32_e32 v4, 29, v28
	;; [unrolled: 1-line block ×4, first 2 shown]
	v_add_co_u32 v0, s9, v0, -1
	s_delay_alu instid0(VALU_DEP_1)
	v_cndmask_b32_e64 v3, 0, 1, s9
	v_not_b32_e32 v7, v2
	v_cmp_gt_i32_e64 s10, 0, v2
	v_not_b32_e32 v2, v4
	v_and_b32_e32 v1, 0xff, v28
	v_cmp_ne_u32_e64 s9, 0, v3
	v_ashrrev_i32_e32 v7, 31, v7
	v_lshlrev_b32_e32 v3, 26, v28
	v_ashrrev_i32_e32 v2, 31, v2
	v_lshlrev_b32_e32 v1, 4, v1
	v_xor_b32_e32 v0, s9, v0
	v_cmp_gt_i32_e64 s9, 0, v4
	v_not_b32_e32 v4, v5
	v_xor_b32_e32 v7, s10, v7
	v_cmp_gt_i32_e64 s10, 0, v5
	v_and_b32_e32 v0, exec_lo, v0
	v_not_b32_e32 v5, v6
	v_ashrrev_i32_e32 v4, 31, v4
	v_xor_b32_e32 v2, s9, v2
	v_cmp_gt_i32_e64 s9, 0, v6
	v_and_b32_e32 v0, v0, v7
	v_lshlrev_b32_e32 v7, 25, v28
	v_ashrrev_i32_e32 v5, 31, v5
	v_xor_b32_e32 v4, s10, v4
	v_not_b32_e32 v6, v3
	v_and_b32_e32 v0, v0, v2
	v_lshlrev_b32_e32 v2, 24, v28
	v_not_b32_e32 v45, v7
	v_xor_b32_e32 v5, s9, v5
	v_cmp_gt_i32_e64 s9, 0, v3
	v_and_b32_e32 v0, v0, v4
	v_ashrrev_i32_e32 v3, 31, v6
	v_cmp_gt_i32_e64 s10, 0, v7
	v_ashrrev_i32_e32 v4, 31, v45
	v_add_lshl_u32 v1, v21, v1, 2
	v_and_b32_e32 v0, v0, v5
	v_not_b32_e32 v5, v2
	v_xor_b32_e32 v3, s9, v3
	v_xor_b32_e32 v4, s10, v4
	v_cmp_gt_i32_e64 s9, 0, v2
	s_delay_alu instid0(VALU_DEP_4) | instskip(NEXT) | instid1(VALU_DEP_4)
	v_ashrrev_i32_e32 v2, 31, v5
	v_and_b32_e32 v0, v0, v3
	; wave barrier
	ds_load_b32 v45, v1 offset:64
	v_add_nc_u32_e32 v47, 64, v1
	v_xor_b32_e32 v2, s9, v2
	v_and_b32_e32 v0, v0, v4
	; wave barrier
	s_delay_alu instid0(VALU_DEP_1) | instskip(NEXT) | instid1(VALU_DEP_1)
	v_and_b32_e32 v0, v0, v2
	v_mbcnt_lo_u32_b32 v46, v0, 0
	v_cmp_ne_u32_e64 s10, 0, v0
	s_delay_alu instid0(VALU_DEP_2) | instskip(NEXT) | instid1(VALU_DEP_1)
	v_cmp_eq_u32_e64 s9, 0, v46
	s_and_b32 s10, s10, s9
	s_delay_alu instid0(SALU_CYCLE_1)
	s_and_saveexec_b32 s9, s10
	s_cbranch_execz .LBB94_14
; %bb.13:                               ;   in Loop: Header=BB94_2 Depth=1
	s_waitcnt lgkmcnt(0)
	v_bcnt_u32_b32 v0, v0, v45
	ds_store_b32 v47, v0
.LBB94_14:                              ;   in Loop: Header=BB94_2 Depth=1
	s_or_b32 exec_lo, exec_lo, s9
	v_and_b32_e32 v0, 1, v29
	v_lshlrev_b32_e32 v2, 30, v29
	v_lshlrev_b32_e32 v4, 29, v29
	;; [unrolled: 1-line block ×4, first 2 shown]
	v_add_co_u32 v0, s9, v0, -1
	s_delay_alu instid0(VALU_DEP_1)
	v_cndmask_b32_e64 v3, 0, 1, s9
	v_not_b32_e32 v7, v2
	v_cmp_gt_i32_e64 s10, 0, v2
	v_not_b32_e32 v2, v4
	v_and_b32_e32 v1, 0xff, v29
	v_cmp_ne_u32_e64 s9, 0, v3
	v_ashrrev_i32_e32 v7, 31, v7
	v_lshlrev_b32_e32 v3, 26, v29
	v_ashrrev_i32_e32 v2, 31, v2
	v_lshlrev_b32_e32 v1, 4, v1
	v_xor_b32_e32 v0, s9, v0
	v_cmp_gt_i32_e64 s9, 0, v4
	v_not_b32_e32 v4, v5
	v_xor_b32_e32 v7, s10, v7
	v_cmp_gt_i32_e64 s10, 0, v5
	v_and_b32_e32 v0, exec_lo, v0
	v_not_b32_e32 v5, v6
	v_ashrrev_i32_e32 v4, 31, v4
	v_xor_b32_e32 v2, s9, v2
	v_cmp_gt_i32_e64 s9, 0, v6
	v_and_b32_e32 v0, v0, v7
	v_lshlrev_b32_e32 v7, 25, v29
	v_ashrrev_i32_e32 v5, 31, v5
	v_xor_b32_e32 v4, s10, v4
	v_not_b32_e32 v6, v3
	v_and_b32_e32 v0, v0, v2
	v_lshlrev_b32_e32 v2, 24, v29
	v_not_b32_e32 v48, v7
	v_xor_b32_e32 v5, s9, v5
	v_cmp_gt_i32_e64 s9, 0, v3
	v_and_b32_e32 v0, v0, v4
	v_ashrrev_i32_e32 v3, 31, v6
	v_cmp_gt_i32_e64 s10, 0, v7
	v_ashrrev_i32_e32 v4, 31, v48
	v_add_lshl_u32 v1, v21, v1, 2
	v_and_b32_e32 v0, v0, v5
	v_not_b32_e32 v5, v2
	v_xor_b32_e32 v3, s9, v3
	v_xor_b32_e32 v4, s10, v4
	v_cmp_gt_i32_e64 s9, 0, v2
	s_delay_alu instid0(VALU_DEP_4) | instskip(NEXT) | instid1(VALU_DEP_4)
	v_ashrrev_i32_e32 v2, 31, v5
	v_and_b32_e32 v0, v0, v3
	; wave barrier
	ds_load_b32 v48, v1 offset:64
	v_add_nc_u32_e32 v50, 64, v1
	v_xor_b32_e32 v2, s9, v2
	v_and_b32_e32 v0, v0, v4
	; wave barrier
	s_delay_alu instid0(VALU_DEP_1) | instskip(NEXT) | instid1(VALU_DEP_1)
	v_and_b32_e32 v0, v0, v2
	v_mbcnt_lo_u32_b32 v49, v0, 0
	v_cmp_ne_u32_e64 s10, 0, v0
	s_delay_alu instid0(VALU_DEP_2) | instskip(NEXT) | instid1(VALU_DEP_1)
	v_cmp_eq_u32_e64 s9, 0, v49
	s_and_b32 s10, s10, s9
	s_delay_alu instid0(SALU_CYCLE_1)
	s_and_saveexec_b32 s9, s10
	s_cbranch_execz .LBB94_16
; %bb.15:                               ;   in Loop: Header=BB94_2 Depth=1
	s_waitcnt lgkmcnt(0)
	v_bcnt_u32_b32 v0, v0, v48
	ds_store_b32 v50, v0
.LBB94_16:                              ;   in Loop: Header=BB94_2 Depth=1
	s_or_b32 exec_lo, exec_lo, s9
	v_and_b32_e32 v0, 1, v30
	v_lshlrev_b32_e32 v2, 30, v30
	v_lshlrev_b32_e32 v4, 29, v30
	;; [unrolled: 1-line block ×4, first 2 shown]
	v_add_co_u32 v0, s9, v0, -1
	s_delay_alu instid0(VALU_DEP_1)
	v_cndmask_b32_e64 v3, 0, 1, s9
	v_not_b32_e32 v7, v2
	v_cmp_gt_i32_e64 s10, 0, v2
	v_not_b32_e32 v2, v4
	v_and_b32_e32 v1, 0xff, v30
	v_cmp_ne_u32_e64 s9, 0, v3
	v_ashrrev_i32_e32 v7, 31, v7
	v_lshlrev_b32_e32 v3, 26, v30
	v_ashrrev_i32_e32 v2, 31, v2
	v_lshlrev_b32_e32 v1, 4, v1
	v_xor_b32_e32 v0, s9, v0
	v_cmp_gt_i32_e64 s9, 0, v4
	v_not_b32_e32 v4, v5
	v_xor_b32_e32 v7, s10, v7
	v_cmp_gt_i32_e64 s10, 0, v5
	v_and_b32_e32 v0, exec_lo, v0
	v_not_b32_e32 v5, v6
	v_ashrrev_i32_e32 v4, 31, v4
	v_xor_b32_e32 v2, s9, v2
	v_cmp_gt_i32_e64 s9, 0, v6
	v_and_b32_e32 v0, v0, v7
	v_lshlrev_b32_e32 v7, 25, v30
	v_ashrrev_i32_e32 v5, 31, v5
	v_xor_b32_e32 v4, s10, v4
	v_not_b32_e32 v6, v3
	v_and_b32_e32 v0, v0, v2
	v_lshlrev_b32_e32 v2, 24, v30
	v_not_b32_e32 v51, v7
	v_xor_b32_e32 v5, s9, v5
	v_cmp_gt_i32_e64 s9, 0, v3
	v_and_b32_e32 v0, v0, v4
	v_ashrrev_i32_e32 v3, 31, v6
	v_cmp_gt_i32_e64 s10, 0, v7
	v_ashrrev_i32_e32 v4, 31, v51
	v_add_lshl_u32 v1, v21, v1, 2
	v_and_b32_e32 v0, v0, v5
	v_not_b32_e32 v5, v2
	v_xor_b32_e32 v3, s9, v3
	v_xor_b32_e32 v4, s10, v4
	v_cmp_gt_i32_e64 s9, 0, v2
	s_delay_alu instid0(VALU_DEP_4) | instskip(NEXT) | instid1(VALU_DEP_4)
	v_ashrrev_i32_e32 v2, 31, v5
	v_and_b32_e32 v0, v0, v3
	; wave barrier
	ds_load_b32 v51, v1 offset:64
	v_add_nc_u32_e32 v53, 64, v1
	v_xor_b32_e32 v2, s9, v2
	v_and_b32_e32 v0, v0, v4
	; wave barrier
	s_delay_alu instid0(VALU_DEP_1) | instskip(NEXT) | instid1(VALU_DEP_1)
	v_and_b32_e32 v0, v0, v2
	v_mbcnt_lo_u32_b32 v52, v0, 0
	v_cmp_ne_u32_e64 s10, 0, v0
	s_delay_alu instid0(VALU_DEP_2) | instskip(NEXT) | instid1(VALU_DEP_1)
	v_cmp_eq_u32_e64 s9, 0, v52
	s_and_b32 s10, s10, s9
	s_delay_alu instid0(SALU_CYCLE_1)
	s_and_saveexec_b32 s9, s10
	s_cbranch_execz .LBB94_18
; %bb.17:                               ;   in Loop: Header=BB94_2 Depth=1
	s_waitcnt lgkmcnt(0)
	v_bcnt_u32_b32 v0, v0, v51
	ds_store_b32 v53, v0
.LBB94_18:                              ;   in Loop: Header=BB94_2 Depth=1
	s_or_b32 exec_lo, exec_lo, s9
	; wave barrier
	s_waitcnt lgkmcnt(0)
	s_barrier
	buffer_gl0_inv
	ds_load_2addr_b64 v[4:7], v13 offset0:8 offset1:9
	ds_load_2addr_b64 v[0:3], v15 offset0:2 offset1:3
	s_waitcnt lgkmcnt(1)
	v_add_nc_u32_e32 v54, v5, v4
	s_delay_alu instid0(VALU_DEP_1) | instskip(SKIP_1) | instid1(VALU_DEP_1)
	v_add3_u32 v54, v54, v6, v7
	s_waitcnt lgkmcnt(0)
	v_add3_u32 v54, v54, v0, v1
	s_delay_alu instid0(VALU_DEP_1) | instskip(NEXT) | instid1(VALU_DEP_1)
	v_add3_u32 v3, v54, v2, v3
	v_mov_b32_dpp v54, v3 row_shr:1 row_mask:0xf bank_mask:0xf
	s_delay_alu instid0(VALU_DEP_1) | instskip(NEXT) | instid1(VALU_DEP_1)
	v_cndmask_b32_e64 v54, v54, 0, s0
	v_add_nc_u32_e32 v3, v54, v3
	s_delay_alu instid0(VALU_DEP_1) | instskip(NEXT) | instid1(VALU_DEP_1)
	v_mov_b32_dpp v54, v3 row_shr:2 row_mask:0xf bank_mask:0xf
	v_cndmask_b32_e64 v54, 0, v54, s1
	s_delay_alu instid0(VALU_DEP_1) | instskip(NEXT) | instid1(VALU_DEP_1)
	v_add_nc_u32_e32 v3, v3, v54
	v_mov_b32_dpp v54, v3 row_shr:4 row_mask:0xf bank_mask:0xf
	s_delay_alu instid0(VALU_DEP_1) | instskip(NEXT) | instid1(VALU_DEP_1)
	v_cndmask_b32_e64 v54, 0, v54, s2
	v_add_nc_u32_e32 v3, v3, v54
	s_delay_alu instid0(VALU_DEP_1) | instskip(NEXT) | instid1(VALU_DEP_1)
	v_mov_b32_dpp v54, v3 row_shr:8 row_mask:0xf bank_mask:0xf
	v_cndmask_b32_e64 v54, 0, v54, s3
	s_delay_alu instid0(VALU_DEP_1) | instskip(SKIP_3) | instid1(VALU_DEP_1)
	v_add_nc_u32_e32 v3, v3, v54
	ds_swizzle_b32 v54, v3 offset:swizzle(BROADCAST,32,15)
	s_waitcnt lgkmcnt(0)
	v_cndmask_b32_e64 v54, v54, 0, s4
	v_add_nc_u32_e32 v3, v3, v54
	s_and_saveexec_b32 s9, s8
	s_cbranch_execz .LBB94_20
; %bb.19:                               ;   in Loop: Header=BB94_2 Depth=1
	ds_store_b32 v18, v3
.LBB94_20:                              ;   in Loop: Header=BB94_2 Depth=1
	s_or_b32 exec_lo, exec_lo, s9
	s_waitcnt lgkmcnt(0)
	s_barrier
	buffer_gl0_inv
	s_and_saveexec_b32 s9, s5
	s_cbranch_execz .LBB94_22
; %bb.21:                               ;   in Loop: Header=BB94_2 Depth=1
	ds_load_b32 v54, v22
	s_waitcnt lgkmcnt(0)
	v_mov_b32_dpp v55, v54 row_shr:1 row_mask:0xf bank_mask:0xf
	s_delay_alu instid0(VALU_DEP_1) | instskip(NEXT) | instid1(VALU_DEP_1)
	v_cndmask_b32_e64 v55, v55, 0, s0
	v_add_nc_u32_e32 v54, v55, v54
	s_delay_alu instid0(VALU_DEP_1) | instskip(NEXT) | instid1(VALU_DEP_1)
	v_mov_b32_dpp v55, v54 row_shr:2 row_mask:0xf bank_mask:0xf
	v_cndmask_b32_e64 v55, 0, v55, s1
	s_delay_alu instid0(VALU_DEP_1) | instskip(NEXT) | instid1(VALU_DEP_1)
	v_add_nc_u32_e32 v54, v54, v55
	v_mov_b32_dpp v55, v54 row_shr:4 row_mask:0xf bank_mask:0xf
	s_delay_alu instid0(VALU_DEP_1) | instskip(NEXT) | instid1(VALU_DEP_1)
	v_cndmask_b32_e64 v55, 0, v55, s2
	v_add_nc_u32_e32 v54, v54, v55
	s_delay_alu instid0(VALU_DEP_1) | instskip(NEXT) | instid1(VALU_DEP_1)
	v_mov_b32_dpp v55, v54 row_shr:8 row_mask:0xf bank_mask:0xf
	v_cndmask_b32_e64 v55, 0, v55, s3
	s_delay_alu instid0(VALU_DEP_1)
	v_add_nc_u32_e32 v54, v54, v55
	ds_store_b32 v22, v54
.LBB94_22:                              ;   in Loop: Header=BB94_2 Depth=1
	s_or_b32 exec_lo, exec_lo, s9
	v_mov_b32_e32 v54, 0
	s_waitcnt lgkmcnt(0)
	s_barrier
	buffer_gl0_inv
	s_and_saveexec_b32 s9, s6
	s_cbranch_execz .LBB94_1
; %bb.23:                               ;   in Loop: Header=BB94_2 Depth=1
	ds_load_b32 v54, v20
	s_branch .LBB94_1
.LBB94_24:
	s_add_u32 s0, s18, s11
	s_addc_u32 s1, s19, 0
	v_add_co_u32 v8, s0, s0, v8
	s_delay_alu instid0(VALU_DEP_1)
	v_add_co_ci_u32_e64 v9, null, s1, 0, s0
	s_clause 0x7
	global_store_b8 v[8:9], v0, off
	global_store_b8 v[8:9], v5, off offset:512
	global_store_b8 v[8:9], v6, off offset:1024
	;; [unrolled: 1-line block ×7, first 2 shown]
	s_nop 0
	s_sendmsg sendmsg(MSG_DEALLOC_VGPRS)
	s_endpgm
	.section	.rodata,"a",@progbits
	.p2align	6, 0x0
	.amdhsa_kernel _Z16sort_keys_kernelI22helper_blocked_blockedaLj512ELj8ELj10EEvPKT0_PS1_
		.amdhsa_group_segment_fixed_size 16448
		.amdhsa_private_segment_fixed_size 0
		.amdhsa_kernarg_size 272
		.amdhsa_user_sgpr_count 15
		.amdhsa_user_sgpr_dispatch_ptr 0
		.amdhsa_user_sgpr_queue_ptr 0
		.amdhsa_user_sgpr_kernarg_segment_ptr 1
		.amdhsa_user_sgpr_dispatch_id 0
		.amdhsa_user_sgpr_private_segment_size 0
		.amdhsa_wavefront_size32 1
		.amdhsa_uses_dynamic_stack 0
		.amdhsa_enable_private_segment 0
		.amdhsa_system_sgpr_workgroup_id_x 1
		.amdhsa_system_sgpr_workgroup_id_y 0
		.amdhsa_system_sgpr_workgroup_id_z 0
		.amdhsa_system_sgpr_workgroup_info 0
		.amdhsa_system_vgpr_workitem_id 2
		.amdhsa_next_free_vgpr 56
		.amdhsa_next_free_sgpr 20
		.amdhsa_reserve_vcc 1
		.amdhsa_float_round_mode_32 0
		.amdhsa_float_round_mode_16_64 0
		.amdhsa_float_denorm_mode_32 3
		.amdhsa_float_denorm_mode_16_64 3
		.amdhsa_dx10_clamp 1
		.amdhsa_ieee_mode 1
		.amdhsa_fp16_overflow 0
		.amdhsa_workgroup_processor_mode 1
		.amdhsa_memory_ordered 1
		.amdhsa_forward_progress 0
		.amdhsa_shared_vgpr_count 0
		.amdhsa_exception_fp_ieee_invalid_op 0
		.amdhsa_exception_fp_denorm_src 0
		.amdhsa_exception_fp_ieee_div_zero 0
		.amdhsa_exception_fp_ieee_overflow 0
		.amdhsa_exception_fp_ieee_underflow 0
		.amdhsa_exception_fp_ieee_inexact 0
		.amdhsa_exception_int_div_zero 0
	.end_amdhsa_kernel
	.section	.text._Z16sort_keys_kernelI22helper_blocked_blockedaLj512ELj8ELj10EEvPKT0_PS1_,"axG",@progbits,_Z16sort_keys_kernelI22helper_blocked_blockedaLj512ELj8ELj10EEvPKT0_PS1_,comdat
.Lfunc_end94:
	.size	_Z16sort_keys_kernelI22helper_blocked_blockedaLj512ELj8ELj10EEvPKT0_PS1_, .Lfunc_end94-_Z16sort_keys_kernelI22helper_blocked_blockedaLj512ELj8ELj10EEvPKT0_PS1_
                                        ; -- End function
	.section	.AMDGPU.csdata,"",@progbits
; Kernel info:
; codeLenInByte = 4708
; NumSgprs: 22
; NumVgprs: 56
; ScratchSize: 0
; MemoryBound: 0
; FloatMode: 240
; IeeeMode: 1
; LDSByteSize: 16448 bytes/workgroup (compile time only)
; SGPRBlocks: 2
; VGPRBlocks: 6
; NumSGPRsForWavesPerEU: 22
; NumVGPRsForWavesPerEU: 56
; Occupancy: 16
; WaveLimiterHint : 1
; COMPUTE_PGM_RSRC2:SCRATCH_EN: 0
; COMPUTE_PGM_RSRC2:USER_SGPR: 15
; COMPUTE_PGM_RSRC2:TRAP_HANDLER: 0
; COMPUTE_PGM_RSRC2:TGID_X_EN: 1
; COMPUTE_PGM_RSRC2:TGID_Y_EN: 0
; COMPUTE_PGM_RSRC2:TGID_Z_EN: 0
; COMPUTE_PGM_RSRC2:TIDIG_COMP_CNT: 2
	.section	.text._Z17sort_pairs_kernelI22helper_blocked_blockedaLj512ELj8ELj10EEvPKT0_PS1_,"axG",@progbits,_Z17sort_pairs_kernelI22helper_blocked_blockedaLj512ELj8ELj10EEvPKT0_PS1_,comdat
	.protected	_Z17sort_pairs_kernelI22helper_blocked_blockedaLj512ELj8ELj10EEvPKT0_PS1_ ; -- Begin function _Z17sort_pairs_kernelI22helper_blocked_blockedaLj512ELj8ELj10EEvPKT0_PS1_
	.globl	_Z17sort_pairs_kernelI22helper_blocked_blockedaLj512ELj8ELj10EEvPKT0_PS1_
	.p2align	8
	.type	_Z17sort_pairs_kernelI22helper_blocked_blockedaLj512ELj8ELj10EEvPKT0_PS1_,@function
_Z17sort_pairs_kernelI22helper_blocked_blockedaLj512ELj8ELj10EEvPKT0_PS1_: ; @_Z17sort_pairs_kernelI22helper_blocked_blockedaLj512ELj8ELj10EEvPKT0_PS1_
; %bb.0:
	s_clause 0x1
	s_load_b128 s[16:19], s[0:1], 0x0
	s_load_b32 s9, s[0:1], 0x1c
	s_lshl_b32 s11, s15, 12
	v_and_b32_e32 v8, 0x3ff, v0
	v_mbcnt_lo_u32_b32 v1, -1, 0
	v_bfe_u32 v20, v0, 10, 10
	v_bfe_u32 v0, v0, 20, 10
	s_mov_b32 s12, 10
	s_delay_alu instid0(VALU_DEP_3) | instskip(SKIP_3) | instid1(VALU_DEP_4)
	v_add_nc_u32_e32 v16, -1, v1
	v_and_b32_e32 v14, 15, v1
	v_cmp_eq_u32_e32 vcc_lo, 0, v1
	v_and_b32_e32 v15, 16, v1
	v_cmp_gt_i32_e64 s7, 0, v16
	s_delay_alu instid0(VALU_DEP_2) | instskip(NEXT) | instid1(VALU_DEP_2)
	v_cmp_eq_u32_e64 s4, 0, v15
	v_cndmask_b32_e64 v16, v16, v1, s7
	s_waitcnt lgkmcnt(0)
	s_add_u32 s0, s16, s11
	s_addc_u32 s1, s17, 0
	s_clause 0x7
	global_load_u8 v2, v8, s[0:1]
	global_load_u8 v3, v8, s[0:1] offset:1024
	global_load_u8 v4, v8, s[0:1] offset:2048
	;; [unrolled: 1-line block ×7, first 2 shown]
	s_mov_b32 s0, 0
	s_lshr_b32 s8, s9, 16
	s_mov_b32 s1, s0
	s_mov_b32 s2, s0
	;; [unrolled: 1-line block ×3, first 2 shown]
	v_dual_mov_b32 v10, s1 :: v_dual_mov_b32 v9, s0
	v_and_b32_e32 v18, 0x1e0, v8
	v_lshlrev_b32_e32 v17, 3, v8
	v_lshrrev_b32_e32 v19, 3, v8
	v_dual_mov_b32 v12, s3 :: v_dual_mov_b32 v11, s2
	s_delay_alu instid0(VALU_DEP_4)
	v_or_b32_e32 v24, v1, v18
	v_cmp_eq_u32_e64 s0, 0, v14
	v_cmp_lt_u32_e64 s1, 1, v14
	v_cmp_lt_u32_e64 s2, 3, v14
	;; [unrolled: 1-line block ×3, first 2 shown]
	v_and_or_b32 v14, 0xf00, v17, v1
	v_or_b32_e32 v1, 31, v18
	v_and_b32_e32 v18, 60, v19
	v_lshlrev_b32_e32 v19, 3, v24
	v_mad_u32_u24 v24, v0, s8, v20
	s_and_b32 s9, s9, 0xffff
	v_cmp_eq_u32_e64 s8, v1, v8
	v_lshlrev_b32_e32 v13, 5, v8
	v_lshlrev_b32_e32 v23, 2, v8
	v_mad_u64_u32 v[0:1], null, v24, s9, v[8:9]
	v_cmp_gt_u32_e64 s5, 16, v8
	s_delay_alu instid0(VALU_DEP_4) | instskip(NEXT) | instid1(VALU_DEP_4)
	v_mad_i32_i24 v17, 0xffffffe8, v8, v13
	v_sub_nc_u32_e32 v23, 0, v23
	v_cmp_lt_u32_e64 s6, 31, v8
	v_cmp_eq_u32_e64 s7, 0, v8
	v_add_nc_u32_e32 v15, 64, v13
	v_lshlrev_b32_e32 v16, 2, v16
	v_add_nc_u32_e32 v20, -4, v18
	s_waitcnt vmcnt(7)
	v_add_nc_u16 v1, v2, 1
	s_waitcnt vmcnt(6)
	v_add_nc_u16 v24, v3, 1
	;; [unrolled: 2-line block ×3, first 2 shown]
	s_waitcnt vmcnt(4)
	v_lshlrev_b16 v5, 8, v5
	s_waitcnt vmcnt(3)
	v_lshlrev_b16 v6, 8, v6
	;; [unrolled: 2-line block ×4, first 2 shown]
	s_waitcnt vmcnt(0)
	v_add_nc_u16 v26, v22, 1
	v_and_b32_e32 v1, 0xff, v1
	v_and_b32_e32 v24, 0xff, v24
	;; [unrolled: 1-line block ×3, first 2 shown]
	v_or_b32_e32 v2, v2, v5
	v_and_b32_e32 v26, 0xff, v26
	v_or_b32_e32 v3, v3, v6
	v_or_b32_e32 v4, v4, v7
	;; [unrolled: 1-line block ×7, first 2 shown]
	v_add_nc_u16 v1, v1, 0x100
	v_add_nc_u16 v5, v5, 0x100
	;; [unrolled: 1-line block ×4, first 2 shown]
	v_and_b32_e32 v2, 0xffff, v2
	v_lshlrev_b32_e32 v3, 16, v3
	v_and_b32_e32 v4, 0xffff, v4
	v_lshlrev_b32_e32 v22, 16, v22
	;; [unrolled: 2-line block ×4, first 2 shown]
	v_lshrrev_b32_e32 v21, 5, v0
	v_or_b32_e32 v25, v2, v3
	v_or_b32_e32 v26, v4, v22
	;; [unrolled: 1-line block ×4, first 2 shown]
	v_add_nc_u32_e32 v22, v17, v23
	s_branch .LBB95_2
.LBB95_1:                               ;   in Loop: Header=BB95_2 Depth=1
	s_or_b32 exec_lo, exec_lo, s9
	s_waitcnt lgkmcnt(0)
	v_add_nc_u32_e32 v3, v62, v3
	s_add_i32 s12, s12, -1
	s_delay_alu instid0(SALU_CYCLE_1) | instskip(SKIP_3) | instid1(VALU_DEP_1)
	s_cmp_eq_u32 s12, 0
	ds_bpermute_b32 v3, v16, v3
	s_waitcnt lgkmcnt(0)
	v_cndmask_b32_e32 v3, v3, v62, vcc_lo
	v_cndmask_b32_e64 v3, v3, 0, s7
	s_delay_alu instid0(VALU_DEP_1) | instskip(NEXT) | instid1(VALU_DEP_1)
	v_add_nc_u32_e32 v4, v3, v4
	v_add_nc_u32_e32 v5, v4, v5
	s_delay_alu instid0(VALU_DEP_1) | instskip(NEXT) | instid1(VALU_DEP_1)
	v_add_nc_u32_e32 v6, v5, v6
	v_add_nc_u32_e32 v62, v6, v7
	;; [unrolled: 3-line block ×3, first 2 shown]
	s_delay_alu instid0(VALU_DEP_1)
	v_add_nc_u32_e32 v1, v0, v2
	ds_store_2addr_b64 v13, v[3:4], v[5:6] offset0:8 offset1:9
	ds_store_2addr_b64 v15, v[62:63], v[0:1] offset0:2 offset1:3
	s_waitcnt lgkmcnt(0)
	s_barrier
	buffer_gl0_inv
	ds_load_b32 v0, v40
	ds_load_b32 v1, v43
	;; [unrolled: 1-line block ×8, first 2 shown]
	s_waitcnt lgkmcnt(0)
	s_barrier
	buffer_gl0_inv
	v_add_nc_u32_e32 v39, v0, v39
	v_add3_u32 v40, v42, v41, v1
	v_add3_u32 v2, v45, v44, v2
	;; [unrolled: 1-line block ×7, first 2 shown]
	ds_store_b8 v39, v23
	ds_store_b8 v40, v24
	;; [unrolled: 1-line block ×8, first 2 shown]
	s_waitcnt lgkmcnt(0)
	s_barrier
	buffer_gl0_inv
	ds_load_b64 v[0:1], v17
	s_waitcnt lgkmcnt(0)
	s_barrier
	buffer_gl0_inv
	ds_store_b8 v39, v31
	ds_store_b8 v40, v32
	;; [unrolled: 1-line block ×8, first 2 shown]
	s_waitcnt lgkmcnt(0)
	s_barrier
	buffer_gl0_inv
	v_lshrrev_b32_e32 v3, 8, v0
	v_lshrrev_b32_e32 v4, 16, v0
	;; [unrolled: 1-line block ×6, first 2 shown]
	v_xor_b32_e32 v6, 0xffffff80, v0
	v_xor_b32_e32 v2, 0xffffff80, v1
	v_xor_b32_e32 v7, 0xffffff80, v3
	v_xor_b32_e32 v23, 0xffffff80, v4
	v_xor_b32_e32 v24, 0xffffff80, v5
	v_xor_b32_e32 v3, 0xffffff80, v25
	v_xor_b32_e32 v4, 0xffffff80, v26
	v_xor_b32_e32 v5, 0xffffff80, v27
	v_and_b32_e32 v25, 0xff, v6
	v_and_b32_e32 v26, 0xff, v2
	v_lshlrev_b16 v27, 8, v7
	v_lshlrev_b16 v28, 8, v24
	v_and_b32_e32 v29, 0xff, v23
	v_lshlrev_b16 v30, 8, v3
	v_lshlrev_b16 v31, 8, v5
	v_and_b32_e32 v32, 0xff, v4
	ds_load_b64 v[0:1], v17
	v_or_b32_e32 v25, v25, v27
	v_or_b32_e32 v27, v29, v28
	;; [unrolled: 1-line block ×4, first 2 shown]
	s_delay_alu instid0(VALU_DEP_4) | instskip(NEXT) | instid1(VALU_DEP_4)
	v_and_b32_e32 v25, 0xffff, v25
	v_lshlrev_b32_e32 v27, 16, v27
	s_delay_alu instid0(VALU_DEP_4) | instskip(NEXT) | instid1(VALU_DEP_4)
	v_and_b32_e32 v26, 0xffff, v26
	v_lshlrev_b32_e32 v28, 16, v28
	s_delay_alu instid0(VALU_DEP_3) | instskip(NEXT) | instid1(VALU_DEP_2)
	v_or_b32_e32 v25, v25, v27
	v_or_b32_e32 v26, v26, v28
	s_cbranch_scc1 .LBB95_24
.LBB95_2:                               ; =>This Inner Loop Header: Depth=1
	s_delay_alu instid0(VALU_DEP_1) | instskip(NEXT) | instid1(VALU_DEP_3)
	v_lshrrev_b32_e32 v2, 16, v26
	v_lshrrev_b32_e32 v3, 16, v25
	v_xor_b32_e32 v4, 0x80, v26
	v_xor_b32_e32 v23, 0x80, v25
	v_and_b32_e32 v5, 0xffffff00, v26
	v_xor_b32_e32 v7, 0x80, v2
	v_xor_b32_e32 v24, 0x80, v3
	v_and_b32_e32 v6, 0xffffff00, v25
	v_and_b32_e32 v4, 0xff, v4
	;; [unrolled: 1-line block ×7, first 2 shown]
	v_or_b32_e32 v4, v4, v5
	v_or_b32_e32 v2, v7, v2
	;; [unrolled: 1-line block ×3, first 2 shown]
	s_delay_alu instid0(VALU_DEP_4) | instskip(NEXT) | instid1(VALU_DEP_4)
	v_or_b32_e32 v3, v24, v3
	v_add_nc_u16 v4, v4, 0x8000
	s_delay_alu instid0(VALU_DEP_4) | instskip(NEXT) | instid1(VALU_DEP_4)
	v_add_nc_u16 v2, v2, 0x8000
	v_add_nc_u16 v5, v5, 0x8000
	s_delay_alu instid0(VALU_DEP_4) | instskip(NEXT) | instid1(VALU_DEP_4)
	v_add_nc_u16 v3, v3, 0x8000
	v_and_b32_e32 v4, 0xffff, v4
	s_delay_alu instid0(VALU_DEP_4) | instskip(NEXT) | instid1(VALU_DEP_4)
	v_lshlrev_b32_e32 v2, 16, v2
	v_and_b32_e32 v5, 0xffff, v5
	s_delay_alu instid0(VALU_DEP_4) | instskip(NEXT) | instid1(VALU_DEP_3)
	v_lshlrev_b32_e32 v6, 16, v3
	v_or_b32_e32 v3, v4, v2
	s_delay_alu instid0(VALU_DEP_2)
	v_or_b32_e32 v2, v5, v6
	ds_store_b64 v19, v[2:3]
	; wave barrier
	ds_load_u8 v23, v14
	ds_load_u8 v24, v14 offset:32
	ds_load_u8 v25, v14 offset:64
	;; [unrolled: 1-line block ×7, first 2 shown]
	; wave barrier
	s_waitcnt lgkmcnt(9)
	ds_store_b64 v19, v[0:1]
	; wave barrier
	s_waitcnt lgkmcnt(8)
	v_and_b32_e32 v2, 1, v23
	v_lshlrev_b32_e32 v3, 30, v23
	v_lshlrev_b32_e32 v4, 29, v23
	;; [unrolled: 1-line block ×4, first 2 shown]
	v_add_co_u32 v2, s9, v2, -1
	s_delay_alu instid0(VALU_DEP_1)
	v_cndmask_b32_e64 v6, 0, 1, s9
	v_not_b32_e32 v33, v3
	v_cmp_gt_i32_e64 s10, 0, v3
	v_not_b32_e32 v3, v4
	v_lshlrev_b32_e32 v31, 26, v23
	v_cmp_ne_u32_e64 s9, 0, v6
	v_ashrrev_i32_e32 v33, 31, v33
	v_lshlrev_b32_e32 v32, 25, v23
	v_ashrrev_i32_e32 v3, 31, v3
	v_lshlrev_b32_e32 v6, 24, v23
	v_xor_b32_e32 v2, s9, v2
	v_cmp_gt_i32_e64 s9, 0, v4
	v_not_b32_e32 v4, v5
	v_xor_b32_e32 v33, s10, v33
	v_cmp_gt_i32_e64 s10, 0, v5
	v_and_b32_e32 v2, exec_lo, v2
	v_not_b32_e32 v5, v7
	v_ashrrev_i32_e32 v4, 31, v4
	v_xor_b32_e32 v3, s9, v3
	v_cmp_gt_i32_e64 s9, 0, v7
	v_and_b32_e32 v2, v2, v33
	v_not_b32_e32 v7, v31
	v_ashrrev_i32_e32 v5, 31, v5
	v_xor_b32_e32 v4, s10, v4
	v_cmp_gt_i32_e64 s10, 0, v31
	v_and_b32_e32 v2, v2, v3
	;; [unrolled: 5-line block ×4, first 2 shown]
	v_ashrrev_i32_e32 v4, 31, v4
	v_xor_b32_e32 v3, s9, v3
	ds_load_u8 v31, v14
	ds_load_u8 v32, v14 offset:32
	ds_load_u8 v33, v14 offset:64
	;; [unrolled: 1-line block ×7, first 2 shown]
	s_waitcnt lgkmcnt(0)
	v_and_b32_e32 v2, v2, v7
	v_xor_b32_e32 v0, s10, v4
	s_barrier
	buffer_gl0_inv
	ds_store_2addr_b64 v13, v[9:10], v[11:12] offset0:8 offset1:9
	ds_store_2addr_b64 v15, v[9:10], v[11:12] offset0:2 offset1:3
	v_and_b32_e32 v1, v2, v3
	s_waitcnt lgkmcnt(0)
	s_barrier
	buffer_gl0_inv
	v_and_b32_e32 v0, v1, v0
	v_and_b32_e32 v1, 0xff, v23
	; wave barrier
	s_delay_alu instid0(VALU_DEP_2) | instskip(NEXT) | instid1(VALU_DEP_2)
	v_mbcnt_lo_u32_b32 v39, v0, 0
	v_lshl_add_u32 v1, v1, 4, v21
	v_cmp_ne_u32_e64 s10, 0, v0
	s_delay_alu instid0(VALU_DEP_3) | instskip(NEXT) | instid1(VALU_DEP_3)
	v_cmp_eq_u32_e64 s9, 0, v39
	v_lshl_add_u32 v40, v1, 2, 64
	s_delay_alu instid0(VALU_DEP_2) | instskip(NEXT) | instid1(SALU_CYCLE_1)
	s_and_b32 s10, s10, s9
	s_and_saveexec_b32 s9, s10
	s_cbranch_execz .LBB95_4
; %bb.3:                                ;   in Loop: Header=BB95_2 Depth=1
	v_bcnt_u32_b32 v0, v0, 0
	ds_store_b32 v40, v0
.LBB95_4:                               ;   in Loop: Header=BB95_2 Depth=1
	s_or_b32 exec_lo, exec_lo, s9
	v_and_b32_e32 v0, 1, v24
	v_lshlrev_b32_e32 v2, 30, v24
	v_lshlrev_b32_e32 v4, 29, v24
	;; [unrolled: 1-line block ×4, first 2 shown]
	v_add_co_u32 v0, s9, v0, -1
	s_delay_alu instid0(VALU_DEP_1)
	v_cndmask_b32_e64 v3, 0, 1, s9
	v_not_b32_e32 v7, v2
	v_cmp_gt_i32_e64 s10, 0, v2
	v_not_b32_e32 v2, v4
	v_and_b32_e32 v1, 0xff, v24
	v_cmp_ne_u32_e64 s9, 0, v3
	v_ashrrev_i32_e32 v7, 31, v7
	v_lshlrev_b32_e32 v3, 26, v24
	v_ashrrev_i32_e32 v2, 31, v2
	v_lshlrev_b32_e32 v1, 4, v1
	v_xor_b32_e32 v0, s9, v0
	v_cmp_gt_i32_e64 s9, 0, v4
	v_not_b32_e32 v4, v5
	v_xor_b32_e32 v7, s10, v7
	v_cmp_gt_i32_e64 s10, 0, v5
	v_and_b32_e32 v0, exec_lo, v0
	v_not_b32_e32 v5, v6
	v_ashrrev_i32_e32 v4, 31, v4
	v_xor_b32_e32 v2, s9, v2
	v_cmp_gt_i32_e64 s9, 0, v6
	v_and_b32_e32 v0, v0, v7
	v_lshlrev_b32_e32 v7, 25, v24
	v_ashrrev_i32_e32 v5, 31, v5
	v_xor_b32_e32 v4, s10, v4
	v_not_b32_e32 v6, v3
	v_and_b32_e32 v0, v0, v2
	v_lshlrev_b32_e32 v2, 24, v24
	v_not_b32_e32 v41, v7
	v_xor_b32_e32 v5, s9, v5
	v_cmp_gt_i32_e64 s9, 0, v3
	v_and_b32_e32 v0, v0, v4
	v_ashrrev_i32_e32 v3, 31, v6
	v_cmp_gt_i32_e64 s10, 0, v7
	v_ashrrev_i32_e32 v4, 31, v41
	v_add_lshl_u32 v1, v21, v1, 2
	v_and_b32_e32 v0, v0, v5
	v_not_b32_e32 v5, v2
	v_xor_b32_e32 v3, s9, v3
	v_xor_b32_e32 v4, s10, v4
	v_cmp_gt_i32_e64 s9, 0, v2
	s_delay_alu instid0(VALU_DEP_4) | instskip(NEXT) | instid1(VALU_DEP_4)
	v_ashrrev_i32_e32 v2, 31, v5
	v_and_b32_e32 v0, v0, v3
	; wave barrier
	ds_load_b32 v41, v1 offset:64
	v_add_nc_u32_e32 v43, 64, v1
	v_xor_b32_e32 v2, s9, v2
	v_and_b32_e32 v0, v0, v4
	; wave barrier
	s_delay_alu instid0(VALU_DEP_1) | instskip(NEXT) | instid1(VALU_DEP_1)
	v_and_b32_e32 v0, v0, v2
	v_mbcnt_lo_u32_b32 v42, v0, 0
	v_cmp_ne_u32_e64 s10, 0, v0
	s_delay_alu instid0(VALU_DEP_2) | instskip(NEXT) | instid1(VALU_DEP_1)
	v_cmp_eq_u32_e64 s9, 0, v42
	s_and_b32 s10, s10, s9
	s_delay_alu instid0(SALU_CYCLE_1)
	s_and_saveexec_b32 s9, s10
	s_cbranch_execz .LBB95_6
; %bb.5:                                ;   in Loop: Header=BB95_2 Depth=1
	s_waitcnt lgkmcnt(0)
	v_bcnt_u32_b32 v0, v0, v41
	ds_store_b32 v43, v0
.LBB95_6:                               ;   in Loop: Header=BB95_2 Depth=1
	s_or_b32 exec_lo, exec_lo, s9
	v_and_b32_e32 v0, 1, v25
	v_lshlrev_b32_e32 v2, 30, v25
	v_lshlrev_b32_e32 v4, 29, v25
	;; [unrolled: 1-line block ×4, first 2 shown]
	v_add_co_u32 v0, s9, v0, -1
	s_delay_alu instid0(VALU_DEP_1)
	v_cndmask_b32_e64 v3, 0, 1, s9
	v_not_b32_e32 v7, v2
	v_cmp_gt_i32_e64 s10, 0, v2
	v_not_b32_e32 v2, v4
	v_and_b32_e32 v1, 0xff, v25
	v_cmp_ne_u32_e64 s9, 0, v3
	v_ashrrev_i32_e32 v7, 31, v7
	v_lshlrev_b32_e32 v3, 26, v25
	v_ashrrev_i32_e32 v2, 31, v2
	v_lshlrev_b32_e32 v1, 4, v1
	v_xor_b32_e32 v0, s9, v0
	v_cmp_gt_i32_e64 s9, 0, v4
	v_not_b32_e32 v4, v5
	v_xor_b32_e32 v7, s10, v7
	v_cmp_gt_i32_e64 s10, 0, v5
	v_and_b32_e32 v0, exec_lo, v0
	v_not_b32_e32 v5, v6
	v_ashrrev_i32_e32 v4, 31, v4
	v_xor_b32_e32 v2, s9, v2
	v_cmp_gt_i32_e64 s9, 0, v6
	v_and_b32_e32 v0, v0, v7
	v_lshlrev_b32_e32 v7, 25, v25
	v_ashrrev_i32_e32 v5, 31, v5
	v_xor_b32_e32 v4, s10, v4
	v_not_b32_e32 v6, v3
	v_and_b32_e32 v0, v0, v2
	v_lshlrev_b32_e32 v2, 24, v25
	v_not_b32_e32 v44, v7
	v_xor_b32_e32 v5, s9, v5
	v_cmp_gt_i32_e64 s9, 0, v3
	v_and_b32_e32 v0, v0, v4
	v_ashrrev_i32_e32 v3, 31, v6
	v_cmp_gt_i32_e64 s10, 0, v7
	v_ashrrev_i32_e32 v4, 31, v44
	v_add_lshl_u32 v1, v21, v1, 2
	v_and_b32_e32 v0, v0, v5
	v_not_b32_e32 v5, v2
	v_xor_b32_e32 v3, s9, v3
	v_xor_b32_e32 v4, s10, v4
	v_cmp_gt_i32_e64 s9, 0, v2
	s_delay_alu instid0(VALU_DEP_4) | instskip(NEXT) | instid1(VALU_DEP_4)
	v_ashrrev_i32_e32 v2, 31, v5
	v_and_b32_e32 v0, v0, v3
	; wave barrier
	ds_load_b32 v44, v1 offset:64
	v_add_nc_u32_e32 v46, 64, v1
	v_xor_b32_e32 v2, s9, v2
	v_and_b32_e32 v0, v0, v4
	; wave barrier
	s_delay_alu instid0(VALU_DEP_1) | instskip(NEXT) | instid1(VALU_DEP_1)
	v_and_b32_e32 v0, v0, v2
	v_mbcnt_lo_u32_b32 v45, v0, 0
	v_cmp_ne_u32_e64 s10, 0, v0
	s_delay_alu instid0(VALU_DEP_2) | instskip(NEXT) | instid1(VALU_DEP_1)
	v_cmp_eq_u32_e64 s9, 0, v45
	s_and_b32 s10, s10, s9
	s_delay_alu instid0(SALU_CYCLE_1)
	s_and_saveexec_b32 s9, s10
	s_cbranch_execz .LBB95_8
; %bb.7:                                ;   in Loop: Header=BB95_2 Depth=1
	s_waitcnt lgkmcnt(0)
	v_bcnt_u32_b32 v0, v0, v44
	ds_store_b32 v46, v0
.LBB95_8:                               ;   in Loop: Header=BB95_2 Depth=1
	s_or_b32 exec_lo, exec_lo, s9
	v_and_b32_e32 v0, 1, v26
	v_lshlrev_b32_e32 v2, 30, v26
	v_lshlrev_b32_e32 v4, 29, v26
	;; [unrolled: 1-line block ×4, first 2 shown]
	v_add_co_u32 v0, s9, v0, -1
	s_delay_alu instid0(VALU_DEP_1)
	v_cndmask_b32_e64 v3, 0, 1, s9
	v_not_b32_e32 v7, v2
	v_cmp_gt_i32_e64 s10, 0, v2
	v_not_b32_e32 v2, v4
	v_and_b32_e32 v1, 0xff, v26
	v_cmp_ne_u32_e64 s9, 0, v3
	v_ashrrev_i32_e32 v7, 31, v7
	v_lshlrev_b32_e32 v3, 26, v26
	v_ashrrev_i32_e32 v2, 31, v2
	v_lshlrev_b32_e32 v1, 4, v1
	v_xor_b32_e32 v0, s9, v0
	v_cmp_gt_i32_e64 s9, 0, v4
	v_not_b32_e32 v4, v5
	v_xor_b32_e32 v7, s10, v7
	v_cmp_gt_i32_e64 s10, 0, v5
	v_and_b32_e32 v0, exec_lo, v0
	v_not_b32_e32 v5, v6
	v_ashrrev_i32_e32 v4, 31, v4
	v_xor_b32_e32 v2, s9, v2
	v_cmp_gt_i32_e64 s9, 0, v6
	v_and_b32_e32 v0, v0, v7
	v_lshlrev_b32_e32 v7, 25, v26
	v_ashrrev_i32_e32 v5, 31, v5
	v_xor_b32_e32 v4, s10, v4
	v_not_b32_e32 v6, v3
	v_and_b32_e32 v0, v0, v2
	v_lshlrev_b32_e32 v2, 24, v26
	v_not_b32_e32 v47, v7
	v_xor_b32_e32 v5, s9, v5
	v_cmp_gt_i32_e64 s9, 0, v3
	v_and_b32_e32 v0, v0, v4
	v_ashrrev_i32_e32 v3, 31, v6
	v_cmp_gt_i32_e64 s10, 0, v7
	v_ashrrev_i32_e32 v4, 31, v47
	v_add_lshl_u32 v1, v21, v1, 2
	v_and_b32_e32 v0, v0, v5
	v_not_b32_e32 v5, v2
	v_xor_b32_e32 v3, s9, v3
	v_xor_b32_e32 v4, s10, v4
	v_cmp_gt_i32_e64 s9, 0, v2
	s_delay_alu instid0(VALU_DEP_4) | instskip(NEXT) | instid1(VALU_DEP_4)
	v_ashrrev_i32_e32 v2, 31, v5
	v_and_b32_e32 v0, v0, v3
	; wave barrier
	ds_load_b32 v47, v1 offset:64
	v_add_nc_u32_e32 v49, 64, v1
	v_xor_b32_e32 v2, s9, v2
	v_and_b32_e32 v0, v0, v4
	; wave barrier
	s_delay_alu instid0(VALU_DEP_1) | instskip(NEXT) | instid1(VALU_DEP_1)
	v_and_b32_e32 v0, v0, v2
	v_mbcnt_lo_u32_b32 v48, v0, 0
	v_cmp_ne_u32_e64 s10, 0, v0
	s_delay_alu instid0(VALU_DEP_2) | instskip(NEXT) | instid1(VALU_DEP_1)
	v_cmp_eq_u32_e64 s9, 0, v48
	s_and_b32 s10, s10, s9
	s_delay_alu instid0(SALU_CYCLE_1)
	s_and_saveexec_b32 s9, s10
	s_cbranch_execz .LBB95_10
; %bb.9:                                ;   in Loop: Header=BB95_2 Depth=1
	s_waitcnt lgkmcnt(0)
	v_bcnt_u32_b32 v0, v0, v47
	ds_store_b32 v49, v0
.LBB95_10:                              ;   in Loop: Header=BB95_2 Depth=1
	s_or_b32 exec_lo, exec_lo, s9
	v_and_b32_e32 v0, 1, v27
	v_lshlrev_b32_e32 v2, 30, v27
	v_lshlrev_b32_e32 v4, 29, v27
	;; [unrolled: 1-line block ×4, first 2 shown]
	v_add_co_u32 v0, s9, v0, -1
	s_delay_alu instid0(VALU_DEP_1)
	v_cndmask_b32_e64 v3, 0, 1, s9
	v_not_b32_e32 v7, v2
	v_cmp_gt_i32_e64 s10, 0, v2
	v_not_b32_e32 v2, v4
	v_and_b32_e32 v1, 0xff, v27
	v_cmp_ne_u32_e64 s9, 0, v3
	v_ashrrev_i32_e32 v7, 31, v7
	v_lshlrev_b32_e32 v3, 26, v27
	v_ashrrev_i32_e32 v2, 31, v2
	v_lshlrev_b32_e32 v1, 4, v1
	v_xor_b32_e32 v0, s9, v0
	v_cmp_gt_i32_e64 s9, 0, v4
	v_not_b32_e32 v4, v5
	v_xor_b32_e32 v7, s10, v7
	v_cmp_gt_i32_e64 s10, 0, v5
	v_and_b32_e32 v0, exec_lo, v0
	v_not_b32_e32 v5, v6
	v_ashrrev_i32_e32 v4, 31, v4
	v_xor_b32_e32 v2, s9, v2
	v_cmp_gt_i32_e64 s9, 0, v6
	v_and_b32_e32 v0, v0, v7
	v_lshlrev_b32_e32 v7, 25, v27
	v_ashrrev_i32_e32 v5, 31, v5
	v_xor_b32_e32 v4, s10, v4
	v_not_b32_e32 v6, v3
	v_and_b32_e32 v0, v0, v2
	v_lshlrev_b32_e32 v2, 24, v27
	v_not_b32_e32 v50, v7
	v_xor_b32_e32 v5, s9, v5
	v_cmp_gt_i32_e64 s9, 0, v3
	v_and_b32_e32 v0, v0, v4
	v_ashrrev_i32_e32 v3, 31, v6
	v_cmp_gt_i32_e64 s10, 0, v7
	v_ashrrev_i32_e32 v4, 31, v50
	v_add_lshl_u32 v1, v21, v1, 2
	v_and_b32_e32 v0, v0, v5
	v_not_b32_e32 v5, v2
	v_xor_b32_e32 v3, s9, v3
	v_xor_b32_e32 v4, s10, v4
	v_cmp_gt_i32_e64 s9, 0, v2
	s_delay_alu instid0(VALU_DEP_4) | instskip(NEXT) | instid1(VALU_DEP_4)
	v_ashrrev_i32_e32 v2, 31, v5
	v_and_b32_e32 v0, v0, v3
	; wave barrier
	ds_load_b32 v50, v1 offset:64
	v_add_nc_u32_e32 v52, 64, v1
	v_xor_b32_e32 v2, s9, v2
	v_and_b32_e32 v0, v0, v4
	; wave barrier
	s_delay_alu instid0(VALU_DEP_1) | instskip(NEXT) | instid1(VALU_DEP_1)
	v_and_b32_e32 v0, v0, v2
	v_mbcnt_lo_u32_b32 v51, v0, 0
	v_cmp_ne_u32_e64 s10, 0, v0
	s_delay_alu instid0(VALU_DEP_2) | instskip(NEXT) | instid1(VALU_DEP_1)
	v_cmp_eq_u32_e64 s9, 0, v51
	s_and_b32 s10, s10, s9
	s_delay_alu instid0(SALU_CYCLE_1)
	s_and_saveexec_b32 s9, s10
	s_cbranch_execz .LBB95_12
; %bb.11:                               ;   in Loop: Header=BB95_2 Depth=1
	s_waitcnt lgkmcnt(0)
	v_bcnt_u32_b32 v0, v0, v50
	ds_store_b32 v52, v0
.LBB95_12:                              ;   in Loop: Header=BB95_2 Depth=1
	s_or_b32 exec_lo, exec_lo, s9
	v_and_b32_e32 v0, 1, v28
	v_lshlrev_b32_e32 v2, 30, v28
	v_lshlrev_b32_e32 v4, 29, v28
	;; [unrolled: 1-line block ×4, first 2 shown]
	v_add_co_u32 v0, s9, v0, -1
	s_delay_alu instid0(VALU_DEP_1)
	v_cndmask_b32_e64 v3, 0, 1, s9
	v_not_b32_e32 v7, v2
	v_cmp_gt_i32_e64 s10, 0, v2
	v_not_b32_e32 v2, v4
	v_and_b32_e32 v1, 0xff, v28
	v_cmp_ne_u32_e64 s9, 0, v3
	v_ashrrev_i32_e32 v7, 31, v7
	v_lshlrev_b32_e32 v3, 26, v28
	v_ashrrev_i32_e32 v2, 31, v2
	v_lshlrev_b32_e32 v1, 4, v1
	v_xor_b32_e32 v0, s9, v0
	v_cmp_gt_i32_e64 s9, 0, v4
	v_not_b32_e32 v4, v5
	v_xor_b32_e32 v7, s10, v7
	v_cmp_gt_i32_e64 s10, 0, v5
	v_and_b32_e32 v0, exec_lo, v0
	v_not_b32_e32 v5, v6
	v_ashrrev_i32_e32 v4, 31, v4
	v_xor_b32_e32 v2, s9, v2
	v_cmp_gt_i32_e64 s9, 0, v6
	v_and_b32_e32 v0, v0, v7
	v_lshlrev_b32_e32 v7, 25, v28
	v_ashrrev_i32_e32 v5, 31, v5
	v_xor_b32_e32 v4, s10, v4
	v_not_b32_e32 v6, v3
	v_and_b32_e32 v0, v0, v2
	v_lshlrev_b32_e32 v2, 24, v28
	v_not_b32_e32 v53, v7
	v_xor_b32_e32 v5, s9, v5
	v_cmp_gt_i32_e64 s9, 0, v3
	v_and_b32_e32 v0, v0, v4
	v_ashrrev_i32_e32 v3, 31, v6
	v_cmp_gt_i32_e64 s10, 0, v7
	v_ashrrev_i32_e32 v4, 31, v53
	v_add_lshl_u32 v1, v21, v1, 2
	v_and_b32_e32 v0, v0, v5
	v_not_b32_e32 v5, v2
	v_xor_b32_e32 v3, s9, v3
	v_xor_b32_e32 v4, s10, v4
	v_cmp_gt_i32_e64 s9, 0, v2
	s_delay_alu instid0(VALU_DEP_4) | instskip(NEXT) | instid1(VALU_DEP_4)
	v_ashrrev_i32_e32 v2, 31, v5
	v_and_b32_e32 v0, v0, v3
	; wave barrier
	ds_load_b32 v53, v1 offset:64
	v_add_nc_u32_e32 v55, 64, v1
	v_xor_b32_e32 v2, s9, v2
	v_and_b32_e32 v0, v0, v4
	; wave barrier
	s_delay_alu instid0(VALU_DEP_1) | instskip(NEXT) | instid1(VALU_DEP_1)
	v_and_b32_e32 v0, v0, v2
	v_mbcnt_lo_u32_b32 v54, v0, 0
	v_cmp_ne_u32_e64 s10, 0, v0
	s_delay_alu instid0(VALU_DEP_2) | instskip(NEXT) | instid1(VALU_DEP_1)
	v_cmp_eq_u32_e64 s9, 0, v54
	s_and_b32 s10, s10, s9
	s_delay_alu instid0(SALU_CYCLE_1)
	s_and_saveexec_b32 s9, s10
	s_cbranch_execz .LBB95_14
; %bb.13:                               ;   in Loop: Header=BB95_2 Depth=1
	s_waitcnt lgkmcnt(0)
	v_bcnt_u32_b32 v0, v0, v53
	ds_store_b32 v55, v0
.LBB95_14:                              ;   in Loop: Header=BB95_2 Depth=1
	s_or_b32 exec_lo, exec_lo, s9
	v_and_b32_e32 v0, 1, v29
	v_lshlrev_b32_e32 v2, 30, v29
	v_lshlrev_b32_e32 v4, 29, v29
	;; [unrolled: 1-line block ×4, first 2 shown]
	v_add_co_u32 v0, s9, v0, -1
	s_delay_alu instid0(VALU_DEP_1)
	v_cndmask_b32_e64 v3, 0, 1, s9
	v_not_b32_e32 v7, v2
	v_cmp_gt_i32_e64 s10, 0, v2
	v_not_b32_e32 v2, v4
	v_and_b32_e32 v1, 0xff, v29
	v_cmp_ne_u32_e64 s9, 0, v3
	v_ashrrev_i32_e32 v7, 31, v7
	v_lshlrev_b32_e32 v3, 26, v29
	v_ashrrev_i32_e32 v2, 31, v2
	v_lshlrev_b32_e32 v1, 4, v1
	v_xor_b32_e32 v0, s9, v0
	v_cmp_gt_i32_e64 s9, 0, v4
	v_not_b32_e32 v4, v5
	v_xor_b32_e32 v7, s10, v7
	v_cmp_gt_i32_e64 s10, 0, v5
	v_and_b32_e32 v0, exec_lo, v0
	v_not_b32_e32 v5, v6
	v_ashrrev_i32_e32 v4, 31, v4
	v_xor_b32_e32 v2, s9, v2
	v_cmp_gt_i32_e64 s9, 0, v6
	v_and_b32_e32 v0, v0, v7
	v_lshlrev_b32_e32 v7, 25, v29
	v_ashrrev_i32_e32 v5, 31, v5
	v_xor_b32_e32 v4, s10, v4
	v_not_b32_e32 v6, v3
	v_and_b32_e32 v0, v0, v2
	v_lshlrev_b32_e32 v2, 24, v29
	v_not_b32_e32 v56, v7
	v_xor_b32_e32 v5, s9, v5
	v_cmp_gt_i32_e64 s9, 0, v3
	v_and_b32_e32 v0, v0, v4
	v_ashrrev_i32_e32 v3, 31, v6
	v_cmp_gt_i32_e64 s10, 0, v7
	v_ashrrev_i32_e32 v4, 31, v56
	v_add_lshl_u32 v1, v21, v1, 2
	v_and_b32_e32 v0, v0, v5
	v_not_b32_e32 v5, v2
	v_xor_b32_e32 v3, s9, v3
	v_xor_b32_e32 v4, s10, v4
	v_cmp_gt_i32_e64 s9, 0, v2
	s_delay_alu instid0(VALU_DEP_4) | instskip(NEXT) | instid1(VALU_DEP_4)
	v_ashrrev_i32_e32 v2, 31, v5
	v_and_b32_e32 v0, v0, v3
	; wave barrier
	ds_load_b32 v56, v1 offset:64
	v_add_nc_u32_e32 v58, 64, v1
	v_xor_b32_e32 v2, s9, v2
	v_and_b32_e32 v0, v0, v4
	; wave barrier
	s_delay_alu instid0(VALU_DEP_1) | instskip(NEXT) | instid1(VALU_DEP_1)
	v_and_b32_e32 v0, v0, v2
	v_mbcnt_lo_u32_b32 v57, v0, 0
	v_cmp_ne_u32_e64 s10, 0, v0
	s_delay_alu instid0(VALU_DEP_2) | instskip(NEXT) | instid1(VALU_DEP_1)
	v_cmp_eq_u32_e64 s9, 0, v57
	s_and_b32 s10, s10, s9
	s_delay_alu instid0(SALU_CYCLE_1)
	s_and_saveexec_b32 s9, s10
	s_cbranch_execz .LBB95_16
; %bb.15:                               ;   in Loop: Header=BB95_2 Depth=1
	s_waitcnt lgkmcnt(0)
	v_bcnt_u32_b32 v0, v0, v56
	ds_store_b32 v58, v0
.LBB95_16:                              ;   in Loop: Header=BB95_2 Depth=1
	s_or_b32 exec_lo, exec_lo, s9
	v_and_b32_e32 v0, 1, v30
	v_lshlrev_b32_e32 v2, 30, v30
	v_lshlrev_b32_e32 v4, 29, v30
	;; [unrolled: 1-line block ×4, first 2 shown]
	v_add_co_u32 v0, s9, v0, -1
	s_delay_alu instid0(VALU_DEP_1)
	v_cndmask_b32_e64 v3, 0, 1, s9
	v_not_b32_e32 v7, v2
	v_cmp_gt_i32_e64 s10, 0, v2
	v_not_b32_e32 v2, v4
	v_and_b32_e32 v1, 0xff, v30
	v_cmp_ne_u32_e64 s9, 0, v3
	v_ashrrev_i32_e32 v7, 31, v7
	v_lshlrev_b32_e32 v3, 26, v30
	v_ashrrev_i32_e32 v2, 31, v2
	v_lshlrev_b32_e32 v1, 4, v1
	v_xor_b32_e32 v0, s9, v0
	v_cmp_gt_i32_e64 s9, 0, v4
	v_not_b32_e32 v4, v5
	v_xor_b32_e32 v7, s10, v7
	v_cmp_gt_i32_e64 s10, 0, v5
	v_and_b32_e32 v0, exec_lo, v0
	v_not_b32_e32 v5, v6
	v_ashrrev_i32_e32 v4, 31, v4
	v_xor_b32_e32 v2, s9, v2
	v_cmp_gt_i32_e64 s9, 0, v6
	v_and_b32_e32 v0, v0, v7
	v_lshlrev_b32_e32 v7, 25, v30
	v_ashrrev_i32_e32 v5, 31, v5
	v_xor_b32_e32 v4, s10, v4
	v_not_b32_e32 v6, v3
	v_and_b32_e32 v0, v0, v2
	v_lshlrev_b32_e32 v2, 24, v30
	v_not_b32_e32 v59, v7
	v_xor_b32_e32 v5, s9, v5
	v_cmp_gt_i32_e64 s9, 0, v3
	v_and_b32_e32 v0, v0, v4
	v_ashrrev_i32_e32 v3, 31, v6
	v_cmp_gt_i32_e64 s10, 0, v7
	v_ashrrev_i32_e32 v4, 31, v59
	v_add_lshl_u32 v1, v21, v1, 2
	v_and_b32_e32 v0, v0, v5
	v_not_b32_e32 v5, v2
	v_xor_b32_e32 v3, s9, v3
	v_xor_b32_e32 v4, s10, v4
	v_cmp_gt_i32_e64 s9, 0, v2
	s_delay_alu instid0(VALU_DEP_4) | instskip(NEXT) | instid1(VALU_DEP_4)
	v_ashrrev_i32_e32 v2, 31, v5
	v_and_b32_e32 v0, v0, v3
	; wave barrier
	ds_load_b32 v59, v1 offset:64
	v_add_nc_u32_e32 v61, 64, v1
	v_xor_b32_e32 v2, s9, v2
	v_and_b32_e32 v0, v0, v4
	; wave barrier
	s_delay_alu instid0(VALU_DEP_1) | instskip(NEXT) | instid1(VALU_DEP_1)
	v_and_b32_e32 v0, v0, v2
	v_mbcnt_lo_u32_b32 v60, v0, 0
	v_cmp_ne_u32_e64 s10, 0, v0
	s_delay_alu instid0(VALU_DEP_2) | instskip(NEXT) | instid1(VALU_DEP_1)
	v_cmp_eq_u32_e64 s9, 0, v60
	s_and_b32 s10, s10, s9
	s_delay_alu instid0(SALU_CYCLE_1)
	s_and_saveexec_b32 s9, s10
	s_cbranch_execz .LBB95_18
; %bb.17:                               ;   in Loop: Header=BB95_2 Depth=1
	s_waitcnt lgkmcnt(0)
	v_bcnt_u32_b32 v0, v0, v59
	ds_store_b32 v61, v0
.LBB95_18:                              ;   in Loop: Header=BB95_2 Depth=1
	s_or_b32 exec_lo, exec_lo, s9
	; wave barrier
	s_waitcnt lgkmcnt(0)
	s_barrier
	buffer_gl0_inv
	ds_load_2addr_b64 v[4:7], v13 offset0:8 offset1:9
	ds_load_2addr_b64 v[0:3], v15 offset0:2 offset1:3
	s_waitcnt lgkmcnt(1)
	v_add_nc_u32_e32 v62, v5, v4
	s_delay_alu instid0(VALU_DEP_1) | instskip(SKIP_1) | instid1(VALU_DEP_1)
	v_add3_u32 v62, v62, v6, v7
	s_waitcnt lgkmcnt(0)
	v_add3_u32 v62, v62, v0, v1
	s_delay_alu instid0(VALU_DEP_1) | instskip(NEXT) | instid1(VALU_DEP_1)
	v_add3_u32 v3, v62, v2, v3
	v_mov_b32_dpp v62, v3 row_shr:1 row_mask:0xf bank_mask:0xf
	s_delay_alu instid0(VALU_DEP_1) | instskip(NEXT) | instid1(VALU_DEP_1)
	v_cndmask_b32_e64 v62, v62, 0, s0
	v_add_nc_u32_e32 v3, v62, v3
	s_delay_alu instid0(VALU_DEP_1) | instskip(NEXT) | instid1(VALU_DEP_1)
	v_mov_b32_dpp v62, v3 row_shr:2 row_mask:0xf bank_mask:0xf
	v_cndmask_b32_e64 v62, 0, v62, s1
	s_delay_alu instid0(VALU_DEP_1) | instskip(NEXT) | instid1(VALU_DEP_1)
	v_add_nc_u32_e32 v3, v3, v62
	v_mov_b32_dpp v62, v3 row_shr:4 row_mask:0xf bank_mask:0xf
	s_delay_alu instid0(VALU_DEP_1) | instskip(NEXT) | instid1(VALU_DEP_1)
	v_cndmask_b32_e64 v62, 0, v62, s2
	v_add_nc_u32_e32 v3, v3, v62
	s_delay_alu instid0(VALU_DEP_1) | instskip(NEXT) | instid1(VALU_DEP_1)
	v_mov_b32_dpp v62, v3 row_shr:8 row_mask:0xf bank_mask:0xf
	v_cndmask_b32_e64 v62, 0, v62, s3
	s_delay_alu instid0(VALU_DEP_1) | instskip(SKIP_3) | instid1(VALU_DEP_1)
	v_add_nc_u32_e32 v3, v3, v62
	ds_swizzle_b32 v62, v3 offset:swizzle(BROADCAST,32,15)
	s_waitcnt lgkmcnt(0)
	v_cndmask_b32_e64 v62, v62, 0, s4
	v_add_nc_u32_e32 v3, v3, v62
	s_and_saveexec_b32 s9, s8
	s_cbranch_execz .LBB95_20
; %bb.19:                               ;   in Loop: Header=BB95_2 Depth=1
	ds_store_b32 v18, v3
.LBB95_20:                              ;   in Loop: Header=BB95_2 Depth=1
	s_or_b32 exec_lo, exec_lo, s9
	s_waitcnt lgkmcnt(0)
	s_barrier
	buffer_gl0_inv
	s_and_saveexec_b32 s9, s5
	s_cbranch_execz .LBB95_22
; %bb.21:                               ;   in Loop: Header=BB95_2 Depth=1
	ds_load_b32 v62, v22
	s_waitcnt lgkmcnt(0)
	v_mov_b32_dpp v63, v62 row_shr:1 row_mask:0xf bank_mask:0xf
	s_delay_alu instid0(VALU_DEP_1) | instskip(NEXT) | instid1(VALU_DEP_1)
	v_cndmask_b32_e64 v63, v63, 0, s0
	v_add_nc_u32_e32 v62, v63, v62
	s_delay_alu instid0(VALU_DEP_1) | instskip(NEXT) | instid1(VALU_DEP_1)
	v_mov_b32_dpp v63, v62 row_shr:2 row_mask:0xf bank_mask:0xf
	v_cndmask_b32_e64 v63, 0, v63, s1
	s_delay_alu instid0(VALU_DEP_1) | instskip(NEXT) | instid1(VALU_DEP_1)
	v_add_nc_u32_e32 v62, v62, v63
	v_mov_b32_dpp v63, v62 row_shr:4 row_mask:0xf bank_mask:0xf
	s_delay_alu instid0(VALU_DEP_1) | instskip(NEXT) | instid1(VALU_DEP_1)
	v_cndmask_b32_e64 v63, 0, v63, s2
	v_add_nc_u32_e32 v62, v62, v63
	s_delay_alu instid0(VALU_DEP_1) | instskip(NEXT) | instid1(VALU_DEP_1)
	v_mov_b32_dpp v63, v62 row_shr:8 row_mask:0xf bank_mask:0xf
	v_cndmask_b32_e64 v63, 0, v63, s3
	s_delay_alu instid0(VALU_DEP_1)
	v_add_nc_u32_e32 v62, v62, v63
	ds_store_b32 v22, v62
.LBB95_22:                              ;   in Loop: Header=BB95_2 Depth=1
	s_or_b32 exec_lo, exec_lo, s9
	v_mov_b32_e32 v62, 0
	s_waitcnt lgkmcnt(0)
	s_barrier
	buffer_gl0_inv
	s_and_saveexec_b32 s9, s6
	s_cbranch_execz .LBB95_1
; %bb.23:                               ;   in Loop: Header=BB95_2 Depth=1
	ds_load_b32 v62, v20
	s_branch .LBB95_1
.LBB95_24:
	s_waitcnt lgkmcnt(0)
	v_lshrrev_b32_e32 v9, 8, v0
	s_add_u32 s0, s18, s11
	v_lshrrev_b32_e32 v10, 16, v0
	v_lshrrev_b32_e32 v11, 24, v0
	v_add_nc_u16 v0, v6, v0
	s_addc_u32 s1, s19, 0
	v_add_co_u32 v6, s0, s0, v8
	v_lshrrev_b32_e32 v12, 8, v1
	v_lshrrev_b32_e32 v13, 16, v1
	;; [unrolled: 1-line block ×3, first 2 shown]
	v_add_nc_u16 v9, v7, v9
	v_add_co_ci_u32_e64 v7, null, s1, 0, s0
	v_add_nc_u16 v10, v23, v10
	v_add_nc_u16 v11, v24, v11
	;; [unrolled: 1-line block ×6, first 2 shown]
	s_clause 0x7
	global_store_b8 v[6:7], v0, off
	global_store_b8 v[6:7], v9, off offset:512
	global_store_b8 v[6:7], v10, off offset:1024
	;; [unrolled: 1-line block ×7, first 2 shown]
	s_nop 0
	s_sendmsg sendmsg(MSG_DEALLOC_VGPRS)
	s_endpgm
	.section	.rodata,"a",@progbits
	.p2align	6, 0x0
	.amdhsa_kernel _Z17sort_pairs_kernelI22helper_blocked_blockedaLj512ELj8ELj10EEvPKT0_PS1_
		.amdhsa_group_segment_fixed_size 16448
		.amdhsa_private_segment_fixed_size 0
		.amdhsa_kernarg_size 272
		.amdhsa_user_sgpr_count 15
		.amdhsa_user_sgpr_dispatch_ptr 0
		.amdhsa_user_sgpr_queue_ptr 0
		.amdhsa_user_sgpr_kernarg_segment_ptr 1
		.amdhsa_user_sgpr_dispatch_id 0
		.amdhsa_user_sgpr_private_segment_size 0
		.amdhsa_wavefront_size32 1
		.amdhsa_uses_dynamic_stack 0
		.amdhsa_enable_private_segment 0
		.amdhsa_system_sgpr_workgroup_id_x 1
		.amdhsa_system_sgpr_workgroup_id_y 0
		.amdhsa_system_sgpr_workgroup_id_z 0
		.amdhsa_system_sgpr_workgroup_info 0
		.amdhsa_system_vgpr_workitem_id 2
		.amdhsa_next_free_vgpr 64
		.amdhsa_next_free_sgpr 20
		.amdhsa_reserve_vcc 1
		.amdhsa_float_round_mode_32 0
		.amdhsa_float_round_mode_16_64 0
		.amdhsa_float_denorm_mode_32 3
		.amdhsa_float_denorm_mode_16_64 3
		.amdhsa_dx10_clamp 1
		.amdhsa_ieee_mode 1
		.amdhsa_fp16_overflow 0
		.amdhsa_workgroup_processor_mode 1
		.amdhsa_memory_ordered 1
		.amdhsa_forward_progress 0
		.amdhsa_shared_vgpr_count 0
		.amdhsa_exception_fp_ieee_invalid_op 0
		.amdhsa_exception_fp_denorm_src 0
		.amdhsa_exception_fp_ieee_div_zero 0
		.amdhsa_exception_fp_ieee_overflow 0
		.amdhsa_exception_fp_ieee_underflow 0
		.amdhsa_exception_fp_ieee_inexact 0
		.amdhsa_exception_int_div_zero 0
	.end_amdhsa_kernel
	.section	.text._Z17sort_pairs_kernelI22helper_blocked_blockedaLj512ELj8ELj10EEvPKT0_PS1_,"axG",@progbits,_Z17sort_pairs_kernelI22helper_blocked_blockedaLj512ELj8ELj10EEvPKT0_PS1_,comdat
.Lfunc_end95:
	.size	_Z17sort_pairs_kernelI22helper_blocked_blockedaLj512ELj8ELj10EEvPKT0_PS1_, .Lfunc_end95-_Z17sort_pairs_kernelI22helper_blocked_blockedaLj512ELj8ELj10EEvPKT0_PS1_
                                        ; -- End function
	.section	.AMDGPU.csdata,"",@progbits
; Kernel info:
; codeLenInByte = 5132
; NumSgprs: 22
; NumVgprs: 64
; ScratchSize: 0
; MemoryBound: 0
; FloatMode: 240
; IeeeMode: 1
; LDSByteSize: 16448 bytes/workgroup (compile time only)
; SGPRBlocks: 2
; VGPRBlocks: 7
; NumSGPRsForWavesPerEU: 22
; NumVGPRsForWavesPerEU: 64
; Occupancy: 16
; WaveLimiterHint : 1
; COMPUTE_PGM_RSRC2:SCRATCH_EN: 0
; COMPUTE_PGM_RSRC2:USER_SGPR: 15
; COMPUTE_PGM_RSRC2:TRAP_HANDLER: 0
; COMPUTE_PGM_RSRC2:TGID_X_EN: 1
; COMPUTE_PGM_RSRC2:TGID_Y_EN: 0
; COMPUTE_PGM_RSRC2:TGID_Z_EN: 0
; COMPUTE_PGM_RSRC2:TIDIG_COMP_CNT: 2
	.section	.text._Z16sort_keys_kernelI22helper_blocked_blockedxLj64ELj1ELj10EEvPKT0_PS1_,"axG",@progbits,_Z16sort_keys_kernelI22helper_blocked_blockedxLj64ELj1ELj10EEvPKT0_PS1_,comdat
	.protected	_Z16sort_keys_kernelI22helper_blocked_blockedxLj64ELj1ELj10EEvPKT0_PS1_ ; -- Begin function _Z16sort_keys_kernelI22helper_blocked_blockedxLj64ELj1ELj10EEvPKT0_PS1_
	.globl	_Z16sort_keys_kernelI22helper_blocked_blockedxLj64ELj1ELj10EEvPKT0_PS1_
	.p2align	8
	.type	_Z16sort_keys_kernelI22helper_blocked_blockedxLj64ELj1ELj10EEvPKT0_PS1_,@function
_Z16sort_keys_kernelI22helper_blocked_blockedxLj64ELj1ELj10EEvPKT0_PS1_: ; @_Z16sort_keys_kernelI22helper_blocked_blockedxLj64ELj1ELj10EEvPKT0_PS1_
; %bb.0:
	s_clause 0x1
	s_load_b128 s[16:19], s[0:1], 0x0
	s_load_b32 s10, s[0:1], 0x1c
	v_and_b32_e32 v8, 0x3ff, v0
	s_mov_b32 s21, 0
	s_lshl_b32 s20, s15, 6
	v_mbcnt_lo_u32_b32 v5, -1, 0
	s_lshl_b64 s[12:13], s[20:21], 3
	v_lshlrev_b32_e32 v1, 3, v8
	v_bfe_u32 v3, v0, 10, 10
	v_bfe_u32 v0, v0, 20, 10
	s_mov_b32 s20, s21
	v_and_b32_e32 v6, 16, v5
	v_add_nc_u32_e32 v7, -1, v5
	v_dual_mov_b32 v11, s20 :: v_dual_and_b32 v4, 15, v5
	v_dual_mov_b32 v12, s21 :: v_dual_and_b32 v13, 1, v5
	s_delay_alu instid0(VALU_DEP_4) | instskip(NEXT) | instid1(VALU_DEP_4)
	v_cmp_eq_u32_e64 s5, 0, v6
	v_cmp_gt_i32_e32 vcc_lo, 0, v7
	s_delay_alu instid0(VALU_DEP_4)
	v_cmp_lt_u32_e64 s2, 1, v4
	s_waitcnt lgkmcnt(0)
	s_add_u32 s0, s16, s12
	s_addc_u32 s1, s17, s13
	s_lshr_b32 s11, s10, 16
	global_load_b64 v[1:2], v1, s[0:1]
	s_mov_b32 s1, s21
	s_mov_b32 s0, s21
	s_delay_alu instid0(SALU_CYCLE_1)
	v_dual_mov_b32 v10, s1 :: v_dual_mov_b32 v9, s0
	v_mad_u32_u24 v0, v0, s11, v3
	v_lshlrev_b32_e32 v15, 5, v8
	v_dual_cndmask_b32 v7, v7, v5 :: v_dual_and_b32 v6, 32, v8
	v_lshrrev_b32_e32 v14, 3, v8
	s_and_b32 s10, s10, 0xffff
	v_cmp_eq_u32_e64 s1, 0, v4
	v_cmp_lt_u32_e64 s3, 3, v4
	v_cmp_lt_u32_e64 s4, 7, v4
	v_mad_u64_u32 v[3:4], null, v0, s10, v[8:9]
	v_cmp_eq_u32_e64 s9, 0, v13
	v_lshlrev_b32_e32 v13, 2, v8
	v_or_b32_e32 v20, 31, v6
	v_and_b32_e32 v17, 4, v14
	v_or_b32_e32 v0, v5, v6
	v_mad_i32_i24 v19, 0xffffffe4, v8, v15
	v_cmp_eq_u32_e64 s0, 0, v5
	v_cmp_gt_u32_e64 s6, 2, v8
	v_cmp_lt_u32_e64 s7, 31, v8
	v_cmp_eq_u32_e64 s8, 0, v8
	v_or_b32_e32 v16, 8, v15
	v_lshlrev_b32_e32 v18, 2, v7
	v_cmp_eq_u32_e64 s10, v20, v8
	v_add_nc_u32_e32 v20, -4, v17
	v_lshlrev_b32_e32 v21, 3, v0
	v_lshrrev_b32_e32 v22, 5, v3
	v_add_nc_u32_e32 v23, v19, v13
	s_waitcnt vmcnt(0)
	v_xor_b32_e32 v2, 0x80000000, v2
	s_branch .LBB96_2
.LBB96_1:                               ;   in Loop: Header=BB96_2 Depth=1
	s_delay_alu instid0(VALU_DEP_1)
	v_lshlrev_b32_e32 v0, 3, v0
	s_barrier
	buffer_gl0_inv
	s_add_i32 s21, s21, 1
	ds_store_b64 v0, v[13:14]
	s_waitcnt lgkmcnt(0)
	s_barrier
	buffer_gl0_inv
	ds_load_b64 v[1:2], v23
	s_cmp_eq_u32 s21, 10
	s_cbranch_scc1 .LBB96_14
.LBB96_2:                               ; =>This Loop Header: Depth=1
                                        ;     Child Loop BB96_4 Depth 2
	s_mov_b64 s[14:15], 0
	s_branch .LBB96_4
.LBB96_3:                               ;   in Loop: Header=BB96_4 Depth=2
	s_delay_alu instid0(VALU_DEP_1)
	v_lshlrev_b32_e32 v1, 3, v0
	s_barrier
	buffer_gl0_inv
	s_add_u32 s14, s14, 8
	ds_store_b64 v1, v[13:14]
	s_waitcnt lgkmcnt(0)
	s_barrier
	buffer_gl0_inv
	ds_load_b64 v[1:2], v21
	s_addc_u32 s15, s15, 0
	s_waitcnt lgkmcnt(0)
	s_barrier
	buffer_gl0_inv
	s_cbranch_execz .LBB96_1
.LBB96_4:                               ;   Parent Loop BB96_2 Depth=1
                                        ; =>  This Inner Loop Header: Depth=2
	s_waitcnt lgkmcnt(0)
	v_dual_mov_b32 v14, v2 :: v_dual_mov_b32 v13, v1
	ds_store_2addr_b64 v15, v[11:12], v[9:10] offset0:1 offset1:2
	ds_store_2addr_b64 v16, v[11:12], v[9:10] offset0:2 offset1:3
	s_waitcnt lgkmcnt(0)
	s_barrier
	buffer_gl0_inv
	v_lshrrev_b64 v[1:2], s14, v[13:14]
	; wave barrier
	s_delay_alu instid0(VALU_DEP_1)
	v_and_b32_e32 v0, 1, v1
	v_lshlrev_b32_e32 v2, 30, v1
	v_lshlrev_b32_e32 v3, 29, v1
	;; [unrolled: 1-line block ×4, first 2 shown]
	v_add_co_u32 v0, s11, v0, -1
	s_delay_alu instid0(VALU_DEP_1)
	v_cndmask_b32_e64 v5, 0, 1, s11
	v_not_b32_e32 v25, v2
	v_cmp_gt_i32_e64 s11, 0, v2
	v_not_b32_e32 v2, v3
	v_lshlrev_b32_e32 v7, 26, v1
	v_cmp_ne_u32_e32 vcc_lo, 0, v5
	v_ashrrev_i32_e32 v25, 31, v25
	v_lshlrev_b32_e32 v24, 25, v1
	v_ashrrev_i32_e32 v2, 31, v2
	v_lshlrev_b32_e32 v5, 24, v1
	v_xor_b32_e32 v0, vcc_lo, v0
	v_cmp_gt_i32_e32 vcc_lo, 0, v3
	v_not_b32_e32 v3, v4
	v_xor_b32_e32 v25, s11, v25
	v_cmp_gt_i32_e64 s11, 0, v4
	v_and_b32_e32 v0, exec_lo, v0
	v_not_b32_e32 v4, v6
	v_ashrrev_i32_e32 v3, 31, v3
	v_xor_b32_e32 v2, vcc_lo, v2
	v_cmp_gt_i32_e32 vcc_lo, 0, v6
	v_and_b32_e32 v0, v0, v25
	v_not_b32_e32 v6, v7
	v_ashrrev_i32_e32 v4, 31, v4
	v_xor_b32_e32 v3, s11, v3
	v_cmp_gt_i32_e64 s11, 0, v7
	v_and_b32_e32 v0, v0, v2
	v_not_b32_e32 v2, v24
	v_ashrrev_i32_e32 v6, 31, v6
	v_xor_b32_e32 v4, vcc_lo, v4
	v_cmp_gt_i32_e32 vcc_lo, 0, v24
	v_and_b32_e32 v0, v0, v3
	v_not_b32_e32 v3, v5
	v_ashrrev_i32_e32 v2, 31, v2
	v_xor_b32_e32 v6, s11, v6
	v_cmp_gt_i32_e64 s11, 0, v5
	v_and_b32_e32 v0, v0, v4
	v_ashrrev_i32_e32 v3, 31, v3
	v_xor_b32_e32 v2, vcc_lo, v2
	v_and_b32_e32 v1, 0xff, v1
	s_delay_alu instid0(VALU_DEP_4) | instskip(NEXT) | instid1(VALU_DEP_4)
	v_and_b32_e32 v0, v0, v6
	v_xor_b32_e32 v3, s11, v3
	s_delay_alu instid0(VALU_DEP_3) | instskip(NEXT) | instid1(VALU_DEP_3)
	v_lshl_add_u32 v1, v1, 1, v22
	v_and_b32_e32 v0, v0, v2
	s_delay_alu instid0(VALU_DEP_2) | instskip(NEXT) | instid1(VALU_DEP_2)
	v_lshl_add_u32 v25, v1, 2, 8
	v_and_b32_e32 v0, v0, v3
	s_delay_alu instid0(VALU_DEP_1) | instskip(SKIP_1) | instid1(VALU_DEP_2)
	v_mbcnt_lo_u32_b32 v24, v0, 0
	v_cmp_ne_u32_e64 s11, 0, v0
	v_cmp_eq_u32_e32 vcc_lo, 0, v24
	s_delay_alu instid0(VALU_DEP_2) | instskip(NEXT) | instid1(SALU_CYCLE_1)
	s_and_b32 s16, s11, vcc_lo
	s_and_saveexec_b32 s11, s16
	s_cbranch_execz .LBB96_6
; %bb.5:                                ;   in Loop: Header=BB96_4 Depth=2
	v_bcnt_u32_b32 v0, v0, 0
	ds_store_b32 v25, v0
.LBB96_6:                               ;   in Loop: Header=BB96_4 Depth=2
	s_or_b32 exec_lo, exec_lo, s11
	; wave barrier
	s_waitcnt lgkmcnt(0)
	s_barrier
	buffer_gl0_inv
	ds_load_2addr_b64 v[4:7], v15 offset0:1 offset1:2
	ds_load_2addr_b64 v[0:3], v16 offset0:2 offset1:3
	s_waitcnt lgkmcnt(1)
	v_add_nc_u32_e32 v26, v5, v4
	s_delay_alu instid0(VALU_DEP_1) | instskip(SKIP_1) | instid1(VALU_DEP_1)
	v_add3_u32 v26, v26, v6, v7
	s_waitcnt lgkmcnt(0)
	v_add3_u32 v26, v26, v0, v1
	s_delay_alu instid0(VALU_DEP_1) | instskip(NEXT) | instid1(VALU_DEP_1)
	v_add3_u32 v3, v26, v2, v3
	v_mov_b32_dpp v26, v3 row_shr:1 row_mask:0xf bank_mask:0xf
	s_delay_alu instid0(VALU_DEP_1) | instskip(NEXT) | instid1(VALU_DEP_1)
	v_cndmask_b32_e64 v26, v26, 0, s1
	v_add_nc_u32_e32 v3, v26, v3
	s_delay_alu instid0(VALU_DEP_1) | instskip(NEXT) | instid1(VALU_DEP_1)
	v_mov_b32_dpp v26, v3 row_shr:2 row_mask:0xf bank_mask:0xf
	v_cndmask_b32_e64 v26, 0, v26, s2
	s_delay_alu instid0(VALU_DEP_1) | instskip(NEXT) | instid1(VALU_DEP_1)
	v_add_nc_u32_e32 v3, v3, v26
	v_mov_b32_dpp v26, v3 row_shr:4 row_mask:0xf bank_mask:0xf
	s_delay_alu instid0(VALU_DEP_1) | instskip(NEXT) | instid1(VALU_DEP_1)
	v_cndmask_b32_e64 v26, 0, v26, s3
	v_add_nc_u32_e32 v3, v3, v26
	s_delay_alu instid0(VALU_DEP_1) | instskip(NEXT) | instid1(VALU_DEP_1)
	v_mov_b32_dpp v26, v3 row_shr:8 row_mask:0xf bank_mask:0xf
	v_cndmask_b32_e64 v26, 0, v26, s4
	s_delay_alu instid0(VALU_DEP_1) | instskip(SKIP_3) | instid1(VALU_DEP_1)
	v_add_nc_u32_e32 v3, v3, v26
	ds_swizzle_b32 v26, v3 offset:swizzle(BROADCAST,32,15)
	s_waitcnt lgkmcnt(0)
	v_cndmask_b32_e64 v26, v26, 0, s5
	v_add_nc_u32_e32 v3, v3, v26
	s_and_saveexec_b32 s11, s10
	s_cbranch_execz .LBB96_8
; %bb.7:                                ;   in Loop: Header=BB96_4 Depth=2
	ds_store_b32 v17, v3
.LBB96_8:                               ;   in Loop: Header=BB96_4 Depth=2
	s_or_b32 exec_lo, exec_lo, s11
	s_waitcnt lgkmcnt(0)
	s_barrier
	buffer_gl0_inv
	s_and_saveexec_b32 s11, s6
	s_cbranch_execz .LBB96_10
; %bb.9:                                ;   in Loop: Header=BB96_4 Depth=2
	ds_load_b32 v26, v19
	s_waitcnt lgkmcnt(0)
	v_mov_b32_dpp v27, v26 row_shr:1 row_mask:0xf bank_mask:0xf
	s_delay_alu instid0(VALU_DEP_1) | instskip(NEXT) | instid1(VALU_DEP_1)
	v_cndmask_b32_e64 v27, v27, 0, s9
	v_add_nc_u32_e32 v26, v27, v26
	ds_store_b32 v19, v26
.LBB96_10:                              ;   in Loop: Header=BB96_4 Depth=2
	s_or_b32 exec_lo, exec_lo, s11
	v_mov_b32_e32 v26, 0
	s_waitcnt lgkmcnt(0)
	s_barrier
	buffer_gl0_inv
	s_and_saveexec_b32 s11, s7
	s_cbranch_execz .LBB96_12
; %bb.11:                               ;   in Loop: Header=BB96_4 Depth=2
	ds_load_b32 v26, v20
.LBB96_12:                              ;   in Loop: Header=BB96_4 Depth=2
	s_or_b32 exec_lo, exec_lo, s11
	s_waitcnt lgkmcnt(0)
	v_add_nc_u32_e32 v3, v26, v3
	s_cmp_gt_u32 s14, 55
	ds_bpermute_b32 v3, v18, v3
	s_waitcnt lgkmcnt(0)
	v_cndmask_b32_e64 v3, v3, v26, s0
	s_delay_alu instid0(VALU_DEP_1) | instskip(NEXT) | instid1(VALU_DEP_1)
	v_cndmask_b32_e64 v3, v3, 0, s8
	v_add_nc_u32_e32 v4, v3, v4
	s_delay_alu instid0(VALU_DEP_1) | instskip(NEXT) | instid1(VALU_DEP_1)
	v_add_nc_u32_e32 v5, v4, v5
	v_add_nc_u32_e32 v6, v5, v6
	s_delay_alu instid0(VALU_DEP_1) | instskip(NEXT) | instid1(VALU_DEP_1)
	v_add_nc_u32_e32 v26, v6, v7
	;; [unrolled: 3-line block ×3, first 2 shown]
	v_add_nc_u32_e32 v1, v0, v2
	ds_store_2addr_b64 v15, v[3:4], v[5:6] offset0:1 offset1:2
	ds_store_2addr_b64 v16, v[26:27], v[0:1] offset0:2 offset1:3
	s_waitcnt lgkmcnt(0)
	s_barrier
	buffer_gl0_inv
	ds_load_b32 v0, v25
	s_waitcnt lgkmcnt(0)
	v_add_nc_u32_e32 v0, v0, v24
	s_cbranch_scc0 .LBB96_3
; %bb.13:                               ;   in Loop: Header=BB96_2 Depth=1
                                        ; implicit-def: $vgpr1_vgpr2
                                        ; implicit-def: $sgpr14_sgpr15
	s_branch .LBB96_1
.LBB96_14:
	s_waitcnt lgkmcnt(0)
	v_xor_b32_e32 v2, 0x80000000, v2
	v_lshlrev_b32_e32 v0, 3, v8
	s_add_u32 s0, s18, s12
	s_addc_u32 s1, s19, s13
	global_store_b64 v0, v[1:2], s[0:1]
	s_nop 0
	s_sendmsg sendmsg(MSG_DEALLOC_VGPRS)
	s_endpgm
	.section	.rodata,"a",@progbits
	.p2align	6, 0x0
	.amdhsa_kernel _Z16sort_keys_kernelI22helper_blocked_blockedxLj64ELj1ELj10EEvPKT0_PS1_
		.amdhsa_group_segment_fixed_size 2064
		.amdhsa_private_segment_fixed_size 0
		.amdhsa_kernarg_size 272
		.amdhsa_user_sgpr_count 15
		.amdhsa_user_sgpr_dispatch_ptr 0
		.amdhsa_user_sgpr_queue_ptr 0
		.amdhsa_user_sgpr_kernarg_segment_ptr 1
		.amdhsa_user_sgpr_dispatch_id 0
		.amdhsa_user_sgpr_private_segment_size 0
		.amdhsa_wavefront_size32 1
		.amdhsa_uses_dynamic_stack 0
		.amdhsa_enable_private_segment 0
		.amdhsa_system_sgpr_workgroup_id_x 1
		.amdhsa_system_sgpr_workgroup_id_y 0
		.amdhsa_system_sgpr_workgroup_id_z 0
		.amdhsa_system_sgpr_workgroup_info 0
		.amdhsa_system_vgpr_workitem_id 2
		.amdhsa_next_free_vgpr 28
		.amdhsa_next_free_sgpr 22
		.amdhsa_reserve_vcc 1
		.amdhsa_float_round_mode_32 0
		.amdhsa_float_round_mode_16_64 0
		.amdhsa_float_denorm_mode_32 3
		.amdhsa_float_denorm_mode_16_64 3
		.amdhsa_dx10_clamp 1
		.amdhsa_ieee_mode 1
		.amdhsa_fp16_overflow 0
		.amdhsa_workgroup_processor_mode 1
		.amdhsa_memory_ordered 1
		.amdhsa_forward_progress 0
		.amdhsa_shared_vgpr_count 0
		.amdhsa_exception_fp_ieee_invalid_op 0
		.amdhsa_exception_fp_denorm_src 0
		.amdhsa_exception_fp_ieee_div_zero 0
		.amdhsa_exception_fp_ieee_overflow 0
		.amdhsa_exception_fp_ieee_underflow 0
		.amdhsa_exception_fp_ieee_inexact 0
		.amdhsa_exception_int_div_zero 0
	.end_amdhsa_kernel
	.section	.text._Z16sort_keys_kernelI22helper_blocked_blockedxLj64ELj1ELj10EEvPKT0_PS1_,"axG",@progbits,_Z16sort_keys_kernelI22helper_blocked_blockedxLj64ELj1ELj10EEvPKT0_PS1_,comdat
.Lfunc_end96:
	.size	_Z16sort_keys_kernelI22helper_blocked_blockedxLj64ELj1ELj10EEvPKT0_PS1_, .Lfunc_end96-_Z16sort_keys_kernelI22helper_blocked_blockedxLj64ELj1ELj10EEvPKT0_PS1_
                                        ; -- End function
	.section	.AMDGPU.csdata,"",@progbits
; Kernel info:
; codeLenInByte = 1392
; NumSgprs: 24
; NumVgprs: 28
; ScratchSize: 0
; MemoryBound: 0
; FloatMode: 240
; IeeeMode: 1
; LDSByteSize: 2064 bytes/workgroup (compile time only)
; SGPRBlocks: 2
; VGPRBlocks: 3
; NumSGPRsForWavesPerEU: 24
; NumVGPRsForWavesPerEU: 28
; Occupancy: 16
; WaveLimiterHint : 0
; COMPUTE_PGM_RSRC2:SCRATCH_EN: 0
; COMPUTE_PGM_RSRC2:USER_SGPR: 15
; COMPUTE_PGM_RSRC2:TRAP_HANDLER: 0
; COMPUTE_PGM_RSRC2:TGID_X_EN: 1
; COMPUTE_PGM_RSRC2:TGID_Y_EN: 0
; COMPUTE_PGM_RSRC2:TGID_Z_EN: 0
; COMPUTE_PGM_RSRC2:TIDIG_COMP_CNT: 2
	.section	.text._Z17sort_pairs_kernelI22helper_blocked_blockedxLj64ELj1ELj10EEvPKT0_PS1_,"axG",@progbits,_Z17sort_pairs_kernelI22helper_blocked_blockedxLj64ELj1ELj10EEvPKT0_PS1_,comdat
	.protected	_Z17sort_pairs_kernelI22helper_blocked_blockedxLj64ELj1ELj10EEvPKT0_PS1_ ; -- Begin function _Z17sort_pairs_kernelI22helper_blocked_blockedxLj64ELj1ELj10EEvPKT0_PS1_
	.globl	_Z17sort_pairs_kernelI22helper_blocked_blockedxLj64ELj1ELj10EEvPKT0_PS1_
	.p2align	8
	.type	_Z17sort_pairs_kernelI22helper_blocked_blockedxLj64ELj1ELj10EEvPKT0_PS1_,@function
_Z17sort_pairs_kernelI22helper_blocked_blockedxLj64ELj1ELj10EEvPKT0_PS1_: ; @_Z17sort_pairs_kernelI22helper_blocked_blockedxLj64ELj1ELj10EEvPKT0_PS1_
; %bb.0:
	s_clause 0x1
	s_load_b128 s[16:19], s[0:1], 0x0
	s_load_b32 s10, s[0:1], 0x1c
	v_and_b32_e32 v8, 0x3ff, v0
	s_mov_b32 s21, 0
	s_lshl_b32 s20, s15, 6
	v_mbcnt_lo_u32_b32 v5, -1, 0
	s_lshl_b64 s[12:13], s[20:21], 3
	v_lshlrev_b32_e32 v1, 3, v8
	v_bfe_u32 v3, v0, 10, 10
	v_bfe_u32 v0, v0, 20, 10
	s_mov_b32 s20, s21
	s_delay_alu instid0(SALU_CYCLE_1) | instskip(SKIP_3) | instid1(VALU_DEP_4)
	v_dual_mov_b32 v11, s20 :: v_dual_and_b32 v4, 15, v5
	v_and_b32_e32 v6, 16, v5
	v_dual_mov_b32 v12, s21 :: v_dual_add_nc_u32 v7, -1, v5
	v_and_b32_e32 v13, 1, v5
	v_cmp_lt_u32_e64 s2, 1, v4
	v_cmp_lt_u32_e64 s3, 3, v4
	;; [unrolled: 1-line block ×3, first 2 shown]
	s_waitcnt lgkmcnt(0)
	s_add_u32 s0, s16, s12
	s_addc_u32 s1, s17, s13
	s_lshr_b32 s11, s10, 16
	global_load_b64 v[1:2], v1, s[0:1]
	s_mov_b32 s1, s21
	s_mov_b32 s0, s21
	s_delay_alu instid0(SALU_CYCLE_1)
	v_dual_mov_b32 v10, s1 :: v_dual_mov_b32 v9, s0
	v_mad_u32_u24 v0, v0, s11, v3
	s_and_b32 s10, s10, 0xffff
	v_lshlrev_b32_e32 v17, 5, v8
	v_cmp_eq_u32_e64 s1, 0, v4
	v_cmp_eq_u32_e64 s5, 0, v6
	v_cmp_gt_i32_e32 vcc_lo, 0, v7
	v_and_b32_e32 v6, 32, v8
	v_lshrrev_b32_e32 v14, 3, v8
	v_mad_u64_u32 v[3:4], null, v0, s10, v[8:9]
	v_cndmask_b32_e32 v7, v7, v5, vcc_lo
	v_cmp_eq_u32_e64 s9, 0, v13
	v_lshlrev_b32_e32 v13, 2, v8
	v_or_b32_e32 v15, 31, v6
	v_and_b32_e32 v19, 4, v14
	v_or_b32_e32 v0, v5, v6
	v_mad_i32_i24 v21, 0xffffffe4, v8, v17
	v_lshrrev_b32_e32 v24, 5, v3
	v_cmp_eq_u32_e64 s0, 0, v5
	v_cmp_gt_u32_e64 s6, 2, v8
	v_cmp_lt_u32_e64 s7, 31, v8
	v_cmp_eq_u32_e64 s8, 0, v8
	v_or_b32_e32 v18, 8, v17
	v_lshlrev_b32_e32 v20, 2, v7
	v_cmp_eq_u32_e64 s10, v15, v8
	v_add_nc_u32_e32 v22, -4, v19
	v_lshlrev_b32_e32 v23, 3, v0
	v_add_nc_u32_e32 v25, v21, v13
	s_waitcnt vmcnt(0)
	v_add_co_u32 v3, vcc_lo, v1, 1
	v_add_co_ci_u32_e32 v4, vcc_lo, 0, v2, vcc_lo
	v_xor_b32_e32 v2, 0x80000000, v2
	s_branch .LBB97_2
.LBB97_1:                               ;   in Loop: Header=BB97_2 Depth=1
	s_delay_alu instid0(VALU_DEP_1)
	v_lshlrev_b32_e32 v0, 3, v0
	s_barrier
	buffer_gl0_inv
	s_add_i32 s21, s21, 1
	ds_store_b64 v0, v[13:14]
	s_waitcnt lgkmcnt(0)
	s_barrier
	buffer_gl0_inv
	ds_load_b64 v[1:2], v25
	s_waitcnt lgkmcnt(0)
	s_barrier
	buffer_gl0_inv
	ds_store_b64 v0, v[15:16]
	s_waitcnt lgkmcnt(0)
	s_barrier
	buffer_gl0_inv
	ds_load_b64 v[3:4], v25
	s_cmp_lg_u32 s21, 10
	s_cbranch_scc0 .LBB97_14
.LBB97_2:                               ; =>This Loop Header: Depth=1
                                        ;     Child Loop BB97_4 Depth 2
	s_mov_b64 s[14:15], 0
	s_branch .LBB97_4
.LBB97_3:                               ;   in Loop: Header=BB97_4 Depth=2
	s_delay_alu instid0(VALU_DEP_1)
	v_lshlrev_b32_e32 v3, 3, v0
	s_barrier
	buffer_gl0_inv
	s_add_u32 s14, s14, 8
	ds_store_b64 v3, v[13:14]
	s_waitcnt lgkmcnt(0)
	s_barrier
	buffer_gl0_inv
	ds_load_b64 v[1:2], v23
	s_waitcnt lgkmcnt(0)
	s_barrier
	buffer_gl0_inv
	ds_store_b64 v3, v[15:16]
	s_waitcnt lgkmcnt(0)
	s_barrier
	buffer_gl0_inv
	ds_load_b64 v[3:4], v23
	s_addc_u32 s15, s15, 0
	s_waitcnt lgkmcnt(0)
	s_barrier
	buffer_gl0_inv
	s_cbranch_execz .LBB97_1
.LBB97_4:                               ;   Parent Loop BB97_2 Depth=1
                                        ; =>  This Inner Loop Header: Depth=2
	s_delay_alu instid0(VALU_DEP_1)
	v_dual_mov_b32 v14, v2 :: v_dual_mov_b32 v13, v1
	ds_store_2addr_b64 v17, v[11:12], v[9:10] offset0:1 offset1:2
	ds_store_2addr_b64 v18, v[11:12], v[9:10] offset0:2 offset1:3
	s_waitcnt lgkmcnt(0)
	s_barrier
	buffer_gl0_inv
	v_lshrrev_b64 v[1:2], s14, v[13:14]
	; wave barrier
	s_delay_alu instid0(VALU_DEP_1)
	v_and_b32_e32 v0, 1, v1
	v_lshlrev_b32_e32 v2, 30, v1
	v_lshlrev_b32_e32 v5, 29, v1
	;; [unrolled: 1-line block ×4, first 2 shown]
	v_add_co_u32 v0, s11, v0, -1
	s_delay_alu instid0(VALU_DEP_1)
	v_cndmask_b32_e64 v7, 0, 1, s11
	v_not_b32_e32 v27, v2
	v_cmp_gt_i32_e64 s11, 0, v2
	v_not_b32_e32 v2, v5
	v_lshlrev_b32_e32 v16, 26, v1
	v_cmp_ne_u32_e32 vcc_lo, 0, v7
	v_ashrrev_i32_e32 v27, 31, v27
	v_lshlrev_b32_e32 v26, 25, v1
	v_ashrrev_i32_e32 v2, 31, v2
	v_lshlrev_b32_e32 v7, 24, v1
	v_xor_b32_e32 v0, vcc_lo, v0
	v_cmp_gt_i32_e32 vcc_lo, 0, v5
	v_not_b32_e32 v5, v6
	v_xor_b32_e32 v27, s11, v27
	v_cmp_gt_i32_e64 s11, 0, v6
	v_and_b32_e32 v0, exec_lo, v0
	v_not_b32_e32 v6, v15
	v_ashrrev_i32_e32 v5, 31, v5
	v_xor_b32_e32 v2, vcc_lo, v2
	v_cmp_gt_i32_e32 vcc_lo, 0, v15
	v_and_b32_e32 v0, v0, v27
	v_not_b32_e32 v15, v16
	v_ashrrev_i32_e32 v6, 31, v6
	v_xor_b32_e32 v5, s11, v5
	v_cmp_gt_i32_e64 s11, 0, v16
	v_and_b32_e32 v0, v0, v2
	v_not_b32_e32 v2, v26
	v_ashrrev_i32_e32 v15, 31, v15
	v_xor_b32_e32 v6, vcc_lo, v6
	v_cmp_gt_i32_e32 vcc_lo, 0, v26
	v_and_b32_e32 v0, v0, v5
	v_not_b32_e32 v5, v7
	v_ashrrev_i32_e32 v2, 31, v2
	v_xor_b32_e32 v15, s11, v15
	v_cmp_gt_i32_e64 s11, 0, v7
	v_and_b32_e32 v0, v0, v6
	v_ashrrev_i32_e32 v5, 31, v5
	v_xor_b32_e32 v2, vcc_lo, v2
	v_and_b32_e32 v1, 0xff, v1
	s_delay_alu instid0(VALU_DEP_4) | instskip(SKIP_2) | instid1(VALU_DEP_4)
	v_and_b32_e32 v0, v0, v15
	v_mov_b32_e32 v16, v4
	v_xor_b32_e32 v5, s11, v5
	v_lshl_add_u32 v1, v1, 1, v24
	s_delay_alu instid0(VALU_DEP_4) | instskip(NEXT) | instid1(VALU_DEP_2)
	v_dual_mov_b32 v15, v3 :: v_dual_and_b32 v0, v0, v2
	v_lshl_add_u32 v27, v1, 2, 8
	s_delay_alu instid0(VALU_DEP_2) | instskip(NEXT) | instid1(VALU_DEP_1)
	v_and_b32_e32 v0, v0, v5
	v_mbcnt_lo_u32_b32 v26, v0, 0
	v_cmp_ne_u32_e64 s11, 0, v0
	s_delay_alu instid0(VALU_DEP_2) | instskip(NEXT) | instid1(VALU_DEP_2)
	v_cmp_eq_u32_e32 vcc_lo, 0, v26
	s_and_b32 s16, s11, vcc_lo
	s_delay_alu instid0(SALU_CYCLE_1)
	s_and_saveexec_b32 s11, s16
	s_cbranch_execz .LBB97_6
; %bb.5:                                ;   in Loop: Header=BB97_4 Depth=2
	v_bcnt_u32_b32 v0, v0, 0
	ds_store_b32 v27, v0
.LBB97_6:                               ;   in Loop: Header=BB97_4 Depth=2
	s_or_b32 exec_lo, exec_lo, s11
	; wave barrier
	s_waitcnt lgkmcnt(0)
	s_barrier
	buffer_gl0_inv
	ds_load_2addr_b64 v[4:7], v17 offset0:1 offset1:2
	ds_load_2addr_b64 v[0:3], v18 offset0:2 offset1:3
	s_waitcnt lgkmcnt(1)
	v_add_nc_u32_e32 v28, v5, v4
	s_delay_alu instid0(VALU_DEP_1) | instskip(SKIP_1) | instid1(VALU_DEP_1)
	v_add3_u32 v28, v28, v6, v7
	s_waitcnt lgkmcnt(0)
	v_add3_u32 v28, v28, v0, v1
	s_delay_alu instid0(VALU_DEP_1) | instskip(NEXT) | instid1(VALU_DEP_1)
	v_add3_u32 v3, v28, v2, v3
	v_mov_b32_dpp v28, v3 row_shr:1 row_mask:0xf bank_mask:0xf
	s_delay_alu instid0(VALU_DEP_1) | instskip(NEXT) | instid1(VALU_DEP_1)
	v_cndmask_b32_e64 v28, v28, 0, s1
	v_add_nc_u32_e32 v3, v28, v3
	s_delay_alu instid0(VALU_DEP_1) | instskip(NEXT) | instid1(VALU_DEP_1)
	v_mov_b32_dpp v28, v3 row_shr:2 row_mask:0xf bank_mask:0xf
	v_cndmask_b32_e64 v28, 0, v28, s2
	s_delay_alu instid0(VALU_DEP_1) | instskip(NEXT) | instid1(VALU_DEP_1)
	v_add_nc_u32_e32 v3, v3, v28
	v_mov_b32_dpp v28, v3 row_shr:4 row_mask:0xf bank_mask:0xf
	s_delay_alu instid0(VALU_DEP_1) | instskip(NEXT) | instid1(VALU_DEP_1)
	v_cndmask_b32_e64 v28, 0, v28, s3
	v_add_nc_u32_e32 v3, v3, v28
	s_delay_alu instid0(VALU_DEP_1) | instskip(NEXT) | instid1(VALU_DEP_1)
	v_mov_b32_dpp v28, v3 row_shr:8 row_mask:0xf bank_mask:0xf
	v_cndmask_b32_e64 v28, 0, v28, s4
	s_delay_alu instid0(VALU_DEP_1) | instskip(SKIP_3) | instid1(VALU_DEP_1)
	v_add_nc_u32_e32 v3, v3, v28
	ds_swizzle_b32 v28, v3 offset:swizzle(BROADCAST,32,15)
	s_waitcnt lgkmcnt(0)
	v_cndmask_b32_e64 v28, v28, 0, s5
	v_add_nc_u32_e32 v3, v3, v28
	s_and_saveexec_b32 s11, s10
	s_cbranch_execz .LBB97_8
; %bb.7:                                ;   in Loop: Header=BB97_4 Depth=2
	ds_store_b32 v19, v3
.LBB97_8:                               ;   in Loop: Header=BB97_4 Depth=2
	s_or_b32 exec_lo, exec_lo, s11
	s_waitcnt lgkmcnt(0)
	s_barrier
	buffer_gl0_inv
	s_and_saveexec_b32 s11, s6
	s_cbranch_execz .LBB97_10
; %bb.9:                                ;   in Loop: Header=BB97_4 Depth=2
	ds_load_b32 v28, v21
	s_waitcnt lgkmcnt(0)
	v_mov_b32_dpp v29, v28 row_shr:1 row_mask:0xf bank_mask:0xf
	s_delay_alu instid0(VALU_DEP_1) | instskip(NEXT) | instid1(VALU_DEP_1)
	v_cndmask_b32_e64 v29, v29, 0, s9
	v_add_nc_u32_e32 v28, v29, v28
	ds_store_b32 v21, v28
.LBB97_10:                              ;   in Loop: Header=BB97_4 Depth=2
	s_or_b32 exec_lo, exec_lo, s11
	v_mov_b32_e32 v28, 0
	s_waitcnt lgkmcnt(0)
	s_barrier
	buffer_gl0_inv
	s_and_saveexec_b32 s11, s7
	s_cbranch_execz .LBB97_12
; %bb.11:                               ;   in Loop: Header=BB97_4 Depth=2
	ds_load_b32 v28, v22
.LBB97_12:                              ;   in Loop: Header=BB97_4 Depth=2
	s_or_b32 exec_lo, exec_lo, s11
	s_waitcnt lgkmcnt(0)
	v_add_nc_u32_e32 v3, v28, v3
	s_cmp_gt_u32 s14, 55
	ds_bpermute_b32 v3, v20, v3
	s_waitcnt lgkmcnt(0)
	v_cndmask_b32_e64 v3, v3, v28, s0
	s_delay_alu instid0(VALU_DEP_1) | instskip(NEXT) | instid1(VALU_DEP_1)
	v_cndmask_b32_e64 v3, v3, 0, s8
	v_add_nc_u32_e32 v4, v3, v4
	s_delay_alu instid0(VALU_DEP_1) | instskip(NEXT) | instid1(VALU_DEP_1)
	v_add_nc_u32_e32 v5, v4, v5
	v_add_nc_u32_e32 v6, v5, v6
	s_delay_alu instid0(VALU_DEP_1) | instskip(NEXT) | instid1(VALU_DEP_1)
	v_add_nc_u32_e32 v28, v6, v7
	;; [unrolled: 3-line block ×3, first 2 shown]
	v_add_nc_u32_e32 v1, v0, v2
	ds_store_2addr_b64 v17, v[3:4], v[5:6] offset0:1 offset1:2
	ds_store_2addr_b64 v18, v[28:29], v[0:1] offset0:2 offset1:3
	s_waitcnt lgkmcnt(0)
	s_barrier
	buffer_gl0_inv
	ds_load_b32 v0, v27
	s_waitcnt lgkmcnt(0)
	v_add_nc_u32_e32 v0, v0, v26
	s_cbranch_scc0 .LBB97_3
; %bb.13:                               ;   in Loop: Header=BB97_2 Depth=1
                                        ; implicit-def: $vgpr3_vgpr4
                                        ; implicit-def: $vgpr1_vgpr2
                                        ; implicit-def: $sgpr14_sgpr15
	s_branch .LBB97_1
.LBB97_14:
	s_waitcnt lgkmcnt(0)
	v_add_co_u32 v0, vcc_lo, v3, v1
	v_add_co_ci_u32_e32 v1, vcc_lo, v4, v2, vcc_lo
	v_lshlrev_b32_e32 v2, 3, v8
	s_delay_alu instid0(VALU_DEP_3) | instskip(NEXT) | instid1(VALU_DEP_3)
	v_add_co_u32 v0, vcc_lo, v0, 0
	v_add_co_ci_u32_e32 v1, vcc_lo, 0x80000000, v1, vcc_lo
	s_add_u32 s0, s18, s12
	s_addc_u32 s1, s19, s13
	global_store_b64 v2, v[0:1], s[0:1]
	s_nop 0
	s_sendmsg sendmsg(MSG_DEALLOC_VGPRS)
	s_endpgm
	.section	.rodata,"a",@progbits
	.p2align	6, 0x0
	.amdhsa_kernel _Z17sort_pairs_kernelI22helper_blocked_blockedxLj64ELj1ELj10EEvPKT0_PS1_
		.amdhsa_group_segment_fixed_size 2064
		.amdhsa_private_segment_fixed_size 0
		.amdhsa_kernarg_size 272
		.amdhsa_user_sgpr_count 15
		.amdhsa_user_sgpr_dispatch_ptr 0
		.amdhsa_user_sgpr_queue_ptr 0
		.amdhsa_user_sgpr_kernarg_segment_ptr 1
		.amdhsa_user_sgpr_dispatch_id 0
		.amdhsa_user_sgpr_private_segment_size 0
		.amdhsa_wavefront_size32 1
		.amdhsa_uses_dynamic_stack 0
		.amdhsa_enable_private_segment 0
		.amdhsa_system_sgpr_workgroup_id_x 1
		.amdhsa_system_sgpr_workgroup_id_y 0
		.amdhsa_system_sgpr_workgroup_id_z 0
		.amdhsa_system_sgpr_workgroup_info 0
		.amdhsa_system_vgpr_workitem_id 2
		.amdhsa_next_free_vgpr 30
		.amdhsa_next_free_sgpr 22
		.amdhsa_reserve_vcc 1
		.amdhsa_float_round_mode_32 0
		.amdhsa_float_round_mode_16_64 0
		.amdhsa_float_denorm_mode_32 3
		.amdhsa_float_denorm_mode_16_64 3
		.amdhsa_dx10_clamp 1
		.amdhsa_ieee_mode 1
		.amdhsa_fp16_overflow 0
		.amdhsa_workgroup_processor_mode 1
		.amdhsa_memory_ordered 1
		.amdhsa_forward_progress 0
		.amdhsa_shared_vgpr_count 0
		.amdhsa_exception_fp_ieee_invalid_op 0
		.amdhsa_exception_fp_denorm_src 0
		.amdhsa_exception_fp_ieee_div_zero 0
		.amdhsa_exception_fp_ieee_overflow 0
		.amdhsa_exception_fp_ieee_underflow 0
		.amdhsa_exception_fp_ieee_inexact 0
		.amdhsa_exception_int_div_zero 0
	.end_amdhsa_kernel
	.section	.text._Z17sort_pairs_kernelI22helper_blocked_blockedxLj64ELj1ELj10EEvPKT0_PS1_,"axG",@progbits,_Z17sort_pairs_kernelI22helper_blocked_blockedxLj64ELj1ELj10EEvPKT0_PS1_,comdat
.Lfunc_end97:
	.size	_Z17sort_pairs_kernelI22helper_blocked_blockedxLj64ELj1ELj10EEvPKT0_PS1_, .Lfunc_end97-_Z17sort_pairs_kernelI22helper_blocked_blockedxLj64ELj1ELj10EEvPKT0_PS1_
                                        ; -- End function
	.section	.AMDGPU.csdata,"",@progbits
; Kernel info:
; codeLenInByte = 1528
; NumSgprs: 24
; NumVgprs: 30
; ScratchSize: 0
; MemoryBound: 0
; FloatMode: 240
; IeeeMode: 1
; LDSByteSize: 2064 bytes/workgroup (compile time only)
; SGPRBlocks: 2
; VGPRBlocks: 3
; NumSGPRsForWavesPerEU: 24
; NumVGPRsForWavesPerEU: 30
; Occupancy: 16
; WaveLimiterHint : 0
; COMPUTE_PGM_RSRC2:SCRATCH_EN: 0
; COMPUTE_PGM_RSRC2:USER_SGPR: 15
; COMPUTE_PGM_RSRC2:TRAP_HANDLER: 0
; COMPUTE_PGM_RSRC2:TGID_X_EN: 1
; COMPUTE_PGM_RSRC2:TGID_Y_EN: 0
; COMPUTE_PGM_RSRC2:TGID_Z_EN: 0
; COMPUTE_PGM_RSRC2:TIDIG_COMP_CNT: 2
	.section	.text._Z16sort_keys_kernelI22helper_blocked_blockedxLj64ELj3ELj10EEvPKT0_PS1_,"axG",@progbits,_Z16sort_keys_kernelI22helper_blocked_blockedxLj64ELj3ELj10EEvPKT0_PS1_,comdat
	.protected	_Z16sort_keys_kernelI22helper_blocked_blockedxLj64ELj3ELj10EEvPKT0_PS1_ ; -- Begin function _Z16sort_keys_kernelI22helper_blocked_blockedxLj64ELj3ELj10EEvPKT0_PS1_
	.globl	_Z16sort_keys_kernelI22helper_blocked_blockedxLj64ELj3ELj10EEvPKT0_PS1_
	.p2align	8
	.type	_Z16sort_keys_kernelI22helper_blocked_blockedxLj64ELj3ELj10EEvPKT0_PS1_,@function
_Z16sort_keys_kernelI22helper_blocked_blockedxLj64ELj3ELj10EEvPKT0_PS1_: ; @_Z16sort_keys_kernelI22helper_blocked_blockedxLj64ELj3ELj10EEvPKT0_PS1_
; %bb.0:
	s_clause 0x1
	s_load_b128 s[16:19], s[0:1], 0x0
	s_load_b32 s2, s[0:1], 0x1c
	s_mov_b32 s21, 0
	s_mul_i32 s20, s15, 0xc0
	v_bfe_u32 v9, v0, 10, 10
	s_lshl_b64 s[12:13], s[20:21], 3
	s_mov_b32 s20, s21
	v_and_b32_e32 v8, 0x3ff, v0
	v_bfe_u32 v0, v0, 20, 10
	v_mbcnt_lo_u32_b32 v12, -1, 0
	s_mov_b32 s14, s21
	s_mov_b32 s15, s21
	v_lshlrev_b32_e32 v5, 3, v8
	v_lshrrev_b32_e32 v7, 5, v8
	v_cmp_eq_u32_e64 s8, 0, v12
	s_delay_alu instid0(VALU_DEP_2)
	v_mul_u32_u24_e32 v11, 0x60, v7
	v_lshlrev_b32_e32 v25, 2, v7
	s_waitcnt lgkmcnt(0)
	s_add_u32 s0, s16, s12
	s_addc_u32 s1, s17, s13
	s_clause 0x2
	global_load_b64 v[1:2], v5, s[0:1]
	global_load_b64 v[3:4], v5, s[0:1] offset:512
	global_load_b64 v[5:6], v5, s[0:1] offset:1024
	s_lshr_b32 s0, s2, 16
	v_lshlrev_b32_e32 v13, 3, v11
	v_mad_u32_u24 v0, v0, s0, v9
	s_and_b32 s0, s2, 0xffff
	v_add_nc_u32_e32 v27, -4, v25
	s_delay_alu instid0(VALU_DEP_3) | instskip(NEXT) | instid1(VALU_DEP_3)
	v_mad_u32_u24 v20, v12, 24, v13
	v_mad_u64_u32 v[9:10], null, v0, s0, v[8:9]
	v_or_b32_e32 v0, v12, v11
	v_add_nc_u32_e32 v11, -1, v12
	v_and_b32_e32 v10, 15, v12
	s_delay_alu instid0(VALU_DEP_3)
	v_lshlrev_b32_e32 v21, 3, v0
	v_lshrrev_b32_e32 v23, 5, v9
	v_and_b32_e32 v9, 16, v12
	v_cmp_gt_i32_e32 vcc_lo, 0, v11
	v_cmp_eq_u32_e64 s0, 0, v10
	v_cmp_lt_u32_e64 s1, 1, v10
	v_cmp_lt_u32_e64 s2, 3, v10
	v_cmp_eq_u32_e64 s4, 0, v9
	v_cndmask_b32_e32 v9, v11, v12, vcc_lo
	v_cmp_lt_u32_e64 s3, 7, v10
	s_delay_alu instid0(VALU_DEP_2) | instskip(SKIP_1) | instid1(VALU_DEP_1)
	v_lshlrev_b32_e32 v24, 2, v9
	v_and_b32_e32 v9, 1, v12
	v_cmp_eq_u32_e64 s10, 0, v9
	v_dual_mov_b32 v9, s20 :: v_dual_and_b32 v0, 32, v8
	v_lshlrev_b32_e32 v19, 5, v8
	v_cmp_gt_u32_e64 s6, 2, v8
	v_cmp_lt_u32_e64 s7, 31, v8
	v_cmp_eq_u32_e64 s9, 0, v8
	v_or_b32_e32 v13, 31, v0
	v_mul_u32_u24_e32 v0, 3, v0
	v_mad_i32_i24 v26, 0xffffffe4, v8, v19
	v_or_b32_e32 v22, 8, v19
	v_mov_b32_e32 v10, s21
	v_cmp_eq_u32_e64 s5, v13, v8
	v_or_b32_e32 v0, v12, v0
	v_dual_mov_b32 v11, s14 :: v_dual_mov_b32 v12, s15
	s_delay_alu instid0(VALU_DEP_2) | instskip(SKIP_1) | instid1(VALU_DEP_1)
	v_lshlrev_b32_e32 v28, 3, v0
	v_mul_u32_u24_e32 v0, 20, v8
	v_add_nc_u32_e32 v29, v26, v0
	s_branch .LBB98_2
.LBB98_1:                               ;   in Loop: Header=BB98_2 Depth=1
	v_lshlrev_b32_e32 v0, 3, v30
	v_lshlrev_b32_e32 v1, 3, v7
	;; [unrolled: 1-line block ×3, first 2 shown]
	s_barrier
	buffer_gl0_inv
	ds_store_b64 v0, v[13:14]
	ds_store_b64 v1, v[17:18]
	ds_store_b64 v2, v[15:16]
	s_waitcnt lgkmcnt(0)
	s_barrier
	buffer_gl0_inv
	ds_load_2addr_b64 v[1:4], v29 offset1:1
	ds_load_b64 v[5:6], v29 offset:16
	s_add_i32 s21, s21, 1
	s_delay_alu instid0(SALU_CYCLE_1)
	s_cmp_eq_u32 s21, 10
	s_waitcnt lgkmcnt(1)
	v_xor_b32_e32 v2, 0x80000000, v2
	v_xor_b32_e32 v4, 0x80000000, v4
	s_waitcnt lgkmcnt(0)
	v_xor_b32_e32 v6, 0x80000000, v6
	s_cbranch_scc1 .LBB98_18
.LBB98_2:                               ; =>This Loop Header: Depth=1
                                        ;     Child Loop BB98_4 Depth 2
	s_waitcnt vmcnt(2)
	v_xor_b32_e32 v2, 0x80000000, v2
	s_waitcnt vmcnt(1)
	v_xor_b32_e32 v4, 0x80000000, v4
	;; [unrolled: 2-line block ×3, first 2 shown]
	s_mov_b64 s[14:15], 0
	ds_store_2addr_b64 v20, v[1:2], v[3:4] offset1:1
	ds_store_b64 v20, v[5:6] offset:16
	; wave barrier
	ds_load_2addr_b64 v[0:3], v21 offset1:32
	ds_load_b64 v[4:5], v21 offset:512
	s_waitcnt lgkmcnt(0)
	s_barrier
	buffer_gl0_inv
	; wave barrier
	s_barrier
	s_branch .LBB98_4
.LBB98_3:                               ;   in Loop: Header=BB98_4 Depth=2
	v_lshlrev_b32_e32 v0, 3, v30
	v_lshlrev_b32_e32 v1, 3, v7
	s_delay_alu instid0(VALU_DEP_3)
	v_lshlrev_b32_e32 v2, 3, v6
	s_barrier
	buffer_gl0_inv
	ds_store_b64 v0, v[13:14]
	ds_store_b64 v1, v[17:18]
	;; [unrolled: 1-line block ×3, first 2 shown]
	s_waitcnt lgkmcnt(0)
	s_barrier
	buffer_gl0_inv
	ds_load_2addr_b64 v[0:3], v28 offset1:32
	ds_load_b64 v[4:5], v28 offset:512
	s_add_u32 s14, s14, 8
	s_addc_u32 s15, s15, 0
	s_waitcnt lgkmcnt(0)
	s_barrier
	s_cbranch_execz .LBB98_1
.LBB98_4:                               ;   Parent Loop BB98_2 Depth=1
                                        ; =>  This Inner Loop Header: Depth=2
	v_dual_mov_b32 v14, v1 :: v_dual_mov_b32 v13, v0
	buffer_gl0_inv
	ds_store_2addr_b64 v19, v[9:10], v[11:12] offset0:1 offset1:2
	ds_store_2addr_b64 v22, v[9:10], v[11:12] offset0:2 offset1:3
	s_waitcnt lgkmcnt(0)
	s_barrier
	v_lshrrev_b64 v[6:7], s14, v[13:14]
	buffer_gl0_inv
	; wave barrier
	v_and_b32_e32 v0, 1, v6
	v_lshlrev_b32_e32 v1, 30, v6
	v_lshlrev_b32_e32 v7, 29, v6
	;; [unrolled: 1-line block ×4, first 2 shown]
	v_add_co_u32 v0, s11, v0, -1
	s_delay_alu instid0(VALU_DEP_1)
	v_cndmask_b32_e64 v16, 0, 1, s11
	v_not_b32_e32 v31, v1
	v_cmp_gt_i32_e64 s11, 0, v1
	v_not_b32_e32 v1, v7
	v_lshlrev_b32_e32 v18, 26, v6
	v_cmp_ne_u32_e32 vcc_lo, 0, v16
	v_ashrrev_i32_e32 v31, 31, v31
	v_lshlrev_b32_e32 v30, 25, v6
	v_ashrrev_i32_e32 v1, 31, v1
	v_lshlrev_b32_e32 v16, 24, v6
	v_xor_b32_e32 v0, vcc_lo, v0
	v_cmp_gt_i32_e32 vcc_lo, 0, v7
	v_not_b32_e32 v7, v15
	v_xor_b32_e32 v31, s11, v31
	v_cmp_gt_i32_e64 s11, 0, v15
	v_and_b32_e32 v0, exec_lo, v0
	v_not_b32_e32 v15, v17
	v_ashrrev_i32_e32 v7, 31, v7
	v_xor_b32_e32 v1, vcc_lo, v1
	v_cmp_gt_i32_e32 vcc_lo, 0, v17
	v_and_b32_e32 v0, v0, v31
	v_not_b32_e32 v17, v18
	v_ashrrev_i32_e32 v15, 31, v15
	v_xor_b32_e32 v7, s11, v7
	v_cmp_gt_i32_e64 s11, 0, v18
	v_and_b32_e32 v0, v0, v1
	v_not_b32_e32 v1, v30
	v_ashrrev_i32_e32 v17, 31, v17
	v_xor_b32_e32 v15, vcc_lo, v15
	v_cmp_gt_i32_e32 vcc_lo, 0, v30
	v_and_b32_e32 v0, v0, v7
	v_not_b32_e32 v7, v16
	v_ashrrev_i32_e32 v1, 31, v1
	v_xor_b32_e32 v17, s11, v17
	v_cmp_gt_i32_e64 s11, 0, v16
	v_and_b32_e32 v0, v0, v15
	v_ashrrev_i32_e32 v7, 31, v7
	v_xor_b32_e32 v1, vcc_lo, v1
	v_dual_mov_b32 v16, v5 :: v_dual_mov_b32 v15, v4
	s_delay_alu instid0(VALU_DEP_4) | instskip(NEXT) | instid1(VALU_DEP_4)
	v_and_b32_e32 v0, v0, v17
	v_xor_b32_e32 v7, s11, v7
	v_dual_mov_b32 v18, v3 :: v_dual_mov_b32 v17, v2
	s_delay_alu instid0(VALU_DEP_3) | instskip(SKIP_1) | instid1(VALU_DEP_2)
	v_and_b32_e32 v0, v0, v1
	v_and_b32_e32 v1, 0xff, v6
	;; [unrolled: 1-line block ×3, first 2 shown]
	s_delay_alu instid0(VALU_DEP_2) | instskip(NEXT) | instid1(VALU_DEP_2)
	v_lshl_add_u32 v1, v1, 1, v23
	v_mbcnt_lo_u32_b32 v30, v0, 0
	v_cmp_ne_u32_e64 s11, 0, v0
	s_delay_alu instid0(VALU_DEP_3) | instskip(NEXT) | instid1(VALU_DEP_3)
	v_lshl_add_u32 v31, v1, 2, 8
	v_cmp_eq_u32_e32 vcc_lo, 0, v30
	s_delay_alu instid0(VALU_DEP_3) | instskip(NEXT) | instid1(SALU_CYCLE_1)
	s_and_b32 s16, s11, vcc_lo
	s_and_saveexec_b32 s11, s16
	s_cbranch_execz .LBB98_6
; %bb.5:                                ;   in Loop: Header=BB98_4 Depth=2
	v_bcnt_u32_b32 v0, v0, 0
	ds_store_b32 v31, v0
.LBB98_6:                               ;   in Loop: Header=BB98_4 Depth=2
	s_or_b32 exec_lo, exec_lo, s11
	v_lshrrev_b64 v[0:1], s14, v[17:18]
	; wave barrier
	s_delay_alu instid0(VALU_DEP_1)
	v_and_b32_e32 v2, 1, v0
	v_lshlrev_b32_e32 v3, 30, v0
	v_lshlrev_b32_e32 v4, 29, v0
	;; [unrolled: 1-line block ×4, first 2 shown]
	v_add_co_u32 v2, s11, v2, -1
	s_delay_alu instid0(VALU_DEP_1)
	v_cndmask_b32_e64 v6, 0, 1, s11
	v_not_b32_e32 v34, v3
	v_cmp_gt_i32_e64 s11, 0, v3
	v_not_b32_e32 v3, v4
	v_lshlrev_b32_e32 v32, 26, v0
	v_cmp_ne_u32_e32 vcc_lo, 0, v6
	v_ashrrev_i32_e32 v6, 31, v34
	v_lshlrev_b32_e32 v33, 25, v0
	v_ashrrev_i32_e32 v3, 31, v3
	v_and_b32_e32 v1, 0xff, v0
	v_xor_b32_e32 v2, vcc_lo, v2
	v_cmp_gt_i32_e32 vcc_lo, 0, v4
	v_not_b32_e32 v4, v5
	v_xor_b32_e32 v6, s11, v6
	v_cmp_gt_i32_e64 s11, 0, v5
	v_and_b32_e32 v2, exec_lo, v2
	v_not_b32_e32 v5, v7
	v_ashrrev_i32_e32 v4, 31, v4
	v_xor_b32_e32 v3, vcc_lo, v3
	v_cmp_gt_i32_e32 vcc_lo, 0, v7
	v_and_b32_e32 v2, v2, v6
	v_not_b32_e32 v6, v32
	v_ashrrev_i32_e32 v5, 31, v5
	v_xor_b32_e32 v4, s11, v4
	v_lshlrev_b32_e32 v0, 24, v0
	v_and_b32_e32 v2, v2, v3
	v_cmp_gt_i32_e64 s11, 0, v32
	v_not_b32_e32 v3, v33
	v_ashrrev_i32_e32 v6, 31, v6
	v_xor_b32_e32 v5, vcc_lo, v5
	v_and_b32_e32 v2, v2, v4
	v_cmp_gt_i32_e32 vcc_lo, 0, v33
	v_not_b32_e32 v4, v0
	v_ashrrev_i32_e32 v3, 31, v3
	v_xor_b32_e32 v6, s11, v6
	v_and_b32_e32 v2, v2, v5
	v_lshlrev_b32_e32 v1, 1, v1
	v_cmp_gt_i32_e64 s11, 0, v0
	v_ashrrev_i32_e32 v0, 31, v4
	v_xor_b32_e32 v3, vcc_lo, v3
	v_and_b32_e32 v2, v2, v6
	v_add_lshl_u32 v1, v1, v23, 2
	s_delay_alu instid0(VALU_DEP_4) | instskip(NEXT) | instid1(VALU_DEP_3)
	v_xor_b32_e32 v0, s11, v0
	v_and_b32_e32 v2, v2, v3
	ds_load_b32 v32, v1 offset:8
	v_add_nc_u32_e32 v34, 8, v1
	; wave barrier
	v_and_b32_e32 v0, v2, v0
	s_delay_alu instid0(VALU_DEP_1) | instskip(SKIP_1) | instid1(VALU_DEP_2)
	v_mbcnt_lo_u32_b32 v33, v0, 0
	v_cmp_ne_u32_e64 s11, 0, v0
	v_cmp_eq_u32_e32 vcc_lo, 0, v33
	s_delay_alu instid0(VALU_DEP_2) | instskip(NEXT) | instid1(SALU_CYCLE_1)
	s_and_b32 s16, s11, vcc_lo
	s_and_saveexec_b32 s11, s16
	s_cbranch_execz .LBB98_8
; %bb.7:                                ;   in Loop: Header=BB98_4 Depth=2
	s_waitcnt lgkmcnt(0)
	v_bcnt_u32_b32 v0, v0, v32
	ds_store_b32 v34, v0
.LBB98_8:                               ;   in Loop: Header=BB98_4 Depth=2
	s_or_b32 exec_lo, exec_lo, s11
	v_lshrrev_b64 v[0:1], s14, v[15:16]
	; wave barrier
	s_delay_alu instid0(VALU_DEP_1)
	v_and_b32_e32 v2, 1, v0
	v_lshlrev_b32_e32 v3, 30, v0
	v_lshlrev_b32_e32 v4, 29, v0
	;; [unrolled: 1-line block ×4, first 2 shown]
	v_add_co_u32 v2, s11, v2, -1
	s_delay_alu instid0(VALU_DEP_1)
	v_cndmask_b32_e64 v6, 0, 1, s11
	v_not_b32_e32 v37, v3
	v_cmp_gt_i32_e64 s11, 0, v3
	v_not_b32_e32 v3, v4
	v_lshlrev_b32_e32 v35, 26, v0
	v_cmp_ne_u32_e32 vcc_lo, 0, v6
	v_ashrrev_i32_e32 v6, 31, v37
	v_lshlrev_b32_e32 v36, 25, v0
	v_ashrrev_i32_e32 v3, 31, v3
	v_and_b32_e32 v1, 0xff, v0
	v_xor_b32_e32 v2, vcc_lo, v2
	v_cmp_gt_i32_e32 vcc_lo, 0, v4
	v_not_b32_e32 v4, v5
	v_xor_b32_e32 v6, s11, v6
	v_cmp_gt_i32_e64 s11, 0, v5
	v_and_b32_e32 v2, exec_lo, v2
	v_not_b32_e32 v5, v7
	v_ashrrev_i32_e32 v4, 31, v4
	v_xor_b32_e32 v3, vcc_lo, v3
	v_cmp_gt_i32_e32 vcc_lo, 0, v7
	v_and_b32_e32 v2, v2, v6
	v_not_b32_e32 v6, v35
	v_ashrrev_i32_e32 v5, 31, v5
	v_xor_b32_e32 v4, s11, v4
	v_lshlrev_b32_e32 v0, 24, v0
	v_and_b32_e32 v2, v2, v3
	v_cmp_gt_i32_e64 s11, 0, v35
	v_not_b32_e32 v3, v36
	v_ashrrev_i32_e32 v6, 31, v6
	v_xor_b32_e32 v5, vcc_lo, v5
	v_and_b32_e32 v2, v2, v4
	v_cmp_gt_i32_e32 vcc_lo, 0, v36
	v_not_b32_e32 v4, v0
	v_ashrrev_i32_e32 v3, 31, v3
	v_xor_b32_e32 v6, s11, v6
	v_and_b32_e32 v2, v2, v5
	v_lshlrev_b32_e32 v1, 1, v1
	v_cmp_gt_i32_e64 s11, 0, v0
	v_ashrrev_i32_e32 v0, 31, v4
	v_xor_b32_e32 v3, vcc_lo, v3
	v_and_b32_e32 v2, v2, v6
	v_add_lshl_u32 v1, v1, v23, 2
	s_delay_alu instid0(VALU_DEP_4) | instskip(NEXT) | instid1(VALU_DEP_3)
	v_xor_b32_e32 v0, s11, v0
	v_and_b32_e32 v2, v2, v3
	ds_load_b32 v35, v1 offset:8
	v_add_nc_u32_e32 v37, 8, v1
	; wave barrier
	v_and_b32_e32 v0, v2, v0
	s_delay_alu instid0(VALU_DEP_1) | instskip(SKIP_1) | instid1(VALU_DEP_2)
	v_mbcnt_lo_u32_b32 v36, v0, 0
	v_cmp_ne_u32_e64 s11, 0, v0
	v_cmp_eq_u32_e32 vcc_lo, 0, v36
	s_delay_alu instid0(VALU_DEP_2) | instskip(NEXT) | instid1(SALU_CYCLE_1)
	s_and_b32 s16, s11, vcc_lo
	s_and_saveexec_b32 s11, s16
	s_cbranch_execz .LBB98_10
; %bb.9:                                ;   in Loop: Header=BB98_4 Depth=2
	s_waitcnt lgkmcnt(0)
	v_bcnt_u32_b32 v0, v0, v35
	ds_store_b32 v37, v0
.LBB98_10:                              ;   in Loop: Header=BB98_4 Depth=2
	s_or_b32 exec_lo, exec_lo, s11
	; wave barrier
	s_waitcnt lgkmcnt(0)
	s_barrier
	buffer_gl0_inv
	ds_load_2addr_b64 v[4:7], v19 offset0:1 offset1:2
	ds_load_2addr_b64 v[0:3], v22 offset0:2 offset1:3
	s_waitcnt lgkmcnt(1)
	v_add_nc_u32_e32 v38, v5, v4
	s_delay_alu instid0(VALU_DEP_1) | instskip(SKIP_1) | instid1(VALU_DEP_1)
	v_add3_u32 v38, v38, v6, v7
	s_waitcnt lgkmcnt(0)
	v_add3_u32 v38, v38, v0, v1
	s_delay_alu instid0(VALU_DEP_1) | instskip(NEXT) | instid1(VALU_DEP_1)
	v_add3_u32 v3, v38, v2, v3
	v_mov_b32_dpp v38, v3 row_shr:1 row_mask:0xf bank_mask:0xf
	s_delay_alu instid0(VALU_DEP_1) | instskip(NEXT) | instid1(VALU_DEP_1)
	v_cndmask_b32_e64 v38, v38, 0, s0
	v_add_nc_u32_e32 v3, v38, v3
	s_delay_alu instid0(VALU_DEP_1) | instskip(NEXT) | instid1(VALU_DEP_1)
	v_mov_b32_dpp v38, v3 row_shr:2 row_mask:0xf bank_mask:0xf
	v_cndmask_b32_e64 v38, 0, v38, s1
	s_delay_alu instid0(VALU_DEP_1) | instskip(NEXT) | instid1(VALU_DEP_1)
	v_add_nc_u32_e32 v3, v3, v38
	v_mov_b32_dpp v38, v3 row_shr:4 row_mask:0xf bank_mask:0xf
	s_delay_alu instid0(VALU_DEP_1) | instskip(NEXT) | instid1(VALU_DEP_1)
	v_cndmask_b32_e64 v38, 0, v38, s2
	v_add_nc_u32_e32 v3, v3, v38
	s_delay_alu instid0(VALU_DEP_1) | instskip(NEXT) | instid1(VALU_DEP_1)
	v_mov_b32_dpp v38, v3 row_shr:8 row_mask:0xf bank_mask:0xf
	v_cndmask_b32_e64 v38, 0, v38, s3
	s_delay_alu instid0(VALU_DEP_1) | instskip(SKIP_3) | instid1(VALU_DEP_1)
	v_add_nc_u32_e32 v3, v3, v38
	ds_swizzle_b32 v38, v3 offset:swizzle(BROADCAST,32,15)
	s_waitcnt lgkmcnt(0)
	v_cndmask_b32_e64 v38, v38, 0, s4
	v_add_nc_u32_e32 v3, v3, v38
	s_and_saveexec_b32 s11, s5
	s_cbranch_execz .LBB98_12
; %bb.11:                               ;   in Loop: Header=BB98_4 Depth=2
	ds_store_b32 v25, v3
.LBB98_12:                              ;   in Loop: Header=BB98_4 Depth=2
	s_or_b32 exec_lo, exec_lo, s11
	s_waitcnt lgkmcnt(0)
	s_barrier
	buffer_gl0_inv
	s_and_saveexec_b32 s11, s6
	s_cbranch_execz .LBB98_14
; %bb.13:                               ;   in Loop: Header=BB98_4 Depth=2
	ds_load_b32 v38, v26
	s_waitcnt lgkmcnt(0)
	v_mov_b32_dpp v39, v38 row_shr:1 row_mask:0xf bank_mask:0xf
	s_delay_alu instid0(VALU_DEP_1) | instskip(NEXT) | instid1(VALU_DEP_1)
	v_cndmask_b32_e64 v39, v39, 0, s10
	v_add_nc_u32_e32 v38, v39, v38
	ds_store_b32 v26, v38
.LBB98_14:                              ;   in Loop: Header=BB98_4 Depth=2
	s_or_b32 exec_lo, exec_lo, s11
	v_mov_b32_e32 v38, 0
	s_waitcnt lgkmcnt(0)
	s_barrier
	buffer_gl0_inv
	s_and_saveexec_b32 s11, s7
	s_cbranch_execz .LBB98_16
; %bb.15:                               ;   in Loop: Header=BB98_4 Depth=2
	ds_load_b32 v38, v27
.LBB98_16:                              ;   in Loop: Header=BB98_4 Depth=2
	s_or_b32 exec_lo, exec_lo, s11
	s_waitcnt lgkmcnt(0)
	v_add_nc_u32_e32 v3, v38, v3
	s_cmp_gt_u32 s14, 55
	ds_bpermute_b32 v3, v24, v3
	s_waitcnt lgkmcnt(0)
	v_cndmask_b32_e64 v3, v3, v38, s8
	s_delay_alu instid0(VALU_DEP_1) | instskip(NEXT) | instid1(VALU_DEP_1)
	v_cndmask_b32_e64 v3, v3, 0, s9
	v_add_nc_u32_e32 v4, v3, v4
	s_delay_alu instid0(VALU_DEP_1) | instskip(NEXT) | instid1(VALU_DEP_1)
	v_add_nc_u32_e32 v5, v4, v5
	v_add_nc_u32_e32 v6, v5, v6
	s_delay_alu instid0(VALU_DEP_1) | instskip(NEXT) | instid1(VALU_DEP_1)
	v_add_nc_u32_e32 v38, v6, v7
	;; [unrolled: 3-line block ×3, first 2 shown]
	v_add_nc_u32_e32 v1, v0, v2
	ds_store_2addr_b64 v19, v[3:4], v[5:6] offset0:1 offset1:2
	ds_store_2addr_b64 v22, v[38:39], v[0:1] offset0:2 offset1:3
	s_waitcnt lgkmcnt(0)
	s_barrier
	buffer_gl0_inv
	ds_load_b32 v0, v31
	ds_load_b32 v1, v34
	;; [unrolled: 1-line block ×3, first 2 shown]
	s_waitcnt lgkmcnt(2)
	v_add_nc_u32_e32 v30, v0, v30
	s_waitcnt lgkmcnt(1)
	v_add3_u32 v7, v33, v32, v1
	s_waitcnt lgkmcnt(0)
	v_add3_u32 v6, v36, v35, v2
	s_cbranch_scc0 .LBB98_3
; %bb.17:                               ;   in Loop: Header=BB98_2 Depth=1
                                        ; implicit-def: $vgpr4_vgpr5
                                        ; implicit-def: $vgpr2_vgpr3
                                        ; implicit-def: $sgpr14_sgpr15
	s_branch .LBB98_1
.LBB98_18:
	v_lshlrev_b32_e32 v0, 3, v8
	s_add_u32 s0, s18, s12
	s_addc_u32 s1, s19, s13
	s_clause 0x2
	global_store_b64 v0, v[1:2], s[0:1]
	global_store_b64 v0, v[3:4], s[0:1] offset:512
	global_store_b64 v0, v[5:6], s[0:1] offset:1024
	s_nop 0
	s_sendmsg sendmsg(MSG_DEALLOC_VGPRS)
	s_endpgm
	.section	.rodata,"a",@progbits
	.p2align	6, 0x0
	.amdhsa_kernel _Z16sort_keys_kernelI22helper_blocked_blockedxLj64ELj3ELj10EEvPKT0_PS1_
		.amdhsa_group_segment_fixed_size 2064
		.amdhsa_private_segment_fixed_size 0
		.amdhsa_kernarg_size 272
		.amdhsa_user_sgpr_count 15
		.amdhsa_user_sgpr_dispatch_ptr 0
		.amdhsa_user_sgpr_queue_ptr 0
		.amdhsa_user_sgpr_kernarg_segment_ptr 1
		.amdhsa_user_sgpr_dispatch_id 0
		.amdhsa_user_sgpr_private_segment_size 0
		.amdhsa_wavefront_size32 1
		.amdhsa_uses_dynamic_stack 0
		.amdhsa_enable_private_segment 0
		.amdhsa_system_sgpr_workgroup_id_x 1
		.amdhsa_system_sgpr_workgroup_id_y 0
		.amdhsa_system_sgpr_workgroup_id_z 0
		.amdhsa_system_sgpr_workgroup_info 0
		.amdhsa_system_vgpr_workitem_id 2
		.amdhsa_next_free_vgpr 40
		.amdhsa_next_free_sgpr 22
		.amdhsa_reserve_vcc 1
		.amdhsa_float_round_mode_32 0
		.amdhsa_float_round_mode_16_64 0
		.amdhsa_float_denorm_mode_32 3
		.amdhsa_float_denorm_mode_16_64 3
		.amdhsa_dx10_clamp 1
		.amdhsa_ieee_mode 1
		.amdhsa_fp16_overflow 0
		.amdhsa_workgroup_processor_mode 1
		.amdhsa_memory_ordered 1
		.amdhsa_forward_progress 0
		.amdhsa_shared_vgpr_count 0
		.amdhsa_exception_fp_ieee_invalid_op 0
		.amdhsa_exception_fp_denorm_src 0
		.amdhsa_exception_fp_ieee_div_zero 0
		.amdhsa_exception_fp_ieee_overflow 0
		.amdhsa_exception_fp_ieee_underflow 0
		.amdhsa_exception_fp_ieee_inexact 0
		.amdhsa_exception_int_div_zero 0
	.end_amdhsa_kernel
	.section	.text._Z16sort_keys_kernelI22helper_blocked_blockedxLj64ELj3ELj10EEvPKT0_PS1_,"axG",@progbits,_Z16sort_keys_kernelI22helper_blocked_blockedxLj64ELj3ELj10EEvPKT0_PS1_,comdat
.Lfunc_end98:
	.size	_Z16sort_keys_kernelI22helper_blocked_blockedxLj64ELj3ELj10EEvPKT0_PS1_, .Lfunc_end98-_Z16sort_keys_kernelI22helper_blocked_blockedxLj64ELj3ELj10EEvPKT0_PS1_
                                        ; -- End function
	.section	.AMDGPU.csdata,"",@progbits
; Kernel info:
; codeLenInByte = 2348
; NumSgprs: 24
; NumVgprs: 40
; ScratchSize: 0
; MemoryBound: 0
; FloatMode: 240
; IeeeMode: 1
; LDSByteSize: 2064 bytes/workgroup (compile time only)
; SGPRBlocks: 2
; VGPRBlocks: 4
; NumSGPRsForWavesPerEU: 24
; NumVGPRsForWavesPerEU: 40
; Occupancy: 16
; WaveLimiterHint : 1
; COMPUTE_PGM_RSRC2:SCRATCH_EN: 0
; COMPUTE_PGM_RSRC2:USER_SGPR: 15
; COMPUTE_PGM_RSRC2:TRAP_HANDLER: 0
; COMPUTE_PGM_RSRC2:TGID_X_EN: 1
; COMPUTE_PGM_RSRC2:TGID_Y_EN: 0
; COMPUTE_PGM_RSRC2:TGID_Z_EN: 0
; COMPUTE_PGM_RSRC2:TIDIG_COMP_CNT: 2
	.section	.text._Z17sort_pairs_kernelI22helper_blocked_blockedxLj64ELj3ELj10EEvPKT0_PS1_,"axG",@progbits,_Z17sort_pairs_kernelI22helper_blocked_blockedxLj64ELj3ELj10EEvPKT0_PS1_,comdat
	.protected	_Z17sort_pairs_kernelI22helper_blocked_blockedxLj64ELj3ELj10EEvPKT0_PS1_ ; -- Begin function _Z17sort_pairs_kernelI22helper_blocked_blockedxLj64ELj3ELj10EEvPKT0_PS1_
	.globl	_Z17sort_pairs_kernelI22helper_blocked_blockedxLj64ELj3ELj10EEvPKT0_PS1_
	.p2align	8
	.type	_Z17sort_pairs_kernelI22helper_blocked_blockedxLj64ELj3ELj10EEvPKT0_PS1_,@function
_Z17sort_pairs_kernelI22helper_blocked_blockedxLj64ELj3ELj10EEvPKT0_PS1_: ; @_Z17sort_pairs_kernelI22helper_blocked_blockedxLj64ELj3ELj10EEvPKT0_PS1_
; %bb.0:
	s_clause 0x1
	s_load_b128 s[16:19], s[0:1], 0x0
	s_load_b32 s10, s[0:1], 0x1c
	v_and_b32_e32 v9, 0x3ff, v0
	s_mov_b32 s21, 0
	s_mul_i32 s20, s15, 0xc0
	v_mbcnt_lo_u32_b32 v7, -1, 0
	s_lshl_b64 s[12:13], s[20:21], 3
	s_mov_b32 s20, s21
	s_delay_alu instid0(SALU_CYCLE_1) | instskip(NEXT) | instid1(VALU_DEP_2)
	v_dual_mov_b32 v12, s20 :: v_dual_lshlrev_b32 v5, 3, v9
	v_add_nc_u32_e32 v16, -1, v7
	v_dual_mov_b32 v13, s21 :: v_dual_and_b32 v8, 16, v7
	v_and_b32_e32 v17, 1, v7
	v_and_b32_e32 v6, 15, v7
	s_delay_alu instid0(VALU_DEP_4) | instskip(NEXT) | instid1(VALU_DEP_4)
	v_cmp_gt_i32_e32 vcc_lo, 0, v16
	v_cmp_eq_u32_e64 s5, 0, v8
	s_delay_alu instid0(VALU_DEP_4) | instskip(NEXT) | instid1(VALU_DEP_4)
	v_cmp_eq_u32_e64 s9, 0, v17
	v_cmp_lt_u32_e64 s2, 1, v6
	s_waitcnt lgkmcnt(0)
	s_add_u32 s0, s16, s12
	s_addc_u32 s1, s17, s13
	s_clause 0x2
	global_load_b64 v[1:2], v5, s[0:1]
	global_load_b64 v[3:4], v5, s[0:1] offset:512
	global_load_b64 v[14:15], v5, s[0:1] offset:1024
	s_mov_b32 s1, s21
	s_mov_b32 s0, s21
	v_mov_b32_e32 v11, s1
	v_bfe_u32 v5, v0, 10, 10
	v_bfe_u32 v0, v0, 20, 10
	s_lshr_b32 s11, s10, 16
	v_mov_b32_e32 v10, s0
	v_lshrrev_b32_e32 v18, 5, v9
	v_cmp_eq_u32_e64 s1, 0, v6
	v_cmp_lt_u32_e64 s3, 3, v6
	v_cmp_lt_u32_e64 s4, 7, v6
	v_and_b32_e32 v6, 32, v9
	v_dual_cndmask_b32 v8, v16, v7 :: v_dual_lshlrev_b32 v33, 2, v18
	v_mad_u32_u24 v0, v0, s11, v5
	s_and_b32 s10, s10, 0xffff
	s_delay_alu instid0(VALU_DEP_3) | instskip(NEXT) | instid1(VALU_DEP_3)
	v_or_b32_e32 v17, 31, v6
	v_lshlrev_b32_e32 v32, 2, v8
	v_mul_u32_u24_e32 v8, 3, v6
	v_mad_u64_u32 v[5:6], null, v0, s10, v[9:10]
	v_mul_u32_u24_e32 v16, 0x60, v18
	v_lshlrev_b32_e32 v30, 5, v9
	s_delay_alu instid0(VALU_DEP_4)
	v_or_b32_e32 v6, v7, v8
	v_cmp_eq_u32_e64 s0, 0, v7
	v_mul_u32_u24_e32 v19, 20, v9
	v_lshlrev_b32_e32 v18, 3, v16
	v_lshrrev_b32_e32 v39, 5, v5
	v_lshlrev_b32_e32 v38, 3, v6
	v_mad_i32_i24 v34, 0xffffffe4, v9, v30
	v_or_b32_e32 v0, v7, v16
	v_mad_u32_u24 v36, v7, 24, v18
	v_cmp_gt_u32_e64 s6, 2, v9
	v_cmp_lt_u32_e64 s7, 31, v9
	v_cmp_eq_u32_e64 s8, 0, v9
	v_or_b32_e32 v31, 8, v30
	v_cmp_eq_u32_e64 s10, v17, v9
	v_add_nc_u32_e32 v35, -4, v33
	v_lshlrev_b32_e32 v37, 3, v0
	v_add_nc_u32_e32 v40, v34, v19
	s_waitcnt vmcnt(2)
	v_add_co_u32 v5, vcc_lo, v1, 1
	v_add_co_ci_u32_e32 v6, vcc_lo, 0, v2, vcc_lo
	s_waitcnt vmcnt(1)
	v_add_co_u32 v7, vcc_lo, v3, 1
	v_add_co_ci_u32_e32 v8, vcc_lo, 0, v4, vcc_lo
	;; [unrolled: 3-line block ×3, first 2 shown]
	s_branch .LBB99_2
.LBB99_1:                               ;   in Loop: Header=BB99_2 Depth=1
	v_lshlrev_b32_e32 v0, 3, v44
	v_lshlrev_b32_e32 v5, 3, v43
	;; [unrolled: 1-line block ×3, first 2 shown]
	s_barrier
	buffer_gl0_inv
	ds_store_b64 v0, v[14:15]
	ds_store_b64 v5, v[24:25]
	;; [unrolled: 1-line block ×3, first 2 shown]
	s_waitcnt lgkmcnt(0)
	s_barrier
	buffer_gl0_inv
	ds_load_2addr_b64 v[1:4], v40 offset1:1
	ds_load_b64 v[14:15], v40 offset:16
	s_waitcnt lgkmcnt(0)
	s_barrier
	buffer_gl0_inv
	ds_store_b64 v0, v[20:21]
	ds_store_b64 v5, v[18:19]
	;; [unrolled: 1-line block ×3, first 2 shown]
	s_waitcnt lgkmcnt(0)
	s_barrier
	buffer_gl0_inv
	ds_load_2addr_b64 v[5:8], v40 offset1:1
	ds_load_b64 v[16:17], v40 offset:16
	s_add_i32 s21, s21, 1
	s_delay_alu instid0(SALU_CYCLE_1)
	s_cmp_eq_u32 s21, 10
	v_xor_b32_e32 v2, 0x80000000, v2
	v_xor_b32_e32 v4, 0x80000000, v4
	;; [unrolled: 1-line block ×3, first 2 shown]
	s_cbranch_scc1 .LBB99_18
.LBB99_2:                               ; =>This Loop Header: Depth=1
                                        ;     Child Loop BB99_4 Depth 2
	s_delay_alu instid0(VALU_DEP_3) | instskip(NEXT) | instid1(VALU_DEP_3)
	v_xor_b32_e32 v2, 0x80000000, v2
	v_xor_b32_e32 v4, 0x80000000, v4
	s_delay_alu instid0(VALU_DEP_3)
	v_xor_b32_e32 v15, 0x80000000, v15
	s_mov_b64 s[14:15], 0
	ds_store_2addr_b64 v36, v[1:2], v[3:4] offset1:1
	ds_store_b64 v36, v[14:15] offset:16
	; wave barrier
	ds_load_2addr_b64 v[0:3], v37 offset1:32
	ds_load_b64 v[26:27], v37 offset:512
	; wave barrier
	s_waitcnt lgkmcnt(5)
	ds_store_2addr_b64 v36, v[5:6], v[7:8] offset1:1
	s_waitcnt lgkmcnt(5)
	ds_store_b64 v36, v[16:17] offset:16
	; wave barrier
	ds_load_2addr_b64 v[4:7], v37 offset1:32
	ds_load_b64 v[28:29], v37 offset:512
	s_waitcnt lgkmcnt(0)
	s_barrier
	s_branch .LBB99_4
.LBB99_3:                               ;   in Loop: Header=BB99_4 Depth=2
	v_lshlrev_b32_e32 v4, 3, v44
	v_lshlrev_b32_e32 v5, 3, v43
	s_delay_alu instid0(VALU_DEP_3)
	v_lshlrev_b32_e32 v6, 3, v8
	s_barrier
	buffer_gl0_inv
	ds_store_b64 v4, v[14:15]
	ds_store_b64 v5, v[24:25]
	;; [unrolled: 1-line block ×3, first 2 shown]
	s_waitcnt lgkmcnt(0)
	s_barrier
	buffer_gl0_inv
	ds_load_2addr_b64 v[0:3], v38 offset1:32
	ds_load_b64 v[26:27], v38 offset:512
	s_waitcnt lgkmcnt(0)
	s_barrier
	buffer_gl0_inv
	ds_store_b64 v4, v[20:21]
	ds_store_b64 v5, v[18:19]
	;; [unrolled: 1-line block ×3, first 2 shown]
	s_waitcnt lgkmcnt(0)
	s_barrier
	buffer_gl0_inv
	ds_load_2addr_b64 v[4:7], v38 offset1:32
	ds_load_b64 v[28:29], v38 offset:512
	s_add_u32 s14, s14, 8
	s_addc_u32 s15, s15, 0
	s_waitcnt lgkmcnt(0)
	s_barrier
	s_cbranch_execz .LBB99_1
.LBB99_4:                               ;   Parent Loop BB99_2 Depth=1
                                        ; =>  This Inner Loop Header: Depth=2
	v_dual_mov_b32 v15, v1 :: v_dual_mov_b32 v14, v0
	buffer_gl0_inv
	ds_store_2addr_b64 v30, v[12:13], v[10:11] offset0:1 offset1:2
	ds_store_2addr_b64 v31, v[12:13], v[10:11] offset0:2 offset1:3
	s_waitcnt lgkmcnt(0)
	s_barrier
	v_lshrrev_b64 v[41:42], s14, v[14:15]
	buffer_gl0_inv
	; wave barrier
	v_dual_mov_b32 v22, v26 :: v_dual_mov_b32 v25, v3
	v_dual_mov_b32 v23, v27 :: v_dual_and_b32 v0, 1, v41
	v_lshlrev_b32_e32 v1, 30, v41
	v_lshlrev_b32_e32 v8, 29, v41
	;; [unrolled: 1-line block ×3, first 2 shown]
	s_delay_alu instid0(VALU_DEP_4) | instskip(NEXT) | instid1(VALU_DEP_1)
	v_add_co_u32 v0, s11, v0, -1
	v_cndmask_b32_e64 v17, 0, 1, s11
	v_not_b32_e32 v21, v1
	v_cmp_gt_i32_e64 s11, 0, v1
	v_not_b32_e32 v1, v8
	v_lshlrev_b32_e32 v18, 27, v41
	v_cmp_ne_u32_e32 vcc_lo, 0, v17
	v_ashrrev_i32_e32 v21, 31, v21
	v_dual_mov_b32 v24, v2 :: v_dual_lshlrev_b32 v19, 26, v41
	v_ashrrev_i32_e32 v1, 31, v1
	v_xor_b32_e32 v0, vcc_lo, v0
	v_cmp_gt_i32_e32 vcc_lo, 0, v8
	v_not_b32_e32 v8, v16
	v_xor_b32_e32 v21, s11, v21
	v_cmp_gt_i32_e64 s11, 0, v16
	v_and_b32_e32 v0, exec_lo, v0
	v_not_b32_e32 v16, v18
	v_ashrrev_i32_e32 v8, 31, v8
	v_xor_b32_e32 v1, vcc_lo, v1
	v_cmp_gt_i32_e32 vcc_lo, 0, v18
	v_and_b32_e32 v0, v0, v21
	v_not_b32_e32 v18, v19
	v_ashrrev_i32_e32 v16, 31, v16
	v_xor_b32_e32 v8, s11, v8
	v_cmp_gt_i32_e64 s11, 0, v19
	v_and_b32_e32 v0, v0, v1
	v_ashrrev_i32_e32 v18, 31, v18
	v_xor_b32_e32 v16, vcc_lo, v16
	v_lshlrev_b32_e32 v20, 25, v41
	v_lshlrev_b32_e32 v17, 24, v41
	v_and_b32_e32 v0, v0, v8
	v_xor_b32_e32 v18, s11, v18
	s_delay_alu instid0(VALU_DEP_2) | instskip(NEXT) | instid1(VALU_DEP_1)
	v_and_b32_e32 v0, v0, v16
	v_dual_mov_b32 v19, v7 :: v_dual_and_b32 v0, v0, v18
	v_mov_b32_e32 v18, v6
	v_not_b32_e32 v1, v20
	v_cmp_gt_i32_e32 vcc_lo, 0, v20
	v_not_b32_e32 v8, v17
	v_cmp_gt_i32_e64 s11, 0, v17
	v_mov_b32_e32 v16, v28
	v_ashrrev_i32_e32 v1, 31, v1
	v_mov_b32_e32 v21, v5
	v_ashrrev_i32_e32 v8, 31, v8
	v_dual_mov_b32 v17, v29 :: v_dual_mov_b32 v20, v4
	s_delay_alu instid0(VALU_DEP_4) | instskip(NEXT) | instid1(VALU_DEP_3)
	v_xor_b32_e32 v1, vcc_lo, v1
	v_xor_b32_e32 v8, s11, v8
	s_delay_alu instid0(VALU_DEP_2) | instskip(SKIP_1) | instid1(VALU_DEP_2)
	v_and_b32_e32 v0, v0, v1
	v_and_b32_e32 v1, 0xff, v41
	;; [unrolled: 1-line block ×3, first 2 shown]
	s_delay_alu instid0(VALU_DEP_2) | instskip(NEXT) | instid1(VALU_DEP_2)
	v_lshl_add_u32 v1, v1, 1, v39
	v_mbcnt_lo_u32_b32 v8, v0, 0
	v_cmp_ne_u32_e64 s11, 0, v0
	s_delay_alu instid0(VALU_DEP_3) | instskip(NEXT) | instid1(VALU_DEP_3)
	v_lshl_add_u32 v26, v1, 2, 8
	v_cmp_eq_u32_e32 vcc_lo, 0, v8
	s_delay_alu instid0(VALU_DEP_3) | instskip(NEXT) | instid1(SALU_CYCLE_1)
	s_and_b32 s16, s11, vcc_lo
	s_and_saveexec_b32 s11, s16
	s_cbranch_execz .LBB99_6
; %bb.5:                                ;   in Loop: Header=BB99_4 Depth=2
	v_bcnt_u32_b32 v0, v0, 0
	ds_store_b32 v26, v0
.LBB99_6:                               ;   in Loop: Header=BB99_4 Depth=2
	s_or_b32 exec_lo, exec_lo, s11
	v_lshrrev_b64 v[0:1], s14, v[24:25]
	; wave barrier
	s_delay_alu instid0(VALU_DEP_1)
	v_and_b32_e32 v2, 1, v0
	v_lshlrev_b32_e32 v3, 30, v0
	v_lshlrev_b32_e32 v4, 29, v0
	;; [unrolled: 1-line block ×4, first 2 shown]
	v_add_co_u32 v2, s11, v2, -1
	s_delay_alu instid0(VALU_DEP_1)
	v_cndmask_b32_e64 v6, 0, 1, s11
	v_not_b32_e32 v29, v3
	v_cmp_gt_i32_e64 s11, 0, v3
	v_not_b32_e32 v3, v4
	v_lshlrev_b32_e32 v27, 26, v0
	v_cmp_ne_u32_e32 vcc_lo, 0, v6
	v_ashrrev_i32_e32 v6, 31, v29
	v_lshlrev_b32_e32 v28, 25, v0
	v_ashrrev_i32_e32 v3, 31, v3
	v_and_b32_e32 v1, 0xff, v0
	v_xor_b32_e32 v2, vcc_lo, v2
	v_cmp_gt_i32_e32 vcc_lo, 0, v4
	v_not_b32_e32 v4, v5
	v_xor_b32_e32 v6, s11, v6
	v_cmp_gt_i32_e64 s11, 0, v5
	v_and_b32_e32 v2, exec_lo, v2
	v_not_b32_e32 v5, v7
	v_ashrrev_i32_e32 v4, 31, v4
	v_xor_b32_e32 v3, vcc_lo, v3
	v_cmp_gt_i32_e32 vcc_lo, 0, v7
	v_and_b32_e32 v2, v2, v6
	v_not_b32_e32 v6, v27
	v_ashrrev_i32_e32 v5, 31, v5
	v_xor_b32_e32 v4, s11, v4
	v_lshlrev_b32_e32 v0, 24, v0
	v_and_b32_e32 v2, v2, v3
	v_cmp_gt_i32_e64 s11, 0, v27
	v_not_b32_e32 v3, v28
	v_ashrrev_i32_e32 v6, 31, v6
	v_xor_b32_e32 v5, vcc_lo, v5
	v_and_b32_e32 v2, v2, v4
	v_cmp_gt_i32_e32 vcc_lo, 0, v28
	v_not_b32_e32 v4, v0
	v_ashrrev_i32_e32 v3, 31, v3
	v_xor_b32_e32 v6, s11, v6
	v_and_b32_e32 v2, v2, v5
	v_lshlrev_b32_e32 v1, 1, v1
	v_cmp_gt_i32_e64 s11, 0, v0
	v_ashrrev_i32_e32 v0, 31, v4
	v_xor_b32_e32 v3, vcc_lo, v3
	v_and_b32_e32 v2, v2, v6
	v_add_lshl_u32 v1, v1, v39, 2
	s_delay_alu instid0(VALU_DEP_4) | instskip(NEXT) | instid1(VALU_DEP_3)
	v_xor_b32_e32 v0, s11, v0
	v_and_b32_e32 v2, v2, v3
	ds_load_b32 v27, v1 offset:8
	v_add_nc_u32_e32 v29, 8, v1
	; wave barrier
	v_and_b32_e32 v0, v2, v0
	s_delay_alu instid0(VALU_DEP_1) | instskip(SKIP_1) | instid1(VALU_DEP_2)
	v_mbcnt_lo_u32_b32 v28, v0, 0
	v_cmp_ne_u32_e64 s11, 0, v0
	v_cmp_eq_u32_e32 vcc_lo, 0, v28
	s_delay_alu instid0(VALU_DEP_2) | instskip(NEXT) | instid1(SALU_CYCLE_1)
	s_and_b32 s16, s11, vcc_lo
	s_and_saveexec_b32 s11, s16
	s_cbranch_execz .LBB99_8
; %bb.7:                                ;   in Loop: Header=BB99_4 Depth=2
	s_waitcnt lgkmcnt(0)
	v_bcnt_u32_b32 v0, v0, v27
	ds_store_b32 v29, v0
.LBB99_8:                               ;   in Loop: Header=BB99_4 Depth=2
	s_or_b32 exec_lo, exec_lo, s11
	v_lshrrev_b64 v[0:1], s14, v[22:23]
	; wave barrier
	s_delay_alu instid0(VALU_DEP_1)
	v_and_b32_e32 v2, 1, v0
	v_lshlrev_b32_e32 v3, 30, v0
	v_lshlrev_b32_e32 v4, 29, v0
	;; [unrolled: 1-line block ×4, first 2 shown]
	v_add_co_u32 v2, s11, v2, -1
	s_delay_alu instid0(VALU_DEP_1)
	v_cndmask_b32_e64 v6, 0, 1, s11
	v_not_b32_e32 v43, v3
	v_cmp_gt_i32_e64 s11, 0, v3
	v_not_b32_e32 v3, v4
	v_lshlrev_b32_e32 v41, 26, v0
	v_cmp_ne_u32_e32 vcc_lo, 0, v6
	v_ashrrev_i32_e32 v6, 31, v43
	v_lshlrev_b32_e32 v42, 25, v0
	v_ashrrev_i32_e32 v3, 31, v3
	v_and_b32_e32 v1, 0xff, v0
	v_xor_b32_e32 v2, vcc_lo, v2
	v_cmp_gt_i32_e32 vcc_lo, 0, v4
	v_not_b32_e32 v4, v5
	v_xor_b32_e32 v6, s11, v6
	v_cmp_gt_i32_e64 s11, 0, v5
	v_and_b32_e32 v2, exec_lo, v2
	v_not_b32_e32 v5, v7
	v_ashrrev_i32_e32 v4, 31, v4
	v_xor_b32_e32 v3, vcc_lo, v3
	v_cmp_gt_i32_e32 vcc_lo, 0, v7
	v_and_b32_e32 v2, v2, v6
	v_not_b32_e32 v6, v41
	v_ashrrev_i32_e32 v5, 31, v5
	v_xor_b32_e32 v4, s11, v4
	v_lshlrev_b32_e32 v0, 24, v0
	v_and_b32_e32 v2, v2, v3
	v_cmp_gt_i32_e64 s11, 0, v41
	v_not_b32_e32 v3, v42
	v_ashrrev_i32_e32 v6, 31, v6
	v_xor_b32_e32 v5, vcc_lo, v5
	v_and_b32_e32 v2, v2, v4
	v_cmp_gt_i32_e32 vcc_lo, 0, v42
	v_not_b32_e32 v4, v0
	v_ashrrev_i32_e32 v3, 31, v3
	v_xor_b32_e32 v6, s11, v6
	v_and_b32_e32 v2, v2, v5
	v_lshlrev_b32_e32 v1, 1, v1
	v_cmp_gt_i32_e64 s11, 0, v0
	v_ashrrev_i32_e32 v0, 31, v4
	v_xor_b32_e32 v3, vcc_lo, v3
	v_and_b32_e32 v2, v2, v6
	v_add_lshl_u32 v1, v1, v39, 2
	s_delay_alu instid0(VALU_DEP_4) | instskip(NEXT) | instid1(VALU_DEP_3)
	v_xor_b32_e32 v0, s11, v0
	v_and_b32_e32 v2, v2, v3
	ds_load_b32 v41, v1 offset:8
	v_add_nc_u32_e32 v43, 8, v1
	; wave barrier
	v_and_b32_e32 v0, v2, v0
	s_delay_alu instid0(VALU_DEP_1) | instskip(SKIP_1) | instid1(VALU_DEP_2)
	v_mbcnt_lo_u32_b32 v42, v0, 0
	v_cmp_ne_u32_e64 s11, 0, v0
	v_cmp_eq_u32_e32 vcc_lo, 0, v42
	s_delay_alu instid0(VALU_DEP_2) | instskip(NEXT) | instid1(SALU_CYCLE_1)
	s_and_b32 s16, s11, vcc_lo
	s_and_saveexec_b32 s11, s16
	s_cbranch_execz .LBB99_10
; %bb.9:                                ;   in Loop: Header=BB99_4 Depth=2
	s_waitcnt lgkmcnt(0)
	v_bcnt_u32_b32 v0, v0, v41
	ds_store_b32 v43, v0
.LBB99_10:                              ;   in Loop: Header=BB99_4 Depth=2
	s_or_b32 exec_lo, exec_lo, s11
	; wave barrier
	s_waitcnt lgkmcnt(0)
	s_barrier
	buffer_gl0_inv
	ds_load_2addr_b64 v[4:7], v30 offset0:1 offset1:2
	ds_load_2addr_b64 v[0:3], v31 offset0:2 offset1:3
	s_waitcnt lgkmcnt(1)
	v_add_nc_u32_e32 v44, v5, v4
	s_delay_alu instid0(VALU_DEP_1) | instskip(SKIP_1) | instid1(VALU_DEP_1)
	v_add3_u32 v44, v44, v6, v7
	s_waitcnt lgkmcnt(0)
	v_add3_u32 v44, v44, v0, v1
	s_delay_alu instid0(VALU_DEP_1) | instskip(NEXT) | instid1(VALU_DEP_1)
	v_add3_u32 v3, v44, v2, v3
	v_mov_b32_dpp v44, v3 row_shr:1 row_mask:0xf bank_mask:0xf
	s_delay_alu instid0(VALU_DEP_1) | instskip(NEXT) | instid1(VALU_DEP_1)
	v_cndmask_b32_e64 v44, v44, 0, s1
	v_add_nc_u32_e32 v3, v44, v3
	s_delay_alu instid0(VALU_DEP_1) | instskip(NEXT) | instid1(VALU_DEP_1)
	v_mov_b32_dpp v44, v3 row_shr:2 row_mask:0xf bank_mask:0xf
	v_cndmask_b32_e64 v44, 0, v44, s2
	s_delay_alu instid0(VALU_DEP_1) | instskip(NEXT) | instid1(VALU_DEP_1)
	v_add_nc_u32_e32 v3, v3, v44
	v_mov_b32_dpp v44, v3 row_shr:4 row_mask:0xf bank_mask:0xf
	s_delay_alu instid0(VALU_DEP_1) | instskip(NEXT) | instid1(VALU_DEP_1)
	v_cndmask_b32_e64 v44, 0, v44, s3
	v_add_nc_u32_e32 v3, v3, v44
	s_delay_alu instid0(VALU_DEP_1) | instskip(NEXT) | instid1(VALU_DEP_1)
	v_mov_b32_dpp v44, v3 row_shr:8 row_mask:0xf bank_mask:0xf
	v_cndmask_b32_e64 v44, 0, v44, s4
	s_delay_alu instid0(VALU_DEP_1) | instskip(SKIP_3) | instid1(VALU_DEP_1)
	v_add_nc_u32_e32 v3, v3, v44
	ds_swizzle_b32 v44, v3 offset:swizzle(BROADCAST,32,15)
	s_waitcnt lgkmcnt(0)
	v_cndmask_b32_e64 v44, v44, 0, s5
	v_add_nc_u32_e32 v3, v3, v44
	s_and_saveexec_b32 s11, s10
	s_cbranch_execz .LBB99_12
; %bb.11:                               ;   in Loop: Header=BB99_4 Depth=2
	ds_store_b32 v33, v3
.LBB99_12:                              ;   in Loop: Header=BB99_4 Depth=2
	s_or_b32 exec_lo, exec_lo, s11
	s_waitcnt lgkmcnt(0)
	s_barrier
	buffer_gl0_inv
	s_and_saveexec_b32 s11, s6
	s_cbranch_execz .LBB99_14
; %bb.13:                               ;   in Loop: Header=BB99_4 Depth=2
	ds_load_b32 v44, v34
	s_waitcnt lgkmcnt(0)
	v_mov_b32_dpp v45, v44 row_shr:1 row_mask:0xf bank_mask:0xf
	s_delay_alu instid0(VALU_DEP_1) | instskip(NEXT) | instid1(VALU_DEP_1)
	v_cndmask_b32_e64 v45, v45, 0, s9
	v_add_nc_u32_e32 v44, v45, v44
	ds_store_b32 v34, v44
.LBB99_14:                              ;   in Loop: Header=BB99_4 Depth=2
	s_or_b32 exec_lo, exec_lo, s11
	v_mov_b32_e32 v44, 0
	s_waitcnt lgkmcnt(0)
	s_barrier
	buffer_gl0_inv
	s_and_saveexec_b32 s11, s7
	s_cbranch_execz .LBB99_16
; %bb.15:                               ;   in Loop: Header=BB99_4 Depth=2
	ds_load_b32 v44, v35
.LBB99_16:                              ;   in Loop: Header=BB99_4 Depth=2
	s_or_b32 exec_lo, exec_lo, s11
	s_waitcnt lgkmcnt(0)
	v_add_nc_u32_e32 v3, v44, v3
	s_cmp_gt_u32 s14, 55
	ds_bpermute_b32 v3, v32, v3
	s_waitcnt lgkmcnt(0)
	v_cndmask_b32_e64 v3, v3, v44, s0
	s_delay_alu instid0(VALU_DEP_1) | instskip(NEXT) | instid1(VALU_DEP_1)
	v_cndmask_b32_e64 v3, v3, 0, s8
	v_add_nc_u32_e32 v4, v3, v4
	s_delay_alu instid0(VALU_DEP_1) | instskip(NEXT) | instid1(VALU_DEP_1)
	v_add_nc_u32_e32 v5, v4, v5
	v_add_nc_u32_e32 v6, v5, v6
	s_delay_alu instid0(VALU_DEP_1) | instskip(NEXT) | instid1(VALU_DEP_1)
	v_add_nc_u32_e32 v44, v6, v7
	;; [unrolled: 3-line block ×3, first 2 shown]
	v_add_nc_u32_e32 v1, v0, v2
	ds_store_2addr_b64 v30, v[3:4], v[5:6] offset0:1 offset1:2
	ds_store_2addr_b64 v31, v[44:45], v[0:1] offset0:2 offset1:3
	s_waitcnt lgkmcnt(0)
	s_barrier
	buffer_gl0_inv
	ds_load_b32 v0, v26
	ds_load_b32 v1, v29
	;; [unrolled: 1-line block ×3, first 2 shown]
	s_waitcnt lgkmcnt(2)
	v_add_nc_u32_e32 v44, v0, v8
	s_waitcnt lgkmcnt(1)
	v_add3_u32 v43, v28, v27, v1
	s_waitcnt lgkmcnt(0)
	v_add3_u32 v8, v42, v41, v2
	s_cbranch_scc0 .LBB99_3
; %bb.17:                               ;   in Loop: Header=BB99_2 Depth=1
                                        ; implicit-def: $vgpr26_vgpr27
                                        ; implicit-def: $vgpr2_vgpr3
                                        ; implicit-def: $vgpr28_vgpr29
                                        ; implicit-def: $vgpr6_vgpr7
                                        ; implicit-def: $sgpr14_sgpr15
	s_branch .LBB99_1
.LBB99_18:
	s_waitcnt lgkmcnt(1)
	v_add_co_u32 v0, vcc_lo, v1, v5
	v_add_co_ci_u32_e32 v1, vcc_lo, v2, v6, vcc_lo
	v_add_co_u32 v2, vcc_lo, v3, v7
	v_add_co_ci_u32_e32 v3, vcc_lo, v4, v8, vcc_lo
	v_lshlrev_b32_e32 v6, 3, v9
	s_waitcnt lgkmcnt(0)
	v_add_co_u32 v4, vcc_lo, v14, v16
	v_add_co_ci_u32_e32 v5, vcc_lo, v15, v17, vcc_lo
	s_add_u32 s0, s18, s12
	s_addc_u32 s1, s19, s13
	s_clause 0x2
	global_store_b64 v6, v[0:1], s[0:1]
	global_store_b64 v6, v[2:3], s[0:1] offset:512
	global_store_b64 v6, v[4:5], s[0:1] offset:1024
	s_nop 0
	s_sendmsg sendmsg(MSG_DEALLOC_VGPRS)
	s_endpgm
	.section	.rodata,"a",@progbits
	.p2align	6, 0x0
	.amdhsa_kernel _Z17sort_pairs_kernelI22helper_blocked_blockedxLj64ELj3ELj10EEvPKT0_PS1_
		.amdhsa_group_segment_fixed_size 2064
		.amdhsa_private_segment_fixed_size 0
		.amdhsa_kernarg_size 272
		.amdhsa_user_sgpr_count 15
		.amdhsa_user_sgpr_dispatch_ptr 0
		.amdhsa_user_sgpr_queue_ptr 0
		.amdhsa_user_sgpr_kernarg_segment_ptr 1
		.amdhsa_user_sgpr_dispatch_id 0
		.amdhsa_user_sgpr_private_segment_size 0
		.amdhsa_wavefront_size32 1
		.amdhsa_uses_dynamic_stack 0
		.amdhsa_enable_private_segment 0
		.amdhsa_system_sgpr_workgroup_id_x 1
		.amdhsa_system_sgpr_workgroup_id_y 0
		.amdhsa_system_sgpr_workgroup_id_z 0
		.amdhsa_system_sgpr_workgroup_info 0
		.amdhsa_system_vgpr_workitem_id 2
		.amdhsa_next_free_vgpr 46
		.amdhsa_next_free_sgpr 22
		.amdhsa_reserve_vcc 1
		.amdhsa_float_round_mode_32 0
		.amdhsa_float_round_mode_16_64 0
		.amdhsa_float_denorm_mode_32 3
		.amdhsa_float_denorm_mode_16_64 3
		.amdhsa_dx10_clamp 1
		.amdhsa_ieee_mode 1
		.amdhsa_fp16_overflow 0
		.amdhsa_workgroup_processor_mode 1
		.amdhsa_memory_ordered 1
		.amdhsa_forward_progress 0
		.amdhsa_shared_vgpr_count 0
		.amdhsa_exception_fp_ieee_invalid_op 0
		.amdhsa_exception_fp_denorm_src 0
		.amdhsa_exception_fp_ieee_div_zero 0
		.amdhsa_exception_fp_ieee_overflow 0
		.amdhsa_exception_fp_ieee_underflow 0
		.amdhsa_exception_fp_ieee_inexact 0
		.amdhsa_exception_int_div_zero 0
	.end_amdhsa_kernel
	.section	.text._Z17sort_pairs_kernelI22helper_blocked_blockedxLj64ELj3ELj10EEvPKT0_PS1_,"axG",@progbits,_Z17sort_pairs_kernelI22helper_blocked_blockedxLj64ELj3ELj10EEvPKT0_PS1_,comdat
.Lfunc_end99:
	.size	_Z17sort_pairs_kernelI22helper_blocked_blockedxLj64ELj3ELj10EEvPKT0_PS1_, .Lfunc_end99-_Z17sort_pairs_kernelI22helper_blocked_blockedxLj64ELj3ELj10EEvPKT0_PS1_
                                        ; -- End function
	.section	.AMDGPU.csdata,"",@progbits
; Kernel info:
; codeLenInByte = 2628
; NumSgprs: 24
; NumVgprs: 46
; ScratchSize: 0
; MemoryBound: 0
; FloatMode: 240
; IeeeMode: 1
; LDSByteSize: 2064 bytes/workgroup (compile time only)
; SGPRBlocks: 2
; VGPRBlocks: 5
; NumSGPRsForWavesPerEU: 24
; NumVGPRsForWavesPerEU: 46
; Occupancy: 16
; WaveLimiterHint : 1
; COMPUTE_PGM_RSRC2:SCRATCH_EN: 0
; COMPUTE_PGM_RSRC2:USER_SGPR: 15
; COMPUTE_PGM_RSRC2:TRAP_HANDLER: 0
; COMPUTE_PGM_RSRC2:TGID_X_EN: 1
; COMPUTE_PGM_RSRC2:TGID_Y_EN: 0
; COMPUTE_PGM_RSRC2:TGID_Z_EN: 0
; COMPUTE_PGM_RSRC2:TIDIG_COMP_CNT: 2
	.section	.text._Z16sort_keys_kernelI22helper_blocked_blockedxLj64ELj4ELj10EEvPKT0_PS1_,"axG",@progbits,_Z16sort_keys_kernelI22helper_blocked_blockedxLj64ELj4ELj10EEvPKT0_PS1_,comdat
	.protected	_Z16sort_keys_kernelI22helper_blocked_blockedxLj64ELj4ELj10EEvPKT0_PS1_ ; -- Begin function _Z16sort_keys_kernelI22helper_blocked_blockedxLj64ELj4ELj10EEvPKT0_PS1_
	.globl	_Z16sort_keys_kernelI22helper_blocked_blockedxLj64ELj4ELj10EEvPKT0_PS1_
	.p2align	8
	.type	_Z16sort_keys_kernelI22helper_blocked_blockedxLj64ELj4ELj10EEvPKT0_PS1_,@function
_Z16sort_keys_kernelI22helper_blocked_blockedxLj64ELj4ELj10EEvPKT0_PS1_: ; @_Z16sort_keys_kernelI22helper_blocked_blockedxLj64ELj4ELj10EEvPKT0_PS1_
; %bb.0:
	s_clause 0x1
	s_load_b128 s[16:19], s[0:1], 0x0
	s_load_b32 s2, s[0:1], 0x1c
	s_mov_b32 s23, 0
	s_lshl_b32 s22, s15, 8
	v_mbcnt_lo_u32_b32 v12, -1, 0
	s_lshl_b64 s[20:21], s[22:23], 3
	s_mov_b32 s22, s23
	v_and_b32_e32 v9, 0x3ff, v0
	v_bfe_u32 v10, v0, 10, 10
	v_bfe_u32 v0, v0, 20, 10
	v_and_b32_e32 v13, 3, v12
	s_mov_b32 s14, s23
	v_lshlrev_b32_e32 v3, 3, v9
	s_mov_b32 s15, s23
	v_and_b32_e32 v22, 28, v12
	v_cmp_eq_u32_e64 s11, 0, v12
	s_waitcnt lgkmcnt(0)
	s_add_u32 s0, s16, s20
	s_addc_u32 s1, s17, s21
	s_clause 0x3
	global_load_b64 v[5:6], v3, s[0:1]
	global_load_b64 v[7:8], v3, s[0:1] offset:512
	global_load_b64 v[1:2], v3, s[0:1] offset:1024
	;; [unrolled: 1-line block ×3, first 2 shown]
	s_lshr_b32 s1, s2, 16
	s_and_b32 s2, s2, 0xffff
	v_mad_u32_u24 v0, v0, s1, v10
	v_cmp_eq_u32_e64 s0, 3, v13
	v_cmp_eq_u32_e64 s1, 2, v13
	s_delay_alu instid0(VALU_DEP_3) | instskip(SKIP_4) | instid1(VALU_DEP_3)
	v_mad_u64_u32 v[10:11], null, v0, s2, v[9:10]
	v_cmp_eq_u32_e64 s2, 1, v13
	v_or_b32_e32 v11, 31, v9
	v_add_nc_u32_e32 v13, -1, v12
	v_and_b32_e32 v0, 15, v12
	v_cmp_eq_u32_e64 s8, v11, v9
	v_lshrrev_b32_e32 v28, 5, v10
	v_and_b32_e32 v10, 16, v12
	v_cmp_gt_i32_e32 vcc_lo, 0, v13
	v_lshlrev_b32_e32 v11, 2, v9
	v_cmp_eq_u32_e64 s3, 0, v0
	v_cmp_lt_u32_e64 s4, 1, v0
	v_cmp_eq_u32_e64 s7, 0, v10
	v_lshrrev_b32_e32 v10, 3, v9
	v_cmp_lt_u32_e64 s5, 3, v0
	v_cmp_lt_u32_e64 s6, 7, v0
	v_cndmask_b32_e32 v0, v13, v12, vcc_lo
	s_delay_alu instid0(VALU_DEP_4) | instskip(SKIP_1) | instid1(VALU_DEP_3)
	v_and_b32_e32 v30, 4, v10
	v_and_or_b32 v10, 0x80, v11, v12
	v_lshlrev_b32_e32 v29, 2, v0
	v_and_b32_e32 v0, 1, v12
	v_dual_mov_b32 v12, s14 :: v_dual_mov_b32 v13, s15
	s_delay_alu instid0(VALU_DEP_4) | instskip(SKIP_1) | instid1(VALU_DEP_4)
	v_dual_mov_b32 v10, s22 :: v_dual_lshlrev_b32 v33, 3, v10
	v_lshlrev_b32_e32 v23, 5, v9
	v_cmp_eq_u32_e64 s13, 0, v0
	v_mul_u32_u24_e32 v0, 28, v9
	v_cmp_gt_u32_e64 s9, 2, v9
	v_cmp_lt_u32_e64 s10, 31, v9
	v_mad_i32_i24 v31, 0xffffffe4, v9, v23
	v_or_b32_e32 v27, 8, v23
	v_cmp_eq_u32_e64 s12, 0, v9
	v_dual_mov_b32 v11, s23 :: v_dual_add_nc_u32 v32, -4, v30
	v_or_b32_e32 v24, 32, v22
	v_or_b32_e32 v25, 64, v22
	;; [unrolled: 1-line block ×3, first 2 shown]
	v_add_nc_u32_e32 v34, v31, v0
	s_branch .LBB100_2
.LBB100_1:                              ;   in Loop: Header=BB100_2 Depth=1
	v_lshlrev_b32_e32 v0, 3, v38
	v_lshlrev_b32_e32 v1, 3, v36
	;; [unrolled: 1-line block ×4, first 2 shown]
	s_barrier
	buffer_gl0_inv
	ds_store_b64 v0, v[14:15]
	ds_store_b64 v1, v[20:21]
	;; [unrolled: 1-line block ×4, first 2 shown]
	s_waitcnt lgkmcnt(0)
	s_barrier
	buffer_gl0_inv
	ds_load_2addr_b64 v[5:8], v34 offset1:1
	ds_load_2addr_b64 v[1:4], v34 offset0:2 offset1:3
	s_add_i32 s23, s23, 1
	s_delay_alu instid0(SALU_CYCLE_1)
	s_cmp_eq_u32 s23, 10
	s_waitcnt lgkmcnt(1)
	v_xor_b32_e32 v6, 0x80000000, v6
	v_xor_b32_e32 v8, 0x80000000, v8
	s_waitcnt lgkmcnt(0)
	v_xor_b32_e32 v2, 0x80000000, v2
	v_xor_b32_e32 v4, 0x80000000, v4
	s_cbranch_scc1 .LBB100_20
.LBB100_2:                              ; =>This Loop Header: Depth=1
                                        ;     Child Loop BB100_4 Depth 2
	s_waitcnt vmcnt(3)
	v_xor_b32_e32 v0, 0x80000000, v6
	s_waitcnt vmcnt(2)
	v_xor_b32_e32 v6, 0x80000000, v8
	ds_bpermute_b32 v8, v22, v5
	ds_bpermute_b32 v14, v22, v7
	s_waitcnt vmcnt(1)
	v_xor_b32_e32 v2, 0x80000000, v2
	ds_bpermute_b32 v15, v22, v0
	ds_bpermute_b32 v16, v22, v6
	;; [unrolled: 1-line block ×14, first 2 shown]
	s_waitcnt vmcnt(0)
	v_xor_b32_e32 v4, 0x80000000, v4
	ds_bpermute_b32 v37, v24, v1
	ds_bpermute_b32 v43, v26, v2
	;; [unrolled: 1-line block ×3, first 2 shown]
	s_waitcnt lgkmcnt(17)
	v_cndmask_b32_e64 v8, v8, v14, s2
	ds_bpermute_b32 v14, v25, v6
	ds_bpermute_b32 v6, v26, v6
	s_waitcnt lgkmcnt(17)
	v_cndmask_b32_e64 v15, v15, v16, s2
	ds_bpermute_b32 v16, v26, v0
	s_waitcnt lgkmcnt(17)
	v_cndmask_b32_e64 v0, v8, v17, s1
	s_waitcnt lgkmcnt(15)
	v_cndmask_b32_e64 v8, v18, v19, s2
	ds_bpermute_b32 v18, v25, v1
	s_waitcnt lgkmcnt(15)
	v_cndmask_b32_e64 v15, v15, v20, s1
	ds_bpermute_b32 v19, v25, v2
	ds_bpermute_b32 v20, v26, v1
	;; [unrolled: 1-line block ×9, first 2 shown]
	s_waitcnt lgkmcnt(22)
	v_cndmask_b32_e64 v2, v35, v36, s2
	s_waitcnt lgkmcnt(17)
	v_cndmask_b32_e64 v3, v8, v41, s1
	v_cndmask_b32_e64 v4, v38, v39, s2
	s_waitcnt lgkmcnt(12)
	v_cndmask_b32_e64 v8, v42, v14, s2
	v_cndmask_b32_e64 v5, v5, v7, s2
	;; [unrolled: 1-line block ×3, first 2 shown]
	s_waitcnt lgkmcnt(10)
	v_cndmask_b32_e64 v6, v16, v6, s2
	v_cndmask_b32_e64 v0, v0, v21, s0
	s_mov_b64 s[16:17], 0
	s_waitcnt lgkmcnt(9)
	v_cndmask_b32_e64 v4, v4, v18, s1
	s_waitcnt lgkmcnt(0)
	v_cndmask_b32_e64 v7, v8, v19, s1
	v_cndmask_b32_e64 v8, v5, v20, s1
	;; [unrolled: 1-line block ×10, first 2 shown]
	s_barrier
	s_branch .LBB100_4
.LBB100_3:                              ;   in Loop: Header=BB100_4 Depth=2
	v_lshlrev_b32_e32 v0, 3, v38
	v_lshlrev_b32_e32 v1, 3, v36
	;; [unrolled: 1-line block ×4, first 2 shown]
	s_barrier
	buffer_gl0_inv
	ds_store_b64 v0, v[14:15]
	ds_store_b64 v1, v[20:21]
	;; [unrolled: 1-line block ×4, first 2 shown]
	s_waitcnt lgkmcnt(0)
	s_barrier
	buffer_gl0_inv
	ds_load_2addr_b64 v[0:3], v33 offset1:32
	ds_load_2addr_b64 v[4:7], v33 offset0:64 offset1:96
	s_add_u32 s16, s16, 8
	s_addc_u32 s17, s17, 0
	s_waitcnt lgkmcnt(0)
	s_barrier
	s_cbranch_execz .LBB100_1
.LBB100_4:                              ;   Parent Loop BB100_2 Depth=1
                                        ; =>  This Inner Loop Header: Depth=2
	v_dual_mov_b32 v15, v1 :: v_dual_mov_b32 v14, v0
	buffer_gl0_inv
	ds_store_2addr_b64 v23, v[10:11], v[12:13] offset0:1 offset1:2
	ds_store_2addr_b64 v27, v[10:11], v[12:13] offset0:2 offset1:3
	s_waitcnt lgkmcnt(0)
	s_barrier
	v_lshrrev_b64 v[35:36], s16, v[14:15]
	buffer_gl0_inv
	; wave barrier
	v_and_b32_e32 v0, 1, v35
	v_lshlrev_b32_e32 v1, 30, v35
	v_lshlrev_b32_e32 v8, 29, v35
	;; [unrolled: 1-line block ×4, first 2 shown]
	v_add_co_u32 v0, s14, v0, -1
	s_delay_alu instid0(VALU_DEP_1)
	v_cndmask_b32_e64 v17, 0, 1, s14
	v_not_b32_e32 v21, v1
	v_cmp_gt_i32_e64 s14, 0, v1
	v_not_b32_e32 v1, v8
	v_lshlrev_b32_e32 v19, 26, v35
	v_cmp_ne_u32_e32 vcc_lo, 0, v17
	v_ashrrev_i32_e32 v21, 31, v21
	v_lshlrev_b32_e32 v20, 25, v35
	v_ashrrev_i32_e32 v1, 31, v1
	v_lshlrev_b32_e32 v17, 24, v35
	v_xor_b32_e32 v0, vcc_lo, v0
	v_cmp_gt_i32_e32 vcc_lo, 0, v8
	v_not_b32_e32 v8, v16
	v_xor_b32_e32 v21, s14, v21
	v_cmp_gt_i32_e64 s14, 0, v16
	v_and_b32_e32 v0, exec_lo, v0
	v_not_b32_e32 v16, v18
	v_ashrrev_i32_e32 v8, 31, v8
	v_xor_b32_e32 v1, vcc_lo, v1
	v_cmp_gt_i32_e32 vcc_lo, 0, v18
	v_and_b32_e32 v0, v0, v21
	v_not_b32_e32 v18, v19
	v_ashrrev_i32_e32 v16, 31, v16
	v_xor_b32_e32 v8, s14, v8
	v_cmp_gt_i32_e64 s14, 0, v19
	v_and_b32_e32 v0, v0, v1
	v_not_b32_e32 v1, v20
	v_ashrrev_i32_e32 v18, 31, v18
	v_xor_b32_e32 v16, vcc_lo, v16
	v_cmp_gt_i32_e32 vcc_lo, 0, v20
	v_dual_mov_b32 v21, v3 :: v_dual_and_b32 v0, v0, v8
	v_mov_b32_e32 v20, v2
	v_not_b32_e32 v8, v17
	v_ashrrev_i32_e32 v1, 31, v1
	v_xor_b32_e32 v18, s14, v18
	v_and_b32_e32 v0, v0, v16
	v_cmp_gt_i32_e64 s14, 0, v17
	v_ashrrev_i32_e32 v8, 31, v8
	v_xor_b32_e32 v1, vcc_lo, v1
	s_delay_alu instid0(VALU_DEP_4) | instskip(SKIP_1) | instid1(VALU_DEP_4)
	v_dual_mov_b32 v17, v7 :: v_dual_and_b32 v0, v0, v18
	v_mov_b32_e32 v19, v5
	v_xor_b32_e32 v8, s14, v8
	v_mov_b32_e32 v16, v6
	v_mov_b32_e32 v18, v4
	v_and_b32_e32 v0, v0, v1
	v_and_b32_e32 v1, 0xff, v35
	s_delay_alu instid0(VALU_DEP_2) | instskip(NEXT) | instid1(VALU_DEP_2)
	v_and_b32_e32 v0, v0, v8
	v_lshl_add_u32 v1, v1, 1, v28
	s_delay_alu instid0(VALU_DEP_2) | instskip(SKIP_1) | instid1(VALU_DEP_3)
	v_mbcnt_lo_u32_b32 v8, v0, 0
	v_cmp_ne_u32_e64 s14, 0, v0
	v_lshl_add_u32 v35, v1, 2, 8
	s_delay_alu instid0(VALU_DEP_3) | instskip(NEXT) | instid1(VALU_DEP_3)
	v_cmp_eq_u32_e32 vcc_lo, 0, v8
	s_and_b32 s15, s14, vcc_lo
	s_delay_alu instid0(SALU_CYCLE_1)
	s_and_saveexec_b32 s14, s15
	s_cbranch_execz .LBB100_6
; %bb.5:                                ;   in Loop: Header=BB100_4 Depth=2
	v_bcnt_u32_b32 v0, v0, 0
	ds_store_b32 v35, v0
.LBB100_6:                              ;   in Loop: Header=BB100_4 Depth=2
	s_or_b32 exec_lo, exec_lo, s14
	v_lshrrev_b64 v[0:1], s16, v[20:21]
	; wave barrier
	s_delay_alu instid0(VALU_DEP_1)
	v_and_b32_e32 v2, 1, v0
	v_lshlrev_b32_e32 v3, 30, v0
	v_lshlrev_b32_e32 v4, 29, v0
	;; [unrolled: 1-line block ×4, first 2 shown]
	v_add_co_u32 v2, s14, v2, -1
	s_delay_alu instid0(VALU_DEP_1)
	v_cndmask_b32_e64 v6, 0, 1, s14
	v_not_b32_e32 v38, v3
	v_cmp_gt_i32_e64 s14, 0, v3
	v_not_b32_e32 v3, v4
	v_lshlrev_b32_e32 v36, 26, v0
	v_cmp_ne_u32_e32 vcc_lo, 0, v6
	v_ashrrev_i32_e32 v6, 31, v38
	v_lshlrev_b32_e32 v37, 25, v0
	v_ashrrev_i32_e32 v3, 31, v3
	v_and_b32_e32 v1, 0xff, v0
	v_xor_b32_e32 v2, vcc_lo, v2
	v_cmp_gt_i32_e32 vcc_lo, 0, v4
	v_not_b32_e32 v4, v5
	v_xor_b32_e32 v6, s14, v6
	v_cmp_gt_i32_e64 s14, 0, v5
	v_and_b32_e32 v2, exec_lo, v2
	v_not_b32_e32 v5, v7
	v_ashrrev_i32_e32 v4, 31, v4
	v_xor_b32_e32 v3, vcc_lo, v3
	v_cmp_gt_i32_e32 vcc_lo, 0, v7
	v_and_b32_e32 v2, v2, v6
	v_not_b32_e32 v6, v36
	v_ashrrev_i32_e32 v5, 31, v5
	v_xor_b32_e32 v4, s14, v4
	v_lshlrev_b32_e32 v0, 24, v0
	v_and_b32_e32 v2, v2, v3
	v_cmp_gt_i32_e64 s14, 0, v36
	v_not_b32_e32 v3, v37
	v_ashrrev_i32_e32 v6, 31, v6
	v_xor_b32_e32 v5, vcc_lo, v5
	v_and_b32_e32 v2, v2, v4
	v_cmp_gt_i32_e32 vcc_lo, 0, v37
	v_not_b32_e32 v4, v0
	v_ashrrev_i32_e32 v3, 31, v3
	v_xor_b32_e32 v6, s14, v6
	v_and_b32_e32 v2, v2, v5
	v_lshlrev_b32_e32 v1, 1, v1
	v_cmp_gt_i32_e64 s14, 0, v0
	v_ashrrev_i32_e32 v0, 31, v4
	v_xor_b32_e32 v3, vcc_lo, v3
	v_and_b32_e32 v2, v2, v6
	v_add_lshl_u32 v1, v1, v28, 2
	s_delay_alu instid0(VALU_DEP_4) | instskip(NEXT) | instid1(VALU_DEP_3)
	v_xor_b32_e32 v0, s14, v0
	v_and_b32_e32 v2, v2, v3
	ds_load_b32 v36, v1 offset:8
	v_add_nc_u32_e32 v38, 8, v1
	; wave barrier
	v_and_b32_e32 v0, v2, v0
	s_delay_alu instid0(VALU_DEP_1) | instskip(SKIP_1) | instid1(VALU_DEP_2)
	v_mbcnt_lo_u32_b32 v37, v0, 0
	v_cmp_ne_u32_e64 s14, 0, v0
	v_cmp_eq_u32_e32 vcc_lo, 0, v37
	s_delay_alu instid0(VALU_DEP_2) | instskip(NEXT) | instid1(SALU_CYCLE_1)
	s_and_b32 s15, s14, vcc_lo
	s_and_saveexec_b32 s14, s15
	s_cbranch_execz .LBB100_8
; %bb.7:                                ;   in Loop: Header=BB100_4 Depth=2
	s_waitcnt lgkmcnt(0)
	v_bcnt_u32_b32 v0, v0, v36
	ds_store_b32 v38, v0
.LBB100_8:                              ;   in Loop: Header=BB100_4 Depth=2
	s_or_b32 exec_lo, exec_lo, s14
	v_lshrrev_b64 v[0:1], s16, v[18:19]
	; wave barrier
	s_delay_alu instid0(VALU_DEP_1)
	v_and_b32_e32 v2, 1, v0
	v_lshlrev_b32_e32 v3, 30, v0
	v_lshlrev_b32_e32 v4, 29, v0
	v_lshlrev_b32_e32 v5, 28, v0
	v_lshlrev_b32_e32 v7, 27, v0
	v_add_co_u32 v2, s14, v2, -1
	s_delay_alu instid0(VALU_DEP_1)
	v_cndmask_b32_e64 v6, 0, 1, s14
	v_not_b32_e32 v41, v3
	v_cmp_gt_i32_e64 s14, 0, v3
	v_not_b32_e32 v3, v4
	v_lshlrev_b32_e32 v39, 26, v0
	v_cmp_ne_u32_e32 vcc_lo, 0, v6
	v_ashrrev_i32_e32 v6, 31, v41
	v_lshlrev_b32_e32 v40, 25, v0
	v_ashrrev_i32_e32 v3, 31, v3
	v_and_b32_e32 v1, 0xff, v0
	v_xor_b32_e32 v2, vcc_lo, v2
	v_cmp_gt_i32_e32 vcc_lo, 0, v4
	v_not_b32_e32 v4, v5
	v_xor_b32_e32 v6, s14, v6
	v_cmp_gt_i32_e64 s14, 0, v5
	v_and_b32_e32 v2, exec_lo, v2
	v_not_b32_e32 v5, v7
	v_ashrrev_i32_e32 v4, 31, v4
	v_xor_b32_e32 v3, vcc_lo, v3
	v_cmp_gt_i32_e32 vcc_lo, 0, v7
	v_and_b32_e32 v2, v2, v6
	v_not_b32_e32 v6, v39
	v_ashrrev_i32_e32 v5, 31, v5
	v_xor_b32_e32 v4, s14, v4
	v_lshlrev_b32_e32 v0, 24, v0
	v_and_b32_e32 v2, v2, v3
	v_cmp_gt_i32_e64 s14, 0, v39
	v_not_b32_e32 v3, v40
	v_ashrrev_i32_e32 v6, 31, v6
	v_xor_b32_e32 v5, vcc_lo, v5
	v_and_b32_e32 v2, v2, v4
	v_cmp_gt_i32_e32 vcc_lo, 0, v40
	v_not_b32_e32 v4, v0
	v_ashrrev_i32_e32 v3, 31, v3
	v_xor_b32_e32 v6, s14, v6
	v_and_b32_e32 v2, v2, v5
	v_lshlrev_b32_e32 v1, 1, v1
	v_cmp_gt_i32_e64 s14, 0, v0
	v_ashrrev_i32_e32 v0, 31, v4
	v_xor_b32_e32 v3, vcc_lo, v3
	v_and_b32_e32 v2, v2, v6
	v_add_lshl_u32 v1, v1, v28, 2
	s_delay_alu instid0(VALU_DEP_4) | instskip(NEXT) | instid1(VALU_DEP_3)
	v_xor_b32_e32 v0, s14, v0
	v_and_b32_e32 v2, v2, v3
	ds_load_b32 v39, v1 offset:8
	v_add_nc_u32_e32 v41, 8, v1
	; wave barrier
	v_and_b32_e32 v0, v2, v0
	s_delay_alu instid0(VALU_DEP_1) | instskip(SKIP_1) | instid1(VALU_DEP_2)
	v_mbcnt_lo_u32_b32 v40, v0, 0
	v_cmp_ne_u32_e64 s14, 0, v0
	v_cmp_eq_u32_e32 vcc_lo, 0, v40
	s_delay_alu instid0(VALU_DEP_2) | instskip(NEXT) | instid1(SALU_CYCLE_1)
	s_and_b32 s15, s14, vcc_lo
	s_and_saveexec_b32 s14, s15
	s_cbranch_execz .LBB100_10
; %bb.9:                                ;   in Loop: Header=BB100_4 Depth=2
	s_waitcnt lgkmcnt(0)
	v_bcnt_u32_b32 v0, v0, v39
	ds_store_b32 v41, v0
.LBB100_10:                             ;   in Loop: Header=BB100_4 Depth=2
	s_or_b32 exec_lo, exec_lo, s14
	v_lshrrev_b64 v[0:1], s16, v[16:17]
	; wave barrier
	s_delay_alu instid0(VALU_DEP_1)
	v_and_b32_e32 v2, 1, v0
	v_lshlrev_b32_e32 v3, 30, v0
	v_lshlrev_b32_e32 v4, 29, v0
	;; [unrolled: 1-line block ×4, first 2 shown]
	v_add_co_u32 v2, s14, v2, -1
	s_delay_alu instid0(VALU_DEP_1)
	v_cndmask_b32_e64 v6, 0, 1, s14
	v_not_b32_e32 v44, v3
	v_cmp_gt_i32_e64 s14, 0, v3
	v_not_b32_e32 v3, v4
	v_lshlrev_b32_e32 v42, 26, v0
	v_cmp_ne_u32_e32 vcc_lo, 0, v6
	v_ashrrev_i32_e32 v6, 31, v44
	v_lshlrev_b32_e32 v43, 25, v0
	v_ashrrev_i32_e32 v3, 31, v3
	v_and_b32_e32 v1, 0xff, v0
	v_xor_b32_e32 v2, vcc_lo, v2
	v_cmp_gt_i32_e32 vcc_lo, 0, v4
	v_not_b32_e32 v4, v5
	v_xor_b32_e32 v6, s14, v6
	v_cmp_gt_i32_e64 s14, 0, v5
	v_and_b32_e32 v2, exec_lo, v2
	v_not_b32_e32 v5, v7
	v_ashrrev_i32_e32 v4, 31, v4
	v_xor_b32_e32 v3, vcc_lo, v3
	v_cmp_gt_i32_e32 vcc_lo, 0, v7
	v_and_b32_e32 v2, v2, v6
	v_not_b32_e32 v6, v42
	v_ashrrev_i32_e32 v5, 31, v5
	v_xor_b32_e32 v4, s14, v4
	v_lshlrev_b32_e32 v0, 24, v0
	v_and_b32_e32 v2, v2, v3
	v_cmp_gt_i32_e64 s14, 0, v42
	v_not_b32_e32 v3, v43
	v_ashrrev_i32_e32 v6, 31, v6
	v_xor_b32_e32 v5, vcc_lo, v5
	v_and_b32_e32 v2, v2, v4
	v_cmp_gt_i32_e32 vcc_lo, 0, v43
	v_not_b32_e32 v4, v0
	v_ashrrev_i32_e32 v3, 31, v3
	v_xor_b32_e32 v6, s14, v6
	v_and_b32_e32 v2, v2, v5
	v_lshlrev_b32_e32 v1, 1, v1
	v_cmp_gt_i32_e64 s14, 0, v0
	v_ashrrev_i32_e32 v0, 31, v4
	v_xor_b32_e32 v3, vcc_lo, v3
	v_and_b32_e32 v2, v2, v6
	v_add_lshl_u32 v1, v1, v28, 2
	s_delay_alu instid0(VALU_DEP_4) | instskip(NEXT) | instid1(VALU_DEP_3)
	v_xor_b32_e32 v0, s14, v0
	v_and_b32_e32 v2, v2, v3
	ds_load_b32 v42, v1 offset:8
	v_add_nc_u32_e32 v44, 8, v1
	; wave barrier
	v_and_b32_e32 v0, v2, v0
	s_delay_alu instid0(VALU_DEP_1) | instskip(SKIP_1) | instid1(VALU_DEP_2)
	v_mbcnt_lo_u32_b32 v43, v0, 0
	v_cmp_ne_u32_e64 s14, 0, v0
	v_cmp_eq_u32_e32 vcc_lo, 0, v43
	s_delay_alu instid0(VALU_DEP_2) | instskip(NEXT) | instid1(SALU_CYCLE_1)
	s_and_b32 s15, s14, vcc_lo
	s_and_saveexec_b32 s14, s15
	s_cbranch_execz .LBB100_12
; %bb.11:                               ;   in Loop: Header=BB100_4 Depth=2
	s_waitcnt lgkmcnt(0)
	v_bcnt_u32_b32 v0, v0, v42
	ds_store_b32 v44, v0
.LBB100_12:                             ;   in Loop: Header=BB100_4 Depth=2
	s_or_b32 exec_lo, exec_lo, s14
	; wave barrier
	s_waitcnt lgkmcnt(0)
	s_barrier
	buffer_gl0_inv
	ds_load_2addr_b64 v[4:7], v23 offset0:1 offset1:2
	ds_load_2addr_b64 v[0:3], v27 offset0:2 offset1:3
	s_waitcnt lgkmcnt(1)
	v_add_nc_u32_e32 v45, v5, v4
	s_delay_alu instid0(VALU_DEP_1) | instskip(SKIP_1) | instid1(VALU_DEP_1)
	v_add3_u32 v45, v45, v6, v7
	s_waitcnt lgkmcnt(0)
	v_add3_u32 v45, v45, v0, v1
	s_delay_alu instid0(VALU_DEP_1) | instskip(NEXT) | instid1(VALU_DEP_1)
	v_add3_u32 v3, v45, v2, v3
	v_mov_b32_dpp v45, v3 row_shr:1 row_mask:0xf bank_mask:0xf
	s_delay_alu instid0(VALU_DEP_1) | instskip(NEXT) | instid1(VALU_DEP_1)
	v_cndmask_b32_e64 v45, v45, 0, s3
	v_add_nc_u32_e32 v3, v45, v3
	s_delay_alu instid0(VALU_DEP_1) | instskip(NEXT) | instid1(VALU_DEP_1)
	v_mov_b32_dpp v45, v3 row_shr:2 row_mask:0xf bank_mask:0xf
	v_cndmask_b32_e64 v45, 0, v45, s4
	s_delay_alu instid0(VALU_DEP_1) | instskip(NEXT) | instid1(VALU_DEP_1)
	v_add_nc_u32_e32 v3, v3, v45
	v_mov_b32_dpp v45, v3 row_shr:4 row_mask:0xf bank_mask:0xf
	s_delay_alu instid0(VALU_DEP_1) | instskip(NEXT) | instid1(VALU_DEP_1)
	v_cndmask_b32_e64 v45, 0, v45, s5
	v_add_nc_u32_e32 v3, v3, v45
	s_delay_alu instid0(VALU_DEP_1) | instskip(NEXT) | instid1(VALU_DEP_1)
	v_mov_b32_dpp v45, v3 row_shr:8 row_mask:0xf bank_mask:0xf
	v_cndmask_b32_e64 v45, 0, v45, s6
	s_delay_alu instid0(VALU_DEP_1) | instskip(SKIP_3) | instid1(VALU_DEP_1)
	v_add_nc_u32_e32 v3, v3, v45
	ds_swizzle_b32 v45, v3 offset:swizzle(BROADCAST,32,15)
	s_waitcnt lgkmcnt(0)
	v_cndmask_b32_e64 v45, v45, 0, s7
	v_add_nc_u32_e32 v3, v3, v45
	s_and_saveexec_b32 s14, s8
	s_cbranch_execz .LBB100_14
; %bb.13:                               ;   in Loop: Header=BB100_4 Depth=2
	ds_store_b32 v30, v3
.LBB100_14:                             ;   in Loop: Header=BB100_4 Depth=2
	s_or_b32 exec_lo, exec_lo, s14
	s_waitcnt lgkmcnt(0)
	s_barrier
	buffer_gl0_inv
	s_and_saveexec_b32 s14, s9
	s_cbranch_execz .LBB100_16
; %bb.15:                               ;   in Loop: Header=BB100_4 Depth=2
	ds_load_b32 v45, v31
	s_waitcnt lgkmcnt(0)
	v_mov_b32_dpp v46, v45 row_shr:1 row_mask:0xf bank_mask:0xf
	s_delay_alu instid0(VALU_DEP_1) | instskip(NEXT) | instid1(VALU_DEP_1)
	v_cndmask_b32_e64 v46, v46, 0, s13
	v_add_nc_u32_e32 v45, v46, v45
	ds_store_b32 v31, v45
.LBB100_16:                             ;   in Loop: Header=BB100_4 Depth=2
	s_or_b32 exec_lo, exec_lo, s14
	v_mov_b32_e32 v45, 0
	s_waitcnt lgkmcnt(0)
	s_barrier
	buffer_gl0_inv
	s_and_saveexec_b32 s14, s10
	s_cbranch_execz .LBB100_18
; %bb.17:                               ;   in Loop: Header=BB100_4 Depth=2
	ds_load_b32 v45, v32
.LBB100_18:                             ;   in Loop: Header=BB100_4 Depth=2
	s_or_b32 exec_lo, exec_lo, s14
	s_waitcnt lgkmcnt(0)
	v_add_nc_u32_e32 v3, v45, v3
	s_cmp_gt_u32 s16, 55
	ds_bpermute_b32 v3, v29, v3
	s_waitcnt lgkmcnt(0)
	v_cndmask_b32_e64 v3, v3, v45, s11
	s_delay_alu instid0(VALU_DEP_1) | instskip(NEXT) | instid1(VALU_DEP_1)
	v_cndmask_b32_e64 v3, v3, 0, s12
	v_add_nc_u32_e32 v4, v3, v4
	s_delay_alu instid0(VALU_DEP_1) | instskip(NEXT) | instid1(VALU_DEP_1)
	v_add_nc_u32_e32 v5, v4, v5
	v_add_nc_u32_e32 v6, v5, v6
	s_delay_alu instid0(VALU_DEP_1) | instskip(NEXT) | instid1(VALU_DEP_1)
	v_add_nc_u32_e32 v45, v6, v7
	;; [unrolled: 3-line block ×3, first 2 shown]
	v_add_nc_u32_e32 v1, v0, v2
	ds_store_2addr_b64 v23, v[3:4], v[5:6] offset0:1 offset1:2
	ds_store_2addr_b64 v27, v[45:46], v[0:1] offset0:2 offset1:3
	s_waitcnt lgkmcnt(0)
	s_barrier
	buffer_gl0_inv
	ds_load_b32 v0, v35
	ds_load_b32 v1, v38
	;; [unrolled: 1-line block ×4, first 2 shown]
	s_waitcnt lgkmcnt(3)
	v_add_nc_u32_e32 v38, v0, v8
	s_waitcnt lgkmcnt(2)
	v_add3_u32 v36, v37, v36, v1
	s_waitcnt lgkmcnt(1)
	v_add3_u32 v35, v40, v39, v2
	;; [unrolled: 2-line block ×3, first 2 shown]
	s_cbranch_scc0 .LBB100_3
; %bb.19:                               ;   in Loop: Header=BB100_2 Depth=1
                                        ; implicit-def: $vgpr6_vgpr7
                                        ; implicit-def: $vgpr2_vgpr3
                                        ; implicit-def: $sgpr16_sgpr17
	s_branch .LBB100_1
.LBB100_20:
	v_lshlrev_b32_e32 v0, 3, v9
	s_add_u32 s0, s18, s20
	s_addc_u32 s1, s19, s21
	s_clause 0x3
	global_store_b64 v0, v[5:6], s[0:1]
	global_store_b64 v0, v[7:8], s[0:1] offset:512
	global_store_b64 v0, v[1:2], s[0:1] offset:1024
	;; [unrolled: 1-line block ×3, first 2 shown]
	s_nop 0
	s_sendmsg sendmsg(MSG_DEALLOC_VGPRS)
	s_endpgm
	.section	.rodata,"a",@progbits
	.p2align	6, 0x0
	.amdhsa_kernel _Z16sort_keys_kernelI22helper_blocked_blockedxLj64ELj4ELj10EEvPKT0_PS1_
		.amdhsa_group_segment_fixed_size 2064
		.amdhsa_private_segment_fixed_size 0
		.amdhsa_kernarg_size 272
		.amdhsa_user_sgpr_count 15
		.amdhsa_user_sgpr_dispatch_ptr 0
		.amdhsa_user_sgpr_queue_ptr 0
		.amdhsa_user_sgpr_kernarg_segment_ptr 1
		.amdhsa_user_sgpr_dispatch_id 0
		.amdhsa_user_sgpr_private_segment_size 0
		.amdhsa_wavefront_size32 1
		.amdhsa_uses_dynamic_stack 0
		.amdhsa_enable_private_segment 0
		.amdhsa_system_sgpr_workgroup_id_x 1
		.amdhsa_system_sgpr_workgroup_id_y 0
		.amdhsa_system_sgpr_workgroup_id_z 0
		.amdhsa_system_sgpr_workgroup_info 0
		.amdhsa_system_vgpr_workitem_id 2
		.amdhsa_next_free_vgpr 49
		.amdhsa_next_free_sgpr 24
		.amdhsa_reserve_vcc 1
		.amdhsa_float_round_mode_32 0
		.amdhsa_float_round_mode_16_64 0
		.amdhsa_float_denorm_mode_32 3
		.amdhsa_float_denorm_mode_16_64 3
		.amdhsa_dx10_clamp 1
		.amdhsa_ieee_mode 1
		.amdhsa_fp16_overflow 0
		.amdhsa_workgroup_processor_mode 1
		.amdhsa_memory_ordered 1
		.amdhsa_forward_progress 0
		.amdhsa_shared_vgpr_count 0
		.amdhsa_exception_fp_ieee_invalid_op 0
		.amdhsa_exception_fp_denorm_src 0
		.amdhsa_exception_fp_ieee_div_zero 0
		.amdhsa_exception_fp_ieee_overflow 0
		.amdhsa_exception_fp_ieee_underflow 0
		.amdhsa_exception_fp_ieee_inexact 0
		.amdhsa_exception_int_div_zero 0
	.end_amdhsa_kernel
	.section	.text._Z16sort_keys_kernelI22helper_blocked_blockedxLj64ELj4ELj10EEvPKT0_PS1_,"axG",@progbits,_Z16sort_keys_kernelI22helper_blocked_blockedxLj64ELj4ELj10EEvPKT0_PS1_,comdat
.Lfunc_end100:
	.size	_Z16sort_keys_kernelI22helper_blocked_blockedxLj64ELj4ELj10EEvPKT0_PS1_, .Lfunc_end100-_Z16sort_keys_kernelI22helper_blocked_blockedxLj64ELj4ELj10EEvPKT0_PS1_
                                        ; -- End function
	.section	.AMDGPU.csdata,"",@progbits
; Kernel info:
; codeLenInByte = 3220
; NumSgprs: 26
; NumVgprs: 49
; ScratchSize: 0
; MemoryBound: 0
; FloatMode: 240
; IeeeMode: 1
; LDSByteSize: 2064 bytes/workgroup (compile time only)
; SGPRBlocks: 3
; VGPRBlocks: 6
; NumSGPRsForWavesPerEU: 26
; NumVGPRsForWavesPerEU: 49
; Occupancy: 16
; WaveLimiterHint : 1
; COMPUTE_PGM_RSRC2:SCRATCH_EN: 0
; COMPUTE_PGM_RSRC2:USER_SGPR: 15
; COMPUTE_PGM_RSRC2:TRAP_HANDLER: 0
; COMPUTE_PGM_RSRC2:TGID_X_EN: 1
; COMPUTE_PGM_RSRC2:TGID_Y_EN: 0
; COMPUTE_PGM_RSRC2:TGID_Z_EN: 0
; COMPUTE_PGM_RSRC2:TIDIG_COMP_CNT: 2
	.section	.text._Z17sort_pairs_kernelI22helper_blocked_blockedxLj64ELj4ELj10EEvPKT0_PS1_,"axG",@progbits,_Z17sort_pairs_kernelI22helper_blocked_blockedxLj64ELj4ELj10EEvPKT0_PS1_,comdat
	.protected	_Z17sort_pairs_kernelI22helper_blocked_blockedxLj64ELj4ELj10EEvPKT0_PS1_ ; -- Begin function _Z17sort_pairs_kernelI22helper_blocked_blockedxLj64ELj4ELj10EEvPKT0_PS1_
	.globl	_Z17sort_pairs_kernelI22helper_blocked_blockedxLj64ELj4ELj10EEvPKT0_PS1_
	.p2align	8
	.type	_Z17sort_pairs_kernelI22helper_blocked_blockedxLj64ELj4ELj10EEvPKT0_PS1_,@function
_Z17sort_pairs_kernelI22helper_blocked_blockedxLj64ELj4ELj10EEvPKT0_PS1_: ; @_Z17sort_pairs_kernelI22helper_blocked_blockedxLj64ELj4ELj10EEvPKT0_PS1_
; %bb.0:
	s_clause 0x1
	s_load_b128 s[16:19], s[0:1], 0x0
	s_load_b32 s13, s[0:1], 0x1c
	s_mov_b32 s23, 0
	s_lshl_b32 s22, s15, 8
	v_mbcnt_lo_u32_b32 v10, -1, 0
	s_lshl_b64 s[20:21], s[22:23], 3
	s_mov_b32 s22, s23
	s_delay_alu instid0(SALU_CYCLE_1) | instskip(SKIP_3) | instid1(VALU_DEP_2)
	v_dual_mov_b32 v19, s22 :: v_dual_and_b32 v18, 0x3ff, v0
	v_mov_b32_e32 v20, s23
	s_mov_b32 s14, s23
	s_mov_b32 s15, s23
	v_lshlrev_b32_e32 v1, 3, v18
	v_add_nc_u32_e32 v14, -1, v10
	v_bfe_u32 v11, v0, 10, 10
	v_bfe_u32 v0, v0, 20, 10
	v_and_b32_e32 v13, 16, v10
	v_and_b32_e32 v15, 1, v10
	v_cmp_gt_i32_e32 vcc_lo, 0, v14
	v_lshlrev_b32_e32 v41, 5, v18
	s_waitcnt lgkmcnt(0)
	s_add_u32 s0, s16, s20
	s_addc_u32 s1, s17, s21
	s_lshr_b32 s16, s13, 16
	s_clause 0x3
	global_load_b64 v[6:7], v1, s[0:1]
	global_load_b64 v[8:9], v1, s[0:1] offset:512
	global_load_b64 v[2:3], v1, s[0:1] offset:1024
	;; [unrolled: 1-line block ×3, first 2 shown]
	v_dual_mov_b32 v22, s15 :: v_dual_and_b32 v1, 3, v10
	v_mad_u32_u24 v11, v0, s16, v11
	v_cmp_eq_u32_e64 s8, 0, v13
	v_cmp_eq_u32_e64 s12, 0, v15
	s_delay_alu instid0(VALU_DEP_4)
	v_cmp_eq_u32_e64 s1, 3, v1
	v_cmp_eq_u32_e64 s2, 2, v1
	;; [unrolled: 1-line block ×3, first 2 shown]
	v_lshrrev_b32_e32 v1, 3, v18
	v_mul_u32_u24_e32 v15, 28, v18
	s_and_b32 s13, s13, 0xffff
	v_mad_i32_i24 v44, 0xffffffe4, v18, v41
	v_dual_mov_b32 v21, s14 :: v_dual_and_b32 v12, 15, v10
	v_and_b32_e32 v43, 4, v1
	v_cndmask_b32_e32 v13, v14, v10, vcc_lo
	v_lshlrev_b32_e32 v14, 2, v18
	v_mad_u64_u32 v[0:1], null, v11, s13, v[18:19]
	s_delay_alu instid0(VALU_DEP_4) | instskip(SKIP_1) | instid1(VALU_DEP_4)
	v_add_nc_u32_e32 v46, -4, v43
	v_add_nc_u32_e32 v48, v44, v15
	v_and_or_b32 v1, 0x80, v14, v10
	v_cmp_eq_u32_e64 s4, 0, v12
	v_cmp_lt_u32_e64 s5, 1, v12
	v_cmp_lt_u32_e64 s6, 3, v12
	;; [unrolled: 1-line block ×3, first 2 shown]
	v_or_b32_e32 v12, 31, v18
	v_and_b32_e32 v37, 28, v10
	v_cmp_eq_u32_e64 s0, 0, v10
	v_cmp_gt_u32_e64 s9, 2, v18
	v_cmp_lt_u32_e64 s10, 31, v18
	v_cmp_eq_u32_e64 s13, v12, v18
	v_or_b32_e32 v38, 32, v37
	v_or_b32_e32 v39, 64, v37
	;; [unrolled: 1-line block ×3, first 2 shown]
	v_cmp_eq_u32_e64 s11, 0, v18
	v_or_b32_e32 v42, 8, v41
	v_lshlrev_b32_e32 v45, 2, v13
	v_lshlrev_b32_e32 v47, 3, v1
	v_lshrrev_b32_e32 v49, 5, v0
	s_waitcnt vmcnt(3)
	v_add_co_u32 v14, vcc_lo, v6, 1
	v_add_co_ci_u32_e32 v15, vcc_lo, 0, v7, vcc_lo
	s_waitcnt vmcnt(2)
	v_add_co_u32 v16, vcc_lo, v8, 1
	v_add_co_ci_u32_e32 v17, vcc_lo, 0, v9, vcc_lo
	;; [unrolled: 3-line block ×4, first 2 shown]
	s_branch .LBB101_2
.LBB101_1:                              ;   in Loop: Header=BB101_2 Depth=1
	v_lshlrev_b32_e32 v0, 3, v54
	v_lshlrev_b32_e32 v1, 3, v53
	;; [unrolled: 1-line block ×4, first 2 shown]
	s_barrier
	buffer_gl0_inv
	ds_store_b64 v0, v[16:17]
	ds_store_b64 v1, v[35:36]
	;; [unrolled: 1-line block ×4, first 2 shown]
	s_waitcnt lgkmcnt(0)
	s_barrier
	buffer_gl0_inv
	ds_load_2addr_b64 v[6:9], v48 offset1:1
	ds_load_2addr_b64 v[2:5], v48 offset0:2 offset1:3
	s_waitcnt lgkmcnt(0)
	s_barrier
	buffer_gl0_inv
	ds_store_b64 v0, v[25:26]
	ds_store_b64 v1, v[23:24]
	;; [unrolled: 1-line block ×4, first 2 shown]
	s_waitcnt lgkmcnt(0)
	s_barrier
	buffer_gl0_inv
	ds_load_2addr_b64 v[14:17], v48 offset1:1
	ds_load_2addr_b64 v[10:13], v48 offset0:2 offset1:3
	s_add_i32 s23, s23, 1
	s_delay_alu instid0(SALU_CYCLE_1)
	s_cmp_lg_u32 s23, 10
	v_xor_b32_e32 v7, 0x80000000, v7
	v_xor_b32_e32 v9, 0x80000000, v9
	;; [unrolled: 1-line block ×4, first 2 shown]
	s_cbranch_scc0 .LBB101_20
.LBB101_2:                              ; =>This Loop Header: Depth=1
                                        ;     Child Loop BB101_4 Depth 2
	v_xor_b32_e32 v7, 0x80000000, v7
	v_xor_b32_e32 v9, 0x80000000, v9
	ds_bpermute_b32 v0, v37, v6
	ds_bpermute_b32 v1, v37, v8
	v_xor_b32_e32 v3, 0x80000000, v3
	ds_bpermute_b32 v23, v37, v7
	ds_bpermute_b32 v24, v37, v9
	;; [unrolled: 1-line block ×6, first 2 shown]
	v_xor_b32_e32 v29, 0x80000000, v5
	ds_bpermute_b32 v5, v38, v6
	ds_bpermute_b32 v30, v38, v8
	;; [unrolled: 1-line block ×11, first 2 shown]
	s_waitcnt lgkmcnt(17)
	v_cndmask_b32_e64 v0, v0, v1, s3
	ds_bpermute_b32 v51, v39, v2
	ds_bpermute_b32 v52, v39, v4
	s_waitcnt lgkmcnt(17)
	v_cndmask_b32_e64 v1, v23, v24, s3
	ds_bpermute_b32 v23, v39, v7
	ds_bpermute_b32 v24, v39, v9
	s_waitcnt lgkmcnt(18)
	v_cndmask_b32_e64 v0, v0, v25, s2
	s_waitcnt lgkmcnt(15)
	v_cndmask_b32_e64 v25, v27, v28, s3
	v_cndmask_b32_e64 v1, v1, v26, s2
	ds_bpermute_b32 v53, v38, v29
	s_waitcnt lgkmcnt(14)
	v_cndmask_b32_e64 v5, v5, v30, s3
	s_waitcnt lgkmcnt(13)
	v_cndmask_b32_e64 v0, v0, v31, s1
	;; [unrolled: 2-line block ×4, first 2 shown]
	ds_bpermute_b32 v7, v40, v7
	ds_bpermute_b32 v9, v40, v9
	;; [unrolled: 1-line block ×7, first 2 shown]
	s_waitcnt lgkmcnt(16)
	v_cndmask_b32_e64 v2, v36, v50, s3
	ds_bpermute_b32 v36, v40, v4
	ds_bpermute_b32 v26, v39, v3
	ds_bpermute_b32 v50, v37, v10
	s_waitcnt lgkmcnt(11)
	v_cndmask_b32_e64 v4, v23, v24, s3
	ds_bpermute_b32 v23, v38, v14
	ds_bpermute_b32 v24, v38, v16
	ds_bpermute_b32 v27, v39, v29
	ds_bpermute_b32 v54, v40, v3
	ds_bpermute_b32 v55, v37, v11
	v_cndmask_b32_e64 v3, v5, v34, s2
	v_cndmask_b32_e64 v6, v6, v8, s3
	;; [unrolled: 1-line block ×3, first 2 shown]
	ds_bpermute_b32 v34, v39, v17
	s_waitcnt lgkmcnt(14)
	v_cndmask_b32_e64 v7, v7, v9, s3
	v_cndmask_b32_e64 v2, v3, v35, s1
	;; [unrolled: 1-line block ×3, first 2 shown]
	s_waitcnt lgkmcnt(13)
	v_cndmask_b32_e64 v6, v6, v28, s2
	s_waitcnt lgkmcnt(10)
	v_cndmask_b32_e64 v8, v30, v32, s3
	;; [unrolled: 2-line block ×3, first 2 shown]
	ds_bpermute_b32 v25, v40, v29
	ds_bpermute_b32 v28, v38, v15
	;; [unrolled: 1-line block ×6, first 2 shown]
	s_waitcnt lgkmcnt(10)
	v_cndmask_b32_e64 v23, v23, v24, s3
	ds_bpermute_b32 v24, v38, v10
	ds_bpermute_b32 v14, v40, v14
	;; [unrolled: 1-line block ×5, first 2 shown]
	v_cndmask_b32_e64 v26, v4, v26, s2
	v_cndmask_b32_e64 v6, v6, v36, s1
	;; [unrolled: 1-line block ×3, first 2 shown]
	ds_bpermute_b32 v30, v38, v11
	ds_bpermute_b32 v36, v39, v11
	;; [unrolled: 1-line block ×5, first 2 shown]
	v_cndmask_b32_e64 v4, v5, v52, s1
	s_waitcnt lgkmcnt(19)
	v_cndmask_b32_e64 v5, v26, v27, s1
	s_waitcnt lgkmcnt(18)
	;; [unrolled: 2-line block ×3, first 2 shown]
	v_cndmask_b32_e64 v9, v9, v55, s2
	ds_bpermute_b32 v26, v37, v12
	ds_bpermute_b32 v27, v37, v13
	ds_bpermute_b32 v35, v38, v13
	ds_bpermute_b32 v52, v38, v12
	ds_bpermute_b32 v53, v39, v13
	ds_bpermute_b32 v54, v39, v12
	ds_bpermute_b32 v55, v40, v13
	ds_bpermute_b32 v56, v40, v12
	s_waitcnt lgkmcnt(21)
	v_cndmask_b32_e64 v11, v28, v29, s3
	s_waitcnt lgkmcnt(17)
	v_cndmask_b32_e64 v12, v23, v24, s2
	v_cndmask_b32_e64 v13, v32, v34, s3
	;; [unrolled: 1-line block ×3, first 2 shown]
	s_waitcnt lgkmcnt(14)
	v_cndmask_b32_e64 v15, v15, v17, s3
	s_waitcnt lgkmcnt(13)
	v_cndmask_b32_e64 v14, v14, v16, s3
	;; [unrolled: 2-line block ×7, first 2 shown]
	v_cndmask_b32_e64 v7, v7, v25, s1
	s_waitcnt lgkmcnt(7)
	v_cndmask_b32_e64 v8, v8, v26, s1
	s_waitcnt lgkmcnt(6)
	;; [unrolled: 2-line block ×8, first 2 shown]
	v_cndmask_b32_e64 v14, v14, v56, s1
	s_mov_b64 s[16:17], 0
	s_barrier
	s_branch .LBB101_4
.LBB101_3:                              ;   in Loop: Header=BB101_4 Depth=2
	v_lshlrev_b32_e32 v8, 3, v54
	v_lshlrev_b32_e32 v9, 3, v53
	;; [unrolled: 1-line block ×4, first 2 shown]
	s_barrier
	buffer_gl0_inv
	ds_store_b64 v8, v[16:17]
	ds_store_b64 v9, v[35:36]
	;; [unrolled: 1-line block ×4, first 2 shown]
	s_waitcnt lgkmcnt(0)
	s_barrier
	buffer_gl0_inv
	ds_load_2addr_b64 v[0:3], v47 offset1:32
	ds_load_2addr_b64 v[4:7], v47 offset0:64 offset1:96
	s_waitcnt lgkmcnt(0)
	s_barrier
	buffer_gl0_inv
	ds_store_b64 v8, v[25:26]
	ds_store_b64 v9, v[23:24]
	;; [unrolled: 1-line block ×4, first 2 shown]
	s_waitcnt lgkmcnt(0)
	s_barrier
	buffer_gl0_inv
	ds_load_2addr_b64 v[8:11], v47 offset1:32
	ds_load_2addr_b64 v[12:15], v47 offset0:64 offset1:96
	s_add_u32 s16, s16, 8
	s_addc_u32 s17, s17, 0
	s_waitcnt lgkmcnt(0)
	s_barrier
	s_cbranch_execz .LBB101_1
.LBB101_4:                              ;   Parent Loop BB101_2 Depth=1
                                        ; =>  This Inner Loop Header: Depth=2
	v_dual_mov_b32 v17, v1 :: v_dual_mov_b32 v16, v0
	buffer_gl0_inv
	ds_store_2addr_b64 v41, v[19:20], v[21:22] offset0:1 offset1:2
	ds_store_2addr_b64 v42, v[19:20], v[21:22] offset0:2 offset1:3
	s_waitcnt lgkmcnt(0)
	s_barrier
	v_lshrrev_b64 v[50:51], s16, v[16:17]
	buffer_gl0_inv
	; wave barrier
	v_mov_b32_e32 v32, v7
	v_mov_b32_e32 v34, v5
	v_dual_mov_b32 v31, v6 :: v_dual_and_b32 v0, 1, v50
	v_lshlrev_b32_e32 v1, 30, v50
	v_lshlrev_b32_e32 v23, 29, v50
	v_dual_mov_b32 v33, v4 :: v_dual_lshlrev_b32 v24, 28, v50
	s_delay_alu instid0(VALU_DEP_4) | instskip(NEXT) | instid1(VALU_DEP_1)
	v_add_co_u32 v0, s14, v0, -1
	v_cndmask_b32_e64 v25, 0, 1, s14
	v_not_b32_e32 v29, v1
	v_cmp_gt_i32_e64 s14, 0, v1
	v_not_b32_e32 v1, v23
	v_lshlrev_b32_e32 v26, 27, v50
	v_cmp_ne_u32_e32 vcc_lo, 0, v25
	v_ashrrev_i32_e32 v29, 31, v29
	v_dual_mov_b32 v36, v3 :: v_dual_lshlrev_b32 v27, 26, v50
	v_ashrrev_i32_e32 v1, 31, v1
	v_xor_b32_e32 v0, vcc_lo, v0
	v_cmp_gt_i32_e32 vcc_lo, 0, v23
	v_not_b32_e32 v23, v24
	v_xor_b32_e32 v29, s14, v29
	v_cmp_gt_i32_e64 s14, 0, v24
	v_and_b32_e32 v0, exec_lo, v0
	v_xor_b32_e32 v1, vcc_lo, v1
	v_ashrrev_i32_e32 v23, 31, v23
	v_mov_b32_e32 v35, v2
	v_not_b32_e32 v24, v26
	v_and_b32_e32 v0, v0, v29
	v_cmp_gt_i32_e32 vcc_lo, 0, v26
	v_not_b32_e32 v26, v27
	v_xor_b32_e32 v23, s14, v23
	v_ashrrev_i32_e32 v24, 31, v24
	v_and_b32_e32 v0, v0, v1
	v_cmp_gt_i32_e64 s14, 0, v27
	v_ashrrev_i32_e32 v26, 31, v26
	v_lshlrev_b32_e32 v25, 24, v50
	v_xor_b32_e32 v24, vcc_lo, v24
	v_and_b32_e32 v0, v0, v23
	v_lshlrev_b32_e32 v28, 25, v50
	v_xor_b32_e32 v26, s14, v26
	v_not_b32_e32 v23, v25
	v_cmp_gt_i32_e64 s14, 0, v25
	v_and_b32_e32 v0, v0, v24
	v_dual_mov_b32 v30, v13 :: v_dual_mov_b32 v29, v12
	s_delay_alu instid0(VALU_DEP_4) | instskip(NEXT) | instid1(VALU_DEP_3)
	v_ashrrev_i32_e32 v23, 31, v23
	v_and_b32_e32 v0, v0, v26
	v_dual_mov_b32 v26, v9 :: v_dual_mov_b32 v25, v8
	v_not_b32_e32 v1, v28
	v_cmp_gt_i32_e32 vcc_lo, 0, v28
	v_xor_b32_e32 v6, s14, v23
	v_mov_b32_e32 v24, v11
	v_mov_b32_e32 v28, v15
	v_ashrrev_i32_e32 v1, 31, v1
	v_mov_b32_e32 v23, v10
	v_mov_b32_e32 v27, v14
	s_delay_alu instid0(VALU_DEP_3) | instskip(NEXT) | instid1(VALU_DEP_1)
	v_xor_b32_e32 v1, vcc_lo, v1
	v_and_b32_e32 v0, v0, v1
	v_and_b32_e32 v1, 0xff, v50
	s_delay_alu instid0(VALU_DEP_2) | instskip(NEXT) | instid1(VALU_DEP_2)
	v_and_b32_e32 v0, v0, v6
	v_lshl_add_u32 v1, v1, 1, v49
	s_delay_alu instid0(VALU_DEP_2) | instskip(SKIP_1) | instid1(VALU_DEP_3)
	v_mbcnt_lo_u32_b32 v8, v0, 0
	v_cmp_ne_u32_e64 s14, 0, v0
	v_lshl_add_u32 v9, v1, 2, 8
	s_delay_alu instid0(VALU_DEP_3) | instskip(NEXT) | instid1(VALU_DEP_3)
	v_cmp_eq_u32_e32 vcc_lo, 0, v8
	s_and_b32 s15, s14, vcc_lo
	s_delay_alu instid0(SALU_CYCLE_1)
	s_and_saveexec_b32 s14, s15
	s_cbranch_execz .LBB101_6
; %bb.5:                                ;   in Loop: Header=BB101_4 Depth=2
	v_bcnt_u32_b32 v0, v0, 0
	ds_store_b32 v9, v0
.LBB101_6:                              ;   in Loop: Header=BB101_4 Depth=2
	s_or_b32 exec_lo, exec_lo, s14
	v_lshrrev_b64 v[0:1], s16, v[35:36]
	; wave barrier
	s_delay_alu instid0(VALU_DEP_1)
	v_and_b32_e32 v2, 1, v0
	v_lshlrev_b32_e32 v3, 30, v0
	v_lshlrev_b32_e32 v4, 29, v0
	;; [unrolled: 1-line block ×4, first 2 shown]
	v_add_co_u32 v2, s14, v2, -1
	s_delay_alu instid0(VALU_DEP_1)
	v_cndmask_b32_e64 v6, 0, 1, s14
	v_not_b32_e32 v12, v3
	v_cmp_gt_i32_e64 s14, 0, v3
	v_not_b32_e32 v3, v4
	v_lshlrev_b32_e32 v10, 26, v0
	v_cmp_ne_u32_e32 vcc_lo, 0, v6
	v_ashrrev_i32_e32 v6, 31, v12
	v_lshlrev_b32_e32 v11, 25, v0
	v_ashrrev_i32_e32 v3, 31, v3
	v_and_b32_e32 v1, 0xff, v0
	v_xor_b32_e32 v2, vcc_lo, v2
	v_cmp_gt_i32_e32 vcc_lo, 0, v4
	v_not_b32_e32 v4, v5
	v_xor_b32_e32 v6, s14, v6
	v_cmp_gt_i32_e64 s14, 0, v5
	v_and_b32_e32 v2, exec_lo, v2
	v_not_b32_e32 v5, v7
	v_ashrrev_i32_e32 v4, 31, v4
	v_xor_b32_e32 v3, vcc_lo, v3
	v_cmp_gt_i32_e32 vcc_lo, 0, v7
	v_and_b32_e32 v2, v2, v6
	v_not_b32_e32 v6, v10
	v_ashrrev_i32_e32 v5, 31, v5
	v_xor_b32_e32 v4, s14, v4
	v_lshlrev_b32_e32 v0, 24, v0
	v_and_b32_e32 v2, v2, v3
	v_cmp_gt_i32_e64 s14, 0, v10
	v_not_b32_e32 v3, v11
	v_ashrrev_i32_e32 v6, 31, v6
	v_xor_b32_e32 v5, vcc_lo, v5
	v_and_b32_e32 v2, v2, v4
	v_cmp_gt_i32_e32 vcc_lo, 0, v11
	v_not_b32_e32 v4, v0
	v_ashrrev_i32_e32 v3, 31, v3
	v_xor_b32_e32 v6, s14, v6
	v_and_b32_e32 v2, v2, v5
	v_lshlrev_b32_e32 v1, 1, v1
	v_cmp_gt_i32_e64 s14, 0, v0
	v_ashrrev_i32_e32 v0, 31, v4
	v_xor_b32_e32 v3, vcc_lo, v3
	v_and_b32_e32 v2, v2, v6
	v_add_lshl_u32 v1, v1, v49, 2
	s_delay_alu instid0(VALU_DEP_4) | instskip(NEXT) | instid1(VALU_DEP_3)
	v_xor_b32_e32 v0, s14, v0
	v_and_b32_e32 v2, v2, v3
	ds_load_b32 v10, v1 offset:8
	v_add_nc_u32_e32 v12, 8, v1
	; wave barrier
	v_and_b32_e32 v0, v2, v0
	s_delay_alu instid0(VALU_DEP_1) | instskip(SKIP_1) | instid1(VALU_DEP_2)
	v_mbcnt_lo_u32_b32 v11, v0, 0
	v_cmp_ne_u32_e64 s14, 0, v0
	v_cmp_eq_u32_e32 vcc_lo, 0, v11
	s_delay_alu instid0(VALU_DEP_2) | instskip(NEXT) | instid1(SALU_CYCLE_1)
	s_and_b32 s15, s14, vcc_lo
	s_and_saveexec_b32 s14, s15
	s_cbranch_execz .LBB101_8
; %bb.7:                                ;   in Loop: Header=BB101_4 Depth=2
	s_waitcnt lgkmcnt(0)
	v_bcnt_u32_b32 v0, v0, v10
	ds_store_b32 v12, v0
.LBB101_8:                              ;   in Loop: Header=BB101_4 Depth=2
	s_or_b32 exec_lo, exec_lo, s14
	v_lshrrev_b64 v[0:1], s16, v[33:34]
	; wave barrier
	s_delay_alu instid0(VALU_DEP_1)
	v_and_b32_e32 v2, 1, v0
	v_lshlrev_b32_e32 v3, 30, v0
	v_lshlrev_b32_e32 v4, 29, v0
	;; [unrolled: 1-line block ×4, first 2 shown]
	v_add_co_u32 v2, s14, v2, -1
	s_delay_alu instid0(VALU_DEP_1)
	v_cndmask_b32_e64 v6, 0, 1, s14
	v_not_b32_e32 v15, v3
	v_cmp_gt_i32_e64 s14, 0, v3
	v_not_b32_e32 v3, v4
	v_lshlrev_b32_e32 v13, 26, v0
	v_cmp_ne_u32_e32 vcc_lo, 0, v6
	v_ashrrev_i32_e32 v6, 31, v15
	v_lshlrev_b32_e32 v14, 25, v0
	v_ashrrev_i32_e32 v3, 31, v3
	v_and_b32_e32 v1, 0xff, v0
	v_xor_b32_e32 v2, vcc_lo, v2
	v_cmp_gt_i32_e32 vcc_lo, 0, v4
	v_not_b32_e32 v4, v5
	v_xor_b32_e32 v6, s14, v6
	v_cmp_gt_i32_e64 s14, 0, v5
	v_and_b32_e32 v2, exec_lo, v2
	v_not_b32_e32 v5, v7
	v_ashrrev_i32_e32 v4, 31, v4
	v_xor_b32_e32 v3, vcc_lo, v3
	v_cmp_gt_i32_e32 vcc_lo, 0, v7
	v_and_b32_e32 v2, v2, v6
	v_not_b32_e32 v6, v13
	v_ashrrev_i32_e32 v5, 31, v5
	v_xor_b32_e32 v4, s14, v4
	v_lshlrev_b32_e32 v0, 24, v0
	v_and_b32_e32 v2, v2, v3
	v_cmp_gt_i32_e64 s14, 0, v13
	v_not_b32_e32 v3, v14
	v_ashrrev_i32_e32 v6, 31, v6
	v_xor_b32_e32 v5, vcc_lo, v5
	v_and_b32_e32 v2, v2, v4
	v_cmp_gt_i32_e32 vcc_lo, 0, v14
	v_not_b32_e32 v4, v0
	v_ashrrev_i32_e32 v3, 31, v3
	v_xor_b32_e32 v6, s14, v6
	v_and_b32_e32 v2, v2, v5
	v_lshlrev_b32_e32 v1, 1, v1
	v_cmp_gt_i32_e64 s14, 0, v0
	v_ashrrev_i32_e32 v0, 31, v4
	v_xor_b32_e32 v3, vcc_lo, v3
	v_and_b32_e32 v2, v2, v6
	v_add_lshl_u32 v1, v1, v49, 2
	s_delay_alu instid0(VALU_DEP_4) | instskip(NEXT) | instid1(VALU_DEP_3)
	v_xor_b32_e32 v0, s14, v0
	v_and_b32_e32 v2, v2, v3
	ds_load_b32 v13, v1 offset:8
	v_add_nc_u32_e32 v15, 8, v1
	; wave barrier
	v_and_b32_e32 v0, v2, v0
	s_delay_alu instid0(VALU_DEP_1) | instskip(SKIP_1) | instid1(VALU_DEP_2)
	v_mbcnt_lo_u32_b32 v14, v0, 0
	v_cmp_ne_u32_e64 s14, 0, v0
	v_cmp_eq_u32_e32 vcc_lo, 0, v14
	s_delay_alu instid0(VALU_DEP_2) | instskip(NEXT) | instid1(SALU_CYCLE_1)
	s_and_b32 s15, s14, vcc_lo
	s_and_saveexec_b32 s14, s15
	s_cbranch_execz .LBB101_10
; %bb.9:                                ;   in Loop: Header=BB101_4 Depth=2
	s_waitcnt lgkmcnt(0)
	v_bcnt_u32_b32 v0, v0, v13
	ds_store_b32 v15, v0
.LBB101_10:                             ;   in Loop: Header=BB101_4 Depth=2
	s_or_b32 exec_lo, exec_lo, s14
	v_lshrrev_b64 v[0:1], s16, v[31:32]
	; wave barrier
	s_delay_alu instid0(VALU_DEP_1)
	v_and_b32_e32 v2, 1, v0
	v_lshlrev_b32_e32 v3, 30, v0
	v_lshlrev_b32_e32 v4, 29, v0
	;; [unrolled: 1-line block ×4, first 2 shown]
	v_add_co_u32 v2, s14, v2, -1
	s_delay_alu instid0(VALU_DEP_1)
	v_cndmask_b32_e64 v6, 0, 1, s14
	v_not_b32_e32 v52, v3
	v_cmp_gt_i32_e64 s14, 0, v3
	v_not_b32_e32 v3, v4
	v_lshlrev_b32_e32 v50, 26, v0
	v_cmp_ne_u32_e32 vcc_lo, 0, v6
	v_ashrrev_i32_e32 v6, 31, v52
	v_lshlrev_b32_e32 v51, 25, v0
	v_ashrrev_i32_e32 v3, 31, v3
	v_and_b32_e32 v1, 0xff, v0
	v_xor_b32_e32 v2, vcc_lo, v2
	v_cmp_gt_i32_e32 vcc_lo, 0, v4
	v_not_b32_e32 v4, v5
	v_xor_b32_e32 v6, s14, v6
	v_cmp_gt_i32_e64 s14, 0, v5
	v_and_b32_e32 v2, exec_lo, v2
	v_not_b32_e32 v5, v7
	v_ashrrev_i32_e32 v4, 31, v4
	v_xor_b32_e32 v3, vcc_lo, v3
	v_cmp_gt_i32_e32 vcc_lo, 0, v7
	v_and_b32_e32 v2, v2, v6
	v_not_b32_e32 v6, v50
	v_ashrrev_i32_e32 v5, 31, v5
	v_xor_b32_e32 v4, s14, v4
	v_lshlrev_b32_e32 v0, 24, v0
	v_and_b32_e32 v2, v2, v3
	v_cmp_gt_i32_e64 s14, 0, v50
	v_not_b32_e32 v3, v51
	v_ashrrev_i32_e32 v6, 31, v6
	v_xor_b32_e32 v5, vcc_lo, v5
	v_and_b32_e32 v2, v2, v4
	v_cmp_gt_i32_e32 vcc_lo, 0, v51
	v_not_b32_e32 v4, v0
	v_ashrrev_i32_e32 v3, 31, v3
	v_xor_b32_e32 v6, s14, v6
	v_and_b32_e32 v2, v2, v5
	v_lshlrev_b32_e32 v1, 1, v1
	v_cmp_gt_i32_e64 s14, 0, v0
	v_ashrrev_i32_e32 v0, 31, v4
	v_xor_b32_e32 v3, vcc_lo, v3
	v_and_b32_e32 v2, v2, v6
	v_add_lshl_u32 v1, v1, v49, 2
	s_delay_alu instid0(VALU_DEP_4) | instskip(NEXT) | instid1(VALU_DEP_3)
	v_xor_b32_e32 v0, s14, v0
	v_and_b32_e32 v2, v2, v3
	ds_load_b32 v50, v1 offset:8
	v_add_nc_u32_e32 v52, 8, v1
	; wave barrier
	v_and_b32_e32 v0, v2, v0
	s_delay_alu instid0(VALU_DEP_1) | instskip(SKIP_1) | instid1(VALU_DEP_2)
	v_mbcnt_lo_u32_b32 v51, v0, 0
	v_cmp_ne_u32_e64 s14, 0, v0
	v_cmp_eq_u32_e32 vcc_lo, 0, v51
	s_delay_alu instid0(VALU_DEP_2) | instskip(NEXT) | instid1(SALU_CYCLE_1)
	s_and_b32 s15, s14, vcc_lo
	s_and_saveexec_b32 s14, s15
	s_cbranch_execz .LBB101_12
; %bb.11:                               ;   in Loop: Header=BB101_4 Depth=2
	s_waitcnt lgkmcnt(0)
	v_bcnt_u32_b32 v0, v0, v50
	ds_store_b32 v52, v0
.LBB101_12:                             ;   in Loop: Header=BB101_4 Depth=2
	s_or_b32 exec_lo, exec_lo, s14
	; wave barrier
	s_waitcnt lgkmcnt(0)
	s_barrier
	buffer_gl0_inv
	ds_load_2addr_b64 v[4:7], v41 offset0:1 offset1:2
	ds_load_2addr_b64 v[0:3], v42 offset0:2 offset1:3
	s_waitcnt lgkmcnt(1)
	v_add_nc_u32_e32 v53, v5, v4
	s_delay_alu instid0(VALU_DEP_1) | instskip(SKIP_1) | instid1(VALU_DEP_1)
	v_add3_u32 v53, v53, v6, v7
	s_waitcnt lgkmcnt(0)
	v_add3_u32 v53, v53, v0, v1
	s_delay_alu instid0(VALU_DEP_1) | instskip(NEXT) | instid1(VALU_DEP_1)
	v_add3_u32 v3, v53, v2, v3
	v_mov_b32_dpp v53, v3 row_shr:1 row_mask:0xf bank_mask:0xf
	s_delay_alu instid0(VALU_DEP_1) | instskip(NEXT) | instid1(VALU_DEP_1)
	v_cndmask_b32_e64 v53, v53, 0, s4
	v_add_nc_u32_e32 v3, v53, v3
	s_delay_alu instid0(VALU_DEP_1) | instskip(NEXT) | instid1(VALU_DEP_1)
	v_mov_b32_dpp v53, v3 row_shr:2 row_mask:0xf bank_mask:0xf
	v_cndmask_b32_e64 v53, 0, v53, s5
	s_delay_alu instid0(VALU_DEP_1) | instskip(NEXT) | instid1(VALU_DEP_1)
	v_add_nc_u32_e32 v3, v3, v53
	v_mov_b32_dpp v53, v3 row_shr:4 row_mask:0xf bank_mask:0xf
	s_delay_alu instid0(VALU_DEP_1) | instskip(NEXT) | instid1(VALU_DEP_1)
	v_cndmask_b32_e64 v53, 0, v53, s6
	v_add_nc_u32_e32 v3, v3, v53
	s_delay_alu instid0(VALU_DEP_1) | instskip(NEXT) | instid1(VALU_DEP_1)
	v_mov_b32_dpp v53, v3 row_shr:8 row_mask:0xf bank_mask:0xf
	v_cndmask_b32_e64 v53, 0, v53, s7
	s_delay_alu instid0(VALU_DEP_1) | instskip(SKIP_3) | instid1(VALU_DEP_1)
	v_add_nc_u32_e32 v3, v3, v53
	ds_swizzle_b32 v53, v3 offset:swizzle(BROADCAST,32,15)
	s_waitcnt lgkmcnt(0)
	v_cndmask_b32_e64 v53, v53, 0, s8
	v_add_nc_u32_e32 v3, v3, v53
	s_and_saveexec_b32 s14, s13
	s_cbranch_execz .LBB101_14
; %bb.13:                               ;   in Loop: Header=BB101_4 Depth=2
	ds_store_b32 v43, v3
.LBB101_14:                             ;   in Loop: Header=BB101_4 Depth=2
	s_or_b32 exec_lo, exec_lo, s14
	s_waitcnt lgkmcnt(0)
	s_barrier
	buffer_gl0_inv
	s_and_saveexec_b32 s14, s9
	s_cbranch_execz .LBB101_16
; %bb.15:                               ;   in Loop: Header=BB101_4 Depth=2
	ds_load_b32 v53, v44
	s_waitcnt lgkmcnt(0)
	v_mov_b32_dpp v54, v53 row_shr:1 row_mask:0xf bank_mask:0xf
	s_delay_alu instid0(VALU_DEP_1) | instskip(NEXT) | instid1(VALU_DEP_1)
	v_cndmask_b32_e64 v54, v54, 0, s12
	v_add_nc_u32_e32 v53, v54, v53
	ds_store_b32 v44, v53
.LBB101_16:                             ;   in Loop: Header=BB101_4 Depth=2
	s_or_b32 exec_lo, exec_lo, s14
	v_mov_b32_e32 v53, 0
	s_waitcnt lgkmcnt(0)
	s_barrier
	buffer_gl0_inv
	s_and_saveexec_b32 s14, s10
	s_cbranch_execz .LBB101_18
; %bb.17:                               ;   in Loop: Header=BB101_4 Depth=2
	ds_load_b32 v53, v46
.LBB101_18:                             ;   in Loop: Header=BB101_4 Depth=2
	s_or_b32 exec_lo, exec_lo, s14
	s_waitcnt lgkmcnt(0)
	v_add_nc_u32_e32 v3, v53, v3
	s_cmp_gt_u32 s16, 55
	ds_bpermute_b32 v3, v45, v3
	s_waitcnt lgkmcnt(0)
	v_cndmask_b32_e64 v3, v3, v53, s0
	s_delay_alu instid0(VALU_DEP_1) | instskip(NEXT) | instid1(VALU_DEP_1)
	v_cndmask_b32_e64 v3, v3, 0, s11
	v_add_nc_u32_e32 v4, v3, v4
	s_delay_alu instid0(VALU_DEP_1) | instskip(NEXT) | instid1(VALU_DEP_1)
	v_add_nc_u32_e32 v5, v4, v5
	v_add_nc_u32_e32 v6, v5, v6
	s_delay_alu instid0(VALU_DEP_1) | instskip(NEXT) | instid1(VALU_DEP_1)
	v_add_nc_u32_e32 v53, v6, v7
	;; [unrolled: 3-line block ×3, first 2 shown]
	v_add_nc_u32_e32 v1, v0, v2
	ds_store_2addr_b64 v41, v[3:4], v[5:6] offset0:1 offset1:2
	ds_store_2addr_b64 v42, v[53:54], v[0:1] offset0:2 offset1:3
	s_waitcnt lgkmcnt(0)
	s_barrier
	buffer_gl0_inv
	ds_load_b32 v0, v9
	ds_load_b32 v1, v12
	;; [unrolled: 1-line block ×4, first 2 shown]
	s_waitcnt lgkmcnt(3)
	v_add_nc_u32_e32 v54, v0, v8
	s_waitcnt lgkmcnt(2)
	v_add3_u32 v53, v11, v10, v1
	s_waitcnt lgkmcnt(1)
	v_add3_u32 v52, v14, v13, v2
	;; [unrolled: 2-line block ×3, first 2 shown]
	s_cbranch_scc0 .LBB101_3
; %bb.19:                               ;   in Loop: Header=BB101_2 Depth=1
                                        ; implicit-def: $vgpr6_vgpr7
                                        ; implicit-def: $vgpr2_vgpr3
                                        ; implicit-def: $vgpr8_vgpr9
                                        ; implicit-def: $vgpr12_vgpr13
                                        ; implicit-def: $sgpr16_sgpr17
	s_branch .LBB101_1
.LBB101_20:
	s_waitcnt lgkmcnt(1)
	v_add_co_u32 v0, vcc_lo, v14, v6
	v_add_co_ci_u32_e32 v1, vcc_lo, v15, v7, vcc_lo
	v_add_co_u32 v6, vcc_lo, v16, v8
	v_add_co_ci_u32_e32 v7, vcc_lo, v17, v9, vcc_lo
	s_waitcnt lgkmcnt(0)
	v_add_co_u32 v2, vcc_lo, v10, v2
	v_add_co_ci_u32_e32 v3, vcc_lo, v11, v3, vcc_lo
	v_lshlrev_b32_e32 v8, 3, v18
	v_add_co_u32 v4, vcc_lo, v12, v4
	s_add_u32 s0, s18, s20
	v_add_co_ci_u32_e32 v5, vcc_lo, v13, v5, vcc_lo
	s_addc_u32 s1, s19, s21
	s_clause 0x3
	global_store_b64 v8, v[0:1], s[0:1]
	global_store_b64 v8, v[6:7], s[0:1] offset:512
	global_store_b64 v8, v[2:3], s[0:1] offset:1024
	;; [unrolled: 1-line block ×3, first 2 shown]
	s_nop 0
	s_sendmsg sendmsg(MSG_DEALLOC_VGPRS)
	s_endpgm
	.section	.rodata,"a",@progbits
	.p2align	6, 0x0
	.amdhsa_kernel _Z17sort_pairs_kernelI22helper_blocked_blockedxLj64ELj4ELj10EEvPKT0_PS1_
		.amdhsa_group_segment_fixed_size 2064
		.amdhsa_private_segment_fixed_size 0
		.amdhsa_kernarg_size 272
		.amdhsa_user_sgpr_count 15
		.amdhsa_user_sgpr_dispatch_ptr 0
		.amdhsa_user_sgpr_queue_ptr 0
		.amdhsa_user_sgpr_kernarg_segment_ptr 1
		.amdhsa_user_sgpr_dispatch_id 0
		.amdhsa_user_sgpr_private_segment_size 0
		.amdhsa_wavefront_size32 1
		.amdhsa_uses_dynamic_stack 0
		.amdhsa_enable_private_segment 0
		.amdhsa_system_sgpr_workgroup_id_x 1
		.amdhsa_system_sgpr_workgroup_id_y 0
		.amdhsa_system_sgpr_workgroup_id_z 0
		.amdhsa_system_sgpr_workgroup_info 0
		.amdhsa_system_vgpr_workitem_id 2
		.amdhsa_next_free_vgpr 57
		.amdhsa_next_free_sgpr 24
		.amdhsa_reserve_vcc 1
		.amdhsa_float_round_mode_32 0
		.amdhsa_float_round_mode_16_64 0
		.amdhsa_float_denorm_mode_32 3
		.amdhsa_float_denorm_mode_16_64 3
		.amdhsa_dx10_clamp 1
		.amdhsa_ieee_mode 1
		.amdhsa_fp16_overflow 0
		.amdhsa_workgroup_processor_mode 1
		.amdhsa_memory_ordered 1
		.amdhsa_forward_progress 0
		.amdhsa_shared_vgpr_count 0
		.amdhsa_exception_fp_ieee_invalid_op 0
		.amdhsa_exception_fp_denorm_src 0
		.amdhsa_exception_fp_ieee_div_zero 0
		.amdhsa_exception_fp_ieee_overflow 0
		.amdhsa_exception_fp_ieee_underflow 0
		.amdhsa_exception_fp_ieee_inexact 0
		.amdhsa_exception_int_div_zero 0
	.end_amdhsa_kernel
	.section	.text._Z17sort_pairs_kernelI22helper_blocked_blockedxLj64ELj4ELj10EEvPKT0_PS1_,"axG",@progbits,_Z17sort_pairs_kernelI22helper_blocked_blockedxLj64ELj4ELj10EEvPKT0_PS1_,comdat
.Lfunc_end101:
	.size	_Z17sort_pairs_kernelI22helper_blocked_blockedxLj64ELj4ELj10EEvPKT0_PS1_, .Lfunc_end101-_Z17sort_pairs_kernelI22helper_blocked_blockedxLj64ELj4ELj10EEvPKT0_PS1_
                                        ; -- End function
	.section	.AMDGPU.csdata,"",@progbits
; Kernel info:
; codeLenInByte = 4056
; NumSgprs: 26
; NumVgprs: 57
; ScratchSize: 0
; MemoryBound: 0
; FloatMode: 240
; IeeeMode: 1
; LDSByteSize: 2064 bytes/workgroup (compile time only)
; SGPRBlocks: 3
; VGPRBlocks: 7
; NumSGPRsForWavesPerEU: 26
; NumVGPRsForWavesPerEU: 57
; Occupancy: 16
; WaveLimiterHint : 1
; COMPUTE_PGM_RSRC2:SCRATCH_EN: 0
; COMPUTE_PGM_RSRC2:USER_SGPR: 15
; COMPUTE_PGM_RSRC2:TRAP_HANDLER: 0
; COMPUTE_PGM_RSRC2:TGID_X_EN: 1
; COMPUTE_PGM_RSRC2:TGID_Y_EN: 0
; COMPUTE_PGM_RSRC2:TGID_Z_EN: 0
; COMPUTE_PGM_RSRC2:TIDIG_COMP_CNT: 2
	.section	.text._Z16sort_keys_kernelI22helper_blocked_blockedxLj64ELj8ELj10EEvPKT0_PS1_,"axG",@progbits,_Z16sort_keys_kernelI22helper_blocked_blockedxLj64ELj8ELj10EEvPKT0_PS1_,comdat
	.protected	_Z16sort_keys_kernelI22helper_blocked_blockedxLj64ELj8ELj10EEvPKT0_PS1_ ; -- Begin function _Z16sort_keys_kernelI22helper_blocked_blockedxLj64ELj8ELj10EEvPKT0_PS1_
	.globl	_Z16sort_keys_kernelI22helper_blocked_blockedxLj64ELj8ELj10EEvPKT0_PS1_
	.p2align	8
	.type	_Z16sort_keys_kernelI22helper_blocked_blockedxLj64ELj8ELj10EEvPKT0_PS1_,@function
_Z16sort_keys_kernelI22helper_blocked_blockedxLj64ELj8ELj10EEvPKT0_PS1_: ; @_Z16sort_keys_kernelI22helper_blocked_blockedxLj64ELj8ELj10EEvPKT0_PS1_
; %bb.0:
	s_clause 0x1
	s_load_b128 s[16:19], s[0:1], 0x0
	s_load_b32 s2, s[0:1], 0x1c
	v_mbcnt_lo_u32_b32 v21, -1, 0
	v_and_b32_e32 v17, 0x3ff, v0
	s_mov_b32 s21, 0
	s_lshl_b32 s20, s15, 9
	v_bfe_u32 v18, v0, 10, 10
	s_lshl_b64 s[12:13], s[20:21], 3
	v_lshlrev_b32_e32 v20, 3, v17
	v_bfe_u32 v0, v0, 20, 10
	v_cmp_eq_u32_e64 s8, 0, v21
	s_mov_b32 s20, s21
	s_mov_b32 s14, s21
	;; [unrolled: 1-line block ×4, first 2 shown]
	s_waitcnt lgkmcnt(0)
	s_add_u32 s0, s16, s12
	s_addc_u32 s1, s17, s13
	s_clause 0x7
	global_load_b64 v[13:14], v20, s[0:1]
	global_load_b64 v[15:16], v20, s[0:1] offset:512
	global_load_b64 v[9:10], v20, s[0:1] offset:1024
	;; [unrolled: 1-line block ×7, first 2 shown]
	s_lshr_b32 s0, s2, 16
	s_delay_alu instid0(SALU_CYCLE_1)
	v_mad_u32_u24 v0, v0, s0, v18
	s_and_b32 s0, s2, 0xffff
	s_delay_alu instid0(VALU_DEP_1) | instid1(SALU_CYCLE_1)
	v_mad_u64_u32 v[18:19], null, v0, s0, v[17:18]
	v_and_or_b32 v0, 0x100, v20, v21
	v_and_b32_e32 v19, 15, v21
	s_delay_alu instid0(VALU_DEP_2) | instskip(NEXT) | instid1(VALU_DEP_4)
	v_lshlrev_b32_e32 v36, 3, v0
	v_lshrrev_b32_e32 v38, 5, v18
	v_add_nc_u32_e32 v18, -1, v21
	v_and_b32_e32 v0, 16, v21
	v_cmp_eq_u32_e64 s0, 0, v19
	v_cmp_lt_u32_e64 s1, 1, v19
	v_cmp_lt_u32_e64 s2, 3, v19
	v_cmp_gt_i32_e32 vcc_lo, 0, v18
	v_cmp_eq_u32_e64 s4, 0, v0
	v_cmp_lt_u32_e64 s3, 7, v19
	v_cndmask_b32_e32 v0, v18, v21, vcc_lo
	v_and_b32_e32 v22, 32, v17
	v_lshlrev_b32_e32 v34, 5, v17
	v_lshrrev_b32_e32 v18, 3, v17
	v_cmp_gt_u32_e64 s6, 2, v17
	v_lshlrev_b32_e32 v39, 2, v0
	v_or_b32_e32 v23, v21, v22
	v_or_b32_e32 v20, 31, v22
	v_and_b32_e32 v0, 1, v21
	v_and_b32_e32 v40, 4, v18
	v_mad_i32_i24 v41, 0xffffffe4, v17, v34
	v_mul_u32_u24_e32 v18, 60, v17
	v_lshlrev_b32_e32 v35, 6, v23
	v_or_b32_e32 v37, 8, v34
	v_cmp_eq_u32_e64 s5, v20, v17
	v_cmp_lt_u32_e64 s7, 31, v17
	v_cmp_eq_u32_e64 s9, 0, v17
	v_cmp_eq_u32_e64 s10, 0, v0
	v_add_nc_u32_e32 v42, -4, v40
	v_add_nc_u32_e32 v43, v41, v18
	s_branch .LBB102_2
.LBB102_1:                              ;   in Loop: Header=BB102_2 Depth=1
	v_lshlrev_b32_e32 v0, 3, v57
	v_lshlrev_b32_e32 v1, 3, v54
	v_lshlrev_b32_e32 v2, 3, v51
	s_barrier
	buffer_gl0_inv
	ds_store_b64 v0, v[18:19]
	ds_store_b64 v1, v[32:33]
	;; [unrolled: 1-line block ×3, first 2 shown]
	v_lshlrev_b32_e32 v0, 3, v48
	v_lshlrev_b32_e32 v1, 3, v46
	;; [unrolled: 1-line block ×5, first 2 shown]
	ds_store_b64 v0, v[28:29]
	ds_store_b64 v1, v[26:27]
	;; [unrolled: 1-line block ×5, first 2 shown]
	s_waitcnt lgkmcnt(0)
	s_barrier
	buffer_gl0_inv
	ds_load_2addr_b64 v[13:16], v43 offset1:1
	ds_load_2addr_b64 v[9:12], v43 offset0:2 offset1:3
	ds_load_2addr_b64 v[5:8], v43 offset0:4 offset1:5
	;; [unrolled: 1-line block ×3, first 2 shown]
	s_add_i32 s22, s22, 1
	s_delay_alu instid0(SALU_CYCLE_1)
	s_cmp_eq_u32 s22, 10
	s_waitcnt lgkmcnt(3)
	v_xor_b32_e32 v14, 0x80000000, v14
	v_xor_b32_e32 v16, 0x80000000, v16
	s_waitcnt lgkmcnt(2)
	v_xor_b32_e32 v10, 0x80000000, v10
	v_xor_b32_e32 v12, 0x80000000, v12
	;; [unrolled: 3-line block ×4, first 2 shown]
	s_cbranch_scc1 .LBB102_28
.LBB102_2:                              ; =>This Loop Header: Depth=1
                                        ;     Child Loop BB102_4 Depth 2
	s_waitcnt vmcnt(7)
	v_xor_b32_e32 v14, 0x80000000, v14
	s_waitcnt vmcnt(6)
	v_xor_b32_e32 v16, 0x80000000, v16
	;; [unrolled: 2-line block ×8, first 2 shown]
	ds_store_2addr_b64 v35, v[13:14], v[15:16] offset1:1
	ds_store_2addr_b64 v35, v[9:10], v[11:12] offset0:2 offset1:3
	ds_store_2addr_b64 v35, v[5:6], v[7:8] offset0:4 offset1:5
	ds_store_2addr_b64 v35, v[1:2], v[3:4] offset0:6 offset1:7
	; wave barrier
	ds_load_2addr_b64 v[0:3], v36 offset1:32
	ds_load_2addr_b64 v[4:7], v36 offset0:64 offset1:96
	ds_load_2addr_b64 v[8:11], v36 offset0:128 offset1:160
	;; [unrolled: 1-line block ×3, first 2 shown]
	s_mov_b64 s[16:17], 0
	s_waitcnt lgkmcnt(0)
	s_barrier
	buffer_gl0_inv
	; wave barrier
	s_barrier
	s_branch .LBB102_4
.LBB102_3:                              ;   in Loop: Header=BB102_4 Depth=2
	v_lshlrev_b32_e32 v0, 3, v57
	v_lshlrev_b32_e32 v1, 3, v54
	;; [unrolled: 1-line block ×3, first 2 shown]
	s_barrier
	buffer_gl0_inv
	ds_store_b64 v0, v[18:19]
	ds_store_b64 v1, v[32:33]
	;; [unrolled: 1-line block ×3, first 2 shown]
	v_lshlrev_b32_e32 v0, 3, v48
	v_lshlrev_b32_e32 v1, 3, v46
	;; [unrolled: 1-line block ×5, first 2 shown]
	ds_store_b64 v0, v[28:29]
	ds_store_b64 v1, v[26:27]
	;; [unrolled: 1-line block ×5, first 2 shown]
	s_waitcnt lgkmcnt(0)
	s_barrier
	buffer_gl0_inv
	ds_load_2addr_b64 v[0:3], v36 offset1:32
	ds_load_2addr_b64 v[4:7], v36 offset0:64 offset1:96
	ds_load_2addr_b64 v[8:11], v36 offset0:128 offset1:160
	;; [unrolled: 1-line block ×3, first 2 shown]
	s_add_u32 s16, s16, 8
	s_addc_u32 s17, s17, 0
	s_waitcnt lgkmcnt(0)
	s_barrier
	s_cbranch_execz .LBB102_1
.LBB102_4:                              ;   Parent Loop BB102_2 Depth=1
                                        ; =>  This Inner Loop Header: Depth=2
	v_dual_mov_b32 v19, v1 :: v_dual_mov_b32 v18, v0
	buffer_gl0_inv
	v_mov_b32_e32 v27, v9
	v_dual_mov_b32 v29, v7 :: v_dual_mov_b32 v28, v6
	v_lshrrev_b64 v[44:45], s16, v[18:19]
	v_mov_b32_e32 v6, s14
	v_dual_mov_b32 v26, v8 :: v_dual_mov_b32 v31, v5
	v_mov_b32_e32 v30, v4
	v_mov_b32_e32 v4, s20
	v_and_b32_e32 v0, 1, v44
	v_lshlrev_b32_e32 v1, 30, v44
	v_lshlrev_b32_e32 v16, 29, v44
	;; [unrolled: 1-line block ×4, first 2 shown]
	v_add_co_u32 v0, s11, v0, -1
	s_delay_alu instid0(VALU_DEP_1)
	v_cndmask_b32_e64 v21, 0, 1, s11
	v_not_b32_e32 v25, v1
	v_cmp_gt_i32_e64 s11, 0, v1
	v_not_b32_e32 v1, v16
	v_lshlrev_b32_e32 v23, 26, v44
	v_cmp_ne_u32_e32 vcc_lo, 0, v21
	v_ashrrev_i32_e32 v25, 31, v25
	v_lshlrev_b32_e32 v24, 25, v44
	v_ashrrev_i32_e32 v1, 31, v1
	v_lshlrev_b32_e32 v21, 24, v44
	v_xor_b32_e32 v0, vcc_lo, v0
	v_cmp_gt_i32_e32 vcc_lo, 0, v16
	v_not_b32_e32 v16, v20
	v_xor_b32_e32 v25, s11, v25
	v_cmp_gt_i32_e64 s11, 0, v20
	v_and_b32_e32 v0, exec_lo, v0
	v_not_b32_e32 v20, v22
	v_ashrrev_i32_e32 v16, 31, v16
	v_xor_b32_e32 v1, vcc_lo, v1
	v_cmp_gt_i32_e32 vcc_lo, 0, v22
	v_dual_mov_b32 v5, s21 :: v_dual_and_b32 v0, v0, v25
	v_not_b32_e32 v22, v23
	v_ashrrev_i32_e32 v20, 31, v20
	v_xor_b32_e32 v16, s11, v16
	s_delay_alu instid0(VALU_DEP_4)
	v_dual_mov_b32 v7, s15 :: v_dual_and_b32 v0, v0, v1
	v_cmp_gt_i32_e64 s11, 0, v23
	v_not_b32_e32 v1, v24
	v_ashrrev_i32_e32 v22, 31, v22
	v_xor_b32_e32 v20, vcc_lo, v20
	v_dual_mov_b32 v33, v3 :: v_dual_and_b32 v0, v0, v16
	v_cmp_gt_i32_e32 vcc_lo, 0, v24
	v_mov_b32_e32 v25, v11
	v_ashrrev_i32_e32 v1, 31, v1
	v_xor_b32_e32 v22, s11, v22
	v_and_b32_e32 v0, v0, v20
	v_mov_b32_e32 v24, v10
	v_not_b32_e32 v16, v21
	v_cmp_gt_i32_e64 s11, 0, v21
	v_xor_b32_e32 v1, vcc_lo, v1
	v_dual_mov_b32 v21, v15 :: v_dual_and_b32 v0, v0, v22
	s_delay_alu instid0(VALU_DEP_4) | instskip(SKIP_1) | instid1(VALU_DEP_3)
	v_ashrrev_i32_e32 v16, 31, v16
	v_dual_mov_b32 v23, v13 :: v_dual_mov_b32 v20, v14
	v_and_b32_e32 v0, v0, v1
	v_and_b32_e32 v1, 0xff, v44
	s_delay_alu instid0(VALU_DEP_4)
	v_xor_b32_e32 v10, s11, v16
	v_mov_b32_e32 v22, v12
	v_mov_b32_e32 v32, v2
	ds_store_2addr_b64 v34, v[4:5], v[6:7] offset0:1 offset1:2
	ds_store_2addr_b64 v37, v[4:5], v[6:7] offset0:2 offset1:3
	v_lshl_add_u32 v1, v1, 1, v38
	v_and_b32_e32 v0, v0, v10
	s_waitcnt lgkmcnt(0)
	s_barrier
	buffer_gl0_inv
	v_lshl_add_u32 v9, v1, 2, 8
	v_mbcnt_lo_u32_b32 v8, v0, 0
	v_cmp_ne_u32_e64 s11, 0, v0
	; wave barrier
	s_delay_alu instid0(VALU_DEP_2) | instskip(NEXT) | instid1(VALU_DEP_2)
	v_cmp_eq_u32_e32 vcc_lo, 0, v8
	s_and_b32 s23, s11, vcc_lo
	s_delay_alu instid0(SALU_CYCLE_1)
	s_and_saveexec_b32 s11, s23
	s_cbranch_execz .LBB102_6
; %bb.5:                                ;   in Loop: Header=BB102_4 Depth=2
	v_bcnt_u32_b32 v0, v0, 0
	ds_store_b32 v9, v0
.LBB102_6:                              ;   in Loop: Header=BB102_4 Depth=2
	s_or_b32 exec_lo, exec_lo, s11
	v_lshrrev_b64 v[0:1], s16, v[32:33]
	; wave barrier
	s_delay_alu instid0(VALU_DEP_1)
	v_and_b32_e32 v2, 1, v0
	v_lshlrev_b32_e32 v3, 30, v0
	v_lshlrev_b32_e32 v4, 29, v0
	;; [unrolled: 1-line block ×4, first 2 shown]
	v_add_co_u32 v2, s11, v2, -1
	s_delay_alu instid0(VALU_DEP_1)
	v_cndmask_b32_e64 v6, 0, 1, s11
	v_not_b32_e32 v12, v3
	v_cmp_gt_i32_e64 s11, 0, v3
	v_not_b32_e32 v3, v4
	v_lshlrev_b32_e32 v10, 26, v0
	v_cmp_ne_u32_e32 vcc_lo, 0, v6
	v_ashrrev_i32_e32 v6, 31, v12
	v_lshlrev_b32_e32 v11, 25, v0
	v_ashrrev_i32_e32 v3, 31, v3
	v_and_b32_e32 v1, 0xff, v0
	v_xor_b32_e32 v2, vcc_lo, v2
	v_cmp_gt_i32_e32 vcc_lo, 0, v4
	v_not_b32_e32 v4, v5
	v_xor_b32_e32 v6, s11, v6
	v_cmp_gt_i32_e64 s11, 0, v5
	v_and_b32_e32 v2, exec_lo, v2
	v_not_b32_e32 v5, v7
	v_ashrrev_i32_e32 v4, 31, v4
	v_xor_b32_e32 v3, vcc_lo, v3
	v_cmp_gt_i32_e32 vcc_lo, 0, v7
	v_and_b32_e32 v2, v2, v6
	v_not_b32_e32 v6, v10
	v_ashrrev_i32_e32 v5, 31, v5
	v_xor_b32_e32 v4, s11, v4
	v_lshlrev_b32_e32 v0, 24, v0
	v_and_b32_e32 v2, v2, v3
	v_cmp_gt_i32_e64 s11, 0, v10
	v_not_b32_e32 v3, v11
	v_ashrrev_i32_e32 v6, 31, v6
	v_xor_b32_e32 v5, vcc_lo, v5
	v_and_b32_e32 v2, v2, v4
	v_cmp_gt_i32_e32 vcc_lo, 0, v11
	v_not_b32_e32 v4, v0
	v_ashrrev_i32_e32 v3, 31, v3
	v_xor_b32_e32 v6, s11, v6
	v_and_b32_e32 v2, v2, v5
	v_lshlrev_b32_e32 v1, 1, v1
	v_cmp_gt_i32_e64 s11, 0, v0
	v_ashrrev_i32_e32 v0, 31, v4
	v_xor_b32_e32 v3, vcc_lo, v3
	v_and_b32_e32 v2, v2, v6
	v_add_lshl_u32 v1, v1, v38, 2
	s_delay_alu instid0(VALU_DEP_4) | instskip(NEXT) | instid1(VALU_DEP_3)
	v_xor_b32_e32 v0, s11, v0
	v_and_b32_e32 v2, v2, v3
	ds_load_b32 v10, v1 offset:8
	v_add_nc_u32_e32 v12, 8, v1
	; wave barrier
	v_and_b32_e32 v0, v2, v0
	s_delay_alu instid0(VALU_DEP_1) | instskip(SKIP_1) | instid1(VALU_DEP_2)
	v_mbcnt_lo_u32_b32 v11, v0, 0
	v_cmp_ne_u32_e64 s11, 0, v0
	v_cmp_eq_u32_e32 vcc_lo, 0, v11
	s_delay_alu instid0(VALU_DEP_2) | instskip(NEXT) | instid1(SALU_CYCLE_1)
	s_and_b32 s23, s11, vcc_lo
	s_and_saveexec_b32 s11, s23
	s_cbranch_execz .LBB102_8
; %bb.7:                                ;   in Loop: Header=BB102_4 Depth=2
	s_waitcnt lgkmcnt(0)
	v_bcnt_u32_b32 v0, v0, v10
	ds_store_b32 v12, v0
.LBB102_8:                              ;   in Loop: Header=BB102_4 Depth=2
	s_or_b32 exec_lo, exec_lo, s11
	v_lshrrev_b64 v[0:1], s16, v[30:31]
	; wave barrier
	s_delay_alu instid0(VALU_DEP_1)
	v_and_b32_e32 v2, 1, v0
	v_lshlrev_b32_e32 v3, 30, v0
	v_lshlrev_b32_e32 v4, 29, v0
	;; [unrolled: 1-line block ×4, first 2 shown]
	v_add_co_u32 v2, s11, v2, -1
	s_delay_alu instid0(VALU_DEP_1)
	v_cndmask_b32_e64 v6, 0, 1, s11
	v_not_b32_e32 v15, v3
	v_cmp_gt_i32_e64 s11, 0, v3
	v_not_b32_e32 v3, v4
	v_lshlrev_b32_e32 v13, 26, v0
	v_cmp_ne_u32_e32 vcc_lo, 0, v6
	v_ashrrev_i32_e32 v6, 31, v15
	v_lshlrev_b32_e32 v14, 25, v0
	v_ashrrev_i32_e32 v3, 31, v3
	v_and_b32_e32 v1, 0xff, v0
	v_xor_b32_e32 v2, vcc_lo, v2
	v_cmp_gt_i32_e32 vcc_lo, 0, v4
	v_not_b32_e32 v4, v5
	v_xor_b32_e32 v6, s11, v6
	v_cmp_gt_i32_e64 s11, 0, v5
	v_and_b32_e32 v2, exec_lo, v2
	v_not_b32_e32 v5, v7
	v_ashrrev_i32_e32 v4, 31, v4
	v_xor_b32_e32 v3, vcc_lo, v3
	v_cmp_gt_i32_e32 vcc_lo, 0, v7
	v_and_b32_e32 v2, v2, v6
	v_not_b32_e32 v6, v13
	v_ashrrev_i32_e32 v5, 31, v5
	v_xor_b32_e32 v4, s11, v4
	v_lshlrev_b32_e32 v0, 24, v0
	v_and_b32_e32 v2, v2, v3
	v_cmp_gt_i32_e64 s11, 0, v13
	v_not_b32_e32 v3, v14
	v_ashrrev_i32_e32 v6, 31, v6
	v_xor_b32_e32 v5, vcc_lo, v5
	v_and_b32_e32 v2, v2, v4
	v_cmp_gt_i32_e32 vcc_lo, 0, v14
	v_not_b32_e32 v4, v0
	v_ashrrev_i32_e32 v3, 31, v3
	v_xor_b32_e32 v6, s11, v6
	v_and_b32_e32 v2, v2, v5
	v_lshlrev_b32_e32 v1, 1, v1
	v_cmp_gt_i32_e64 s11, 0, v0
	v_ashrrev_i32_e32 v0, 31, v4
	v_xor_b32_e32 v3, vcc_lo, v3
	v_and_b32_e32 v2, v2, v6
	v_add_lshl_u32 v1, v1, v38, 2
	s_delay_alu instid0(VALU_DEP_4) | instskip(NEXT) | instid1(VALU_DEP_3)
	v_xor_b32_e32 v0, s11, v0
	v_and_b32_e32 v2, v2, v3
	ds_load_b32 v13, v1 offset:8
	v_add_nc_u32_e32 v15, 8, v1
	; wave barrier
	v_and_b32_e32 v0, v2, v0
	s_delay_alu instid0(VALU_DEP_1) | instskip(SKIP_1) | instid1(VALU_DEP_2)
	v_mbcnt_lo_u32_b32 v14, v0, 0
	v_cmp_ne_u32_e64 s11, 0, v0
	v_cmp_eq_u32_e32 vcc_lo, 0, v14
	s_delay_alu instid0(VALU_DEP_2) | instskip(NEXT) | instid1(SALU_CYCLE_1)
	s_and_b32 s23, s11, vcc_lo
	s_and_saveexec_b32 s11, s23
	s_cbranch_execz .LBB102_10
; %bb.9:                                ;   in Loop: Header=BB102_4 Depth=2
	s_waitcnt lgkmcnt(0)
	v_bcnt_u32_b32 v0, v0, v13
	ds_store_b32 v15, v0
.LBB102_10:                             ;   in Loop: Header=BB102_4 Depth=2
	s_or_b32 exec_lo, exec_lo, s11
	v_lshrrev_b64 v[0:1], s16, v[28:29]
	; wave barrier
	s_delay_alu instid0(VALU_DEP_1)
	v_and_b32_e32 v2, 1, v0
	v_lshlrev_b32_e32 v3, 30, v0
	v_lshlrev_b32_e32 v4, 29, v0
	;; [unrolled: 1-line block ×4, first 2 shown]
	v_add_co_u32 v2, s11, v2, -1
	s_delay_alu instid0(VALU_DEP_1)
	v_cndmask_b32_e64 v6, 0, 1, s11
	v_not_b32_e32 v45, v3
	v_cmp_gt_i32_e64 s11, 0, v3
	v_not_b32_e32 v3, v4
	v_lshlrev_b32_e32 v16, 26, v0
	v_cmp_ne_u32_e32 vcc_lo, 0, v6
	v_ashrrev_i32_e32 v6, 31, v45
	v_lshlrev_b32_e32 v44, 25, v0
	v_ashrrev_i32_e32 v3, 31, v3
	v_and_b32_e32 v1, 0xff, v0
	v_xor_b32_e32 v2, vcc_lo, v2
	v_cmp_gt_i32_e32 vcc_lo, 0, v4
	v_not_b32_e32 v4, v5
	v_xor_b32_e32 v6, s11, v6
	v_cmp_gt_i32_e64 s11, 0, v5
	v_and_b32_e32 v2, exec_lo, v2
	v_not_b32_e32 v5, v7
	v_ashrrev_i32_e32 v4, 31, v4
	v_xor_b32_e32 v3, vcc_lo, v3
	v_cmp_gt_i32_e32 vcc_lo, 0, v7
	v_and_b32_e32 v2, v2, v6
	v_not_b32_e32 v6, v16
	v_ashrrev_i32_e32 v5, 31, v5
	v_xor_b32_e32 v4, s11, v4
	v_lshlrev_b32_e32 v0, 24, v0
	v_and_b32_e32 v2, v2, v3
	v_cmp_gt_i32_e64 s11, 0, v16
	v_not_b32_e32 v3, v44
	v_ashrrev_i32_e32 v6, 31, v6
	v_xor_b32_e32 v5, vcc_lo, v5
	v_and_b32_e32 v2, v2, v4
	v_cmp_gt_i32_e32 vcc_lo, 0, v44
	v_not_b32_e32 v4, v0
	v_ashrrev_i32_e32 v3, 31, v3
	v_xor_b32_e32 v6, s11, v6
	v_and_b32_e32 v2, v2, v5
	v_lshlrev_b32_e32 v1, 1, v1
	v_cmp_gt_i32_e64 s11, 0, v0
	v_ashrrev_i32_e32 v0, 31, v4
	v_xor_b32_e32 v3, vcc_lo, v3
	v_and_b32_e32 v2, v2, v6
	v_add_lshl_u32 v1, v1, v38, 2
	s_delay_alu instid0(VALU_DEP_4) | instskip(NEXT) | instid1(VALU_DEP_3)
	v_xor_b32_e32 v0, s11, v0
	v_and_b32_e32 v2, v2, v3
	ds_load_b32 v16, v1 offset:8
	v_add_nc_u32_e32 v45, 8, v1
	; wave barrier
	v_and_b32_e32 v0, v2, v0
	s_delay_alu instid0(VALU_DEP_1) | instskip(SKIP_1) | instid1(VALU_DEP_2)
	v_mbcnt_lo_u32_b32 v44, v0, 0
	v_cmp_ne_u32_e64 s11, 0, v0
	v_cmp_eq_u32_e32 vcc_lo, 0, v44
	s_delay_alu instid0(VALU_DEP_2) | instskip(NEXT) | instid1(SALU_CYCLE_1)
	s_and_b32 s23, s11, vcc_lo
	s_and_saveexec_b32 s11, s23
	s_cbranch_execz .LBB102_12
; %bb.11:                               ;   in Loop: Header=BB102_4 Depth=2
	s_waitcnt lgkmcnt(0)
	v_bcnt_u32_b32 v0, v0, v16
	ds_store_b32 v45, v0
.LBB102_12:                             ;   in Loop: Header=BB102_4 Depth=2
	s_or_b32 exec_lo, exec_lo, s11
	v_lshrrev_b64 v[0:1], s16, v[26:27]
	; wave barrier
	s_delay_alu instid0(VALU_DEP_1)
	v_and_b32_e32 v2, 1, v0
	v_lshlrev_b32_e32 v3, 30, v0
	v_lshlrev_b32_e32 v4, 29, v0
	;; [unrolled: 1-line block ×4, first 2 shown]
	v_add_co_u32 v2, s11, v2, -1
	s_delay_alu instid0(VALU_DEP_1)
	v_cndmask_b32_e64 v6, 0, 1, s11
	v_not_b32_e32 v48, v3
	v_cmp_gt_i32_e64 s11, 0, v3
	v_not_b32_e32 v3, v4
	v_lshlrev_b32_e32 v46, 26, v0
	v_cmp_ne_u32_e32 vcc_lo, 0, v6
	v_ashrrev_i32_e32 v6, 31, v48
	v_lshlrev_b32_e32 v47, 25, v0
	v_ashrrev_i32_e32 v3, 31, v3
	v_and_b32_e32 v1, 0xff, v0
	v_xor_b32_e32 v2, vcc_lo, v2
	v_cmp_gt_i32_e32 vcc_lo, 0, v4
	v_not_b32_e32 v4, v5
	v_xor_b32_e32 v6, s11, v6
	v_cmp_gt_i32_e64 s11, 0, v5
	v_and_b32_e32 v2, exec_lo, v2
	v_not_b32_e32 v5, v7
	v_ashrrev_i32_e32 v4, 31, v4
	v_xor_b32_e32 v3, vcc_lo, v3
	v_cmp_gt_i32_e32 vcc_lo, 0, v7
	v_and_b32_e32 v2, v2, v6
	v_not_b32_e32 v6, v46
	v_ashrrev_i32_e32 v5, 31, v5
	v_xor_b32_e32 v4, s11, v4
	v_lshlrev_b32_e32 v0, 24, v0
	v_and_b32_e32 v2, v2, v3
	v_cmp_gt_i32_e64 s11, 0, v46
	v_not_b32_e32 v3, v47
	v_ashrrev_i32_e32 v6, 31, v6
	v_xor_b32_e32 v5, vcc_lo, v5
	v_and_b32_e32 v2, v2, v4
	v_cmp_gt_i32_e32 vcc_lo, 0, v47
	v_not_b32_e32 v4, v0
	v_ashrrev_i32_e32 v3, 31, v3
	v_xor_b32_e32 v6, s11, v6
	v_and_b32_e32 v2, v2, v5
	v_lshlrev_b32_e32 v1, 1, v1
	v_cmp_gt_i32_e64 s11, 0, v0
	v_ashrrev_i32_e32 v0, 31, v4
	v_xor_b32_e32 v3, vcc_lo, v3
	v_and_b32_e32 v2, v2, v6
	v_add_lshl_u32 v1, v1, v38, 2
	s_delay_alu instid0(VALU_DEP_4) | instskip(NEXT) | instid1(VALU_DEP_3)
	v_xor_b32_e32 v0, s11, v0
	v_and_b32_e32 v2, v2, v3
	ds_load_b32 v46, v1 offset:8
	v_add_nc_u32_e32 v48, 8, v1
	; wave barrier
	v_and_b32_e32 v0, v2, v0
	s_delay_alu instid0(VALU_DEP_1) | instskip(SKIP_1) | instid1(VALU_DEP_2)
	v_mbcnt_lo_u32_b32 v47, v0, 0
	v_cmp_ne_u32_e64 s11, 0, v0
	v_cmp_eq_u32_e32 vcc_lo, 0, v47
	s_delay_alu instid0(VALU_DEP_2) | instskip(NEXT) | instid1(SALU_CYCLE_1)
	s_and_b32 s23, s11, vcc_lo
	s_and_saveexec_b32 s11, s23
	s_cbranch_execz .LBB102_14
; %bb.13:                               ;   in Loop: Header=BB102_4 Depth=2
	s_waitcnt lgkmcnt(0)
	v_bcnt_u32_b32 v0, v0, v46
	ds_store_b32 v48, v0
.LBB102_14:                             ;   in Loop: Header=BB102_4 Depth=2
	s_or_b32 exec_lo, exec_lo, s11
	v_lshrrev_b64 v[0:1], s16, v[24:25]
	; wave barrier
	s_delay_alu instid0(VALU_DEP_1)
	v_and_b32_e32 v2, 1, v0
	v_lshlrev_b32_e32 v3, 30, v0
	v_lshlrev_b32_e32 v4, 29, v0
	;; [unrolled: 1-line block ×4, first 2 shown]
	v_add_co_u32 v2, s11, v2, -1
	s_delay_alu instid0(VALU_DEP_1)
	v_cndmask_b32_e64 v6, 0, 1, s11
	v_not_b32_e32 v51, v3
	v_cmp_gt_i32_e64 s11, 0, v3
	v_not_b32_e32 v3, v4
	v_lshlrev_b32_e32 v49, 26, v0
	v_cmp_ne_u32_e32 vcc_lo, 0, v6
	v_ashrrev_i32_e32 v6, 31, v51
	v_lshlrev_b32_e32 v50, 25, v0
	v_ashrrev_i32_e32 v3, 31, v3
	v_and_b32_e32 v1, 0xff, v0
	v_xor_b32_e32 v2, vcc_lo, v2
	v_cmp_gt_i32_e32 vcc_lo, 0, v4
	v_not_b32_e32 v4, v5
	v_xor_b32_e32 v6, s11, v6
	v_cmp_gt_i32_e64 s11, 0, v5
	v_and_b32_e32 v2, exec_lo, v2
	v_not_b32_e32 v5, v7
	v_ashrrev_i32_e32 v4, 31, v4
	v_xor_b32_e32 v3, vcc_lo, v3
	v_cmp_gt_i32_e32 vcc_lo, 0, v7
	v_and_b32_e32 v2, v2, v6
	v_not_b32_e32 v6, v49
	v_ashrrev_i32_e32 v5, 31, v5
	v_xor_b32_e32 v4, s11, v4
	v_lshlrev_b32_e32 v0, 24, v0
	v_and_b32_e32 v2, v2, v3
	v_cmp_gt_i32_e64 s11, 0, v49
	v_not_b32_e32 v3, v50
	v_ashrrev_i32_e32 v6, 31, v6
	v_xor_b32_e32 v5, vcc_lo, v5
	v_and_b32_e32 v2, v2, v4
	v_cmp_gt_i32_e32 vcc_lo, 0, v50
	v_not_b32_e32 v4, v0
	v_ashrrev_i32_e32 v3, 31, v3
	v_xor_b32_e32 v6, s11, v6
	v_and_b32_e32 v2, v2, v5
	v_lshlrev_b32_e32 v1, 1, v1
	v_cmp_gt_i32_e64 s11, 0, v0
	v_ashrrev_i32_e32 v0, 31, v4
	v_xor_b32_e32 v3, vcc_lo, v3
	v_and_b32_e32 v2, v2, v6
	v_add_lshl_u32 v1, v1, v38, 2
	s_delay_alu instid0(VALU_DEP_4) | instskip(NEXT) | instid1(VALU_DEP_3)
	v_xor_b32_e32 v0, s11, v0
	v_and_b32_e32 v2, v2, v3
	ds_load_b32 v49, v1 offset:8
	v_add_nc_u32_e32 v51, 8, v1
	; wave barrier
	v_and_b32_e32 v0, v2, v0
	s_delay_alu instid0(VALU_DEP_1) | instskip(SKIP_1) | instid1(VALU_DEP_2)
	v_mbcnt_lo_u32_b32 v50, v0, 0
	v_cmp_ne_u32_e64 s11, 0, v0
	v_cmp_eq_u32_e32 vcc_lo, 0, v50
	s_delay_alu instid0(VALU_DEP_2) | instskip(NEXT) | instid1(SALU_CYCLE_1)
	s_and_b32 s23, s11, vcc_lo
	s_and_saveexec_b32 s11, s23
	s_cbranch_execz .LBB102_16
; %bb.15:                               ;   in Loop: Header=BB102_4 Depth=2
	s_waitcnt lgkmcnt(0)
	v_bcnt_u32_b32 v0, v0, v49
	ds_store_b32 v51, v0
.LBB102_16:                             ;   in Loop: Header=BB102_4 Depth=2
	s_or_b32 exec_lo, exec_lo, s11
	v_lshrrev_b64 v[0:1], s16, v[22:23]
	; wave barrier
	s_delay_alu instid0(VALU_DEP_1)
	v_and_b32_e32 v2, 1, v0
	v_lshlrev_b32_e32 v3, 30, v0
	v_lshlrev_b32_e32 v4, 29, v0
	;; [unrolled: 1-line block ×4, first 2 shown]
	v_add_co_u32 v2, s11, v2, -1
	s_delay_alu instid0(VALU_DEP_1)
	v_cndmask_b32_e64 v6, 0, 1, s11
	v_not_b32_e32 v54, v3
	v_cmp_gt_i32_e64 s11, 0, v3
	v_not_b32_e32 v3, v4
	v_lshlrev_b32_e32 v52, 26, v0
	v_cmp_ne_u32_e32 vcc_lo, 0, v6
	v_ashrrev_i32_e32 v6, 31, v54
	v_lshlrev_b32_e32 v53, 25, v0
	v_ashrrev_i32_e32 v3, 31, v3
	v_and_b32_e32 v1, 0xff, v0
	v_xor_b32_e32 v2, vcc_lo, v2
	v_cmp_gt_i32_e32 vcc_lo, 0, v4
	v_not_b32_e32 v4, v5
	v_xor_b32_e32 v6, s11, v6
	v_cmp_gt_i32_e64 s11, 0, v5
	v_and_b32_e32 v2, exec_lo, v2
	v_not_b32_e32 v5, v7
	v_ashrrev_i32_e32 v4, 31, v4
	v_xor_b32_e32 v3, vcc_lo, v3
	v_cmp_gt_i32_e32 vcc_lo, 0, v7
	v_and_b32_e32 v2, v2, v6
	v_not_b32_e32 v6, v52
	v_ashrrev_i32_e32 v5, 31, v5
	v_xor_b32_e32 v4, s11, v4
	v_lshlrev_b32_e32 v0, 24, v0
	v_and_b32_e32 v2, v2, v3
	v_cmp_gt_i32_e64 s11, 0, v52
	v_not_b32_e32 v3, v53
	v_ashrrev_i32_e32 v6, 31, v6
	v_xor_b32_e32 v5, vcc_lo, v5
	v_and_b32_e32 v2, v2, v4
	v_cmp_gt_i32_e32 vcc_lo, 0, v53
	v_not_b32_e32 v4, v0
	v_ashrrev_i32_e32 v3, 31, v3
	v_xor_b32_e32 v6, s11, v6
	v_and_b32_e32 v2, v2, v5
	v_lshlrev_b32_e32 v1, 1, v1
	v_cmp_gt_i32_e64 s11, 0, v0
	v_ashrrev_i32_e32 v0, 31, v4
	v_xor_b32_e32 v3, vcc_lo, v3
	v_and_b32_e32 v2, v2, v6
	v_add_lshl_u32 v1, v1, v38, 2
	s_delay_alu instid0(VALU_DEP_4) | instskip(NEXT) | instid1(VALU_DEP_3)
	v_xor_b32_e32 v0, s11, v0
	v_and_b32_e32 v2, v2, v3
	ds_load_b32 v52, v1 offset:8
	v_add_nc_u32_e32 v54, 8, v1
	; wave barrier
	v_and_b32_e32 v0, v2, v0
	s_delay_alu instid0(VALU_DEP_1) | instskip(SKIP_1) | instid1(VALU_DEP_2)
	v_mbcnt_lo_u32_b32 v53, v0, 0
	v_cmp_ne_u32_e64 s11, 0, v0
	v_cmp_eq_u32_e32 vcc_lo, 0, v53
	s_delay_alu instid0(VALU_DEP_2) | instskip(NEXT) | instid1(SALU_CYCLE_1)
	s_and_b32 s23, s11, vcc_lo
	s_and_saveexec_b32 s11, s23
	s_cbranch_execz .LBB102_18
; %bb.17:                               ;   in Loop: Header=BB102_4 Depth=2
	s_waitcnt lgkmcnt(0)
	v_bcnt_u32_b32 v0, v0, v52
	ds_store_b32 v54, v0
.LBB102_18:                             ;   in Loop: Header=BB102_4 Depth=2
	s_or_b32 exec_lo, exec_lo, s11
	v_lshrrev_b64 v[0:1], s16, v[20:21]
	; wave barrier
	s_delay_alu instid0(VALU_DEP_1)
	v_and_b32_e32 v2, 1, v0
	v_lshlrev_b32_e32 v3, 30, v0
	v_lshlrev_b32_e32 v4, 29, v0
	;; [unrolled: 1-line block ×4, first 2 shown]
	v_add_co_u32 v2, s11, v2, -1
	s_delay_alu instid0(VALU_DEP_1)
	v_cndmask_b32_e64 v6, 0, 1, s11
	v_not_b32_e32 v57, v3
	v_cmp_gt_i32_e64 s11, 0, v3
	v_not_b32_e32 v3, v4
	v_lshlrev_b32_e32 v55, 26, v0
	v_cmp_ne_u32_e32 vcc_lo, 0, v6
	v_ashrrev_i32_e32 v6, 31, v57
	v_lshlrev_b32_e32 v56, 25, v0
	v_ashrrev_i32_e32 v3, 31, v3
	v_and_b32_e32 v1, 0xff, v0
	v_xor_b32_e32 v2, vcc_lo, v2
	v_cmp_gt_i32_e32 vcc_lo, 0, v4
	v_not_b32_e32 v4, v5
	v_xor_b32_e32 v6, s11, v6
	v_cmp_gt_i32_e64 s11, 0, v5
	v_and_b32_e32 v2, exec_lo, v2
	v_not_b32_e32 v5, v7
	v_ashrrev_i32_e32 v4, 31, v4
	v_xor_b32_e32 v3, vcc_lo, v3
	v_cmp_gt_i32_e32 vcc_lo, 0, v7
	v_and_b32_e32 v2, v2, v6
	v_not_b32_e32 v6, v55
	v_ashrrev_i32_e32 v5, 31, v5
	v_xor_b32_e32 v4, s11, v4
	v_lshlrev_b32_e32 v0, 24, v0
	v_and_b32_e32 v2, v2, v3
	v_cmp_gt_i32_e64 s11, 0, v55
	v_not_b32_e32 v3, v56
	v_ashrrev_i32_e32 v6, 31, v6
	v_xor_b32_e32 v5, vcc_lo, v5
	v_and_b32_e32 v2, v2, v4
	v_cmp_gt_i32_e32 vcc_lo, 0, v56
	v_not_b32_e32 v4, v0
	v_ashrrev_i32_e32 v3, 31, v3
	v_xor_b32_e32 v6, s11, v6
	v_and_b32_e32 v2, v2, v5
	v_lshlrev_b32_e32 v1, 1, v1
	v_cmp_gt_i32_e64 s11, 0, v0
	v_ashrrev_i32_e32 v0, 31, v4
	v_xor_b32_e32 v3, vcc_lo, v3
	v_and_b32_e32 v2, v2, v6
	v_add_lshl_u32 v1, v1, v38, 2
	s_delay_alu instid0(VALU_DEP_4) | instskip(NEXT) | instid1(VALU_DEP_3)
	v_xor_b32_e32 v0, s11, v0
	v_and_b32_e32 v2, v2, v3
	ds_load_b32 v55, v1 offset:8
	v_add_nc_u32_e32 v57, 8, v1
	; wave barrier
	v_and_b32_e32 v0, v2, v0
	s_delay_alu instid0(VALU_DEP_1) | instskip(SKIP_1) | instid1(VALU_DEP_2)
	v_mbcnt_lo_u32_b32 v56, v0, 0
	v_cmp_ne_u32_e64 s11, 0, v0
	v_cmp_eq_u32_e32 vcc_lo, 0, v56
	s_delay_alu instid0(VALU_DEP_2) | instskip(NEXT) | instid1(SALU_CYCLE_1)
	s_and_b32 s23, s11, vcc_lo
	s_and_saveexec_b32 s11, s23
	s_cbranch_execz .LBB102_20
; %bb.19:                               ;   in Loop: Header=BB102_4 Depth=2
	s_waitcnt lgkmcnt(0)
	v_bcnt_u32_b32 v0, v0, v55
	ds_store_b32 v57, v0
.LBB102_20:                             ;   in Loop: Header=BB102_4 Depth=2
	s_or_b32 exec_lo, exec_lo, s11
	; wave barrier
	s_waitcnt lgkmcnt(0)
	s_barrier
	buffer_gl0_inv
	ds_load_2addr_b64 v[4:7], v34 offset0:1 offset1:2
	ds_load_2addr_b64 v[0:3], v37 offset0:2 offset1:3
	s_waitcnt lgkmcnt(1)
	v_add_nc_u32_e32 v58, v5, v4
	s_delay_alu instid0(VALU_DEP_1) | instskip(SKIP_1) | instid1(VALU_DEP_1)
	v_add3_u32 v58, v58, v6, v7
	s_waitcnt lgkmcnt(0)
	v_add3_u32 v58, v58, v0, v1
	s_delay_alu instid0(VALU_DEP_1) | instskip(NEXT) | instid1(VALU_DEP_1)
	v_add3_u32 v3, v58, v2, v3
	v_mov_b32_dpp v58, v3 row_shr:1 row_mask:0xf bank_mask:0xf
	s_delay_alu instid0(VALU_DEP_1) | instskip(NEXT) | instid1(VALU_DEP_1)
	v_cndmask_b32_e64 v58, v58, 0, s0
	v_add_nc_u32_e32 v3, v58, v3
	s_delay_alu instid0(VALU_DEP_1) | instskip(NEXT) | instid1(VALU_DEP_1)
	v_mov_b32_dpp v58, v3 row_shr:2 row_mask:0xf bank_mask:0xf
	v_cndmask_b32_e64 v58, 0, v58, s1
	s_delay_alu instid0(VALU_DEP_1) | instskip(NEXT) | instid1(VALU_DEP_1)
	v_add_nc_u32_e32 v3, v3, v58
	v_mov_b32_dpp v58, v3 row_shr:4 row_mask:0xf bank_mask:0xf
	s_delay_alu instid0(VALU_DEP_1) | instskip(NEXT) | instid1(VALU_DEP_1)
	v_cndmask_b32_e64 v58, 0, v58, s2
	v_add_nc_u32_e32 v3, v3, v58
	s_delay_alu instid0(VALU_DEP_1) | instskip(NEXT) | instid1(VALU_DEP_1)
	v_mov_b32_dpp v58, v3 row_shr:8 row_mask:0xf bank_mask:0xf
	v_cndmask_b32_e64 v58, 0, v58, s3
	s_delay_alu instid0(VALU_DEP_1) | instskip(SKIP_3) | instid1(VALU_DEP_1)
	v_add_nc_u32_e32 v3, v3, v58
	ds_swizzle_b32 v58, v3 offset:swizzle(BROADCAST,32,15)
	s_waitcnt lgkmcnt(0)
	v_cndmask_b32_e64 v58, v58, 0, s4
	v_add_nc_u32_e32 v3, v3, v58
	s_and_saveexec_b32 s11, s5
	s_cbranch_execz .LBB102_22
; %bb.21:                               ;   in Loop: Header=BB102_4 Depth=2
	ds_store_b32 v40, v3
.LBB102_22:                             ;   in Loop: Header=BB102_4 Depth=2
	s_or_b32 exec_lo, exec_lo, s11
	s_waitcnt lgkmcnt(0)
	s_barrier
	buffer_gl0_inv
	s_and_saveexec_b32 s11, s6
	s_cbranch_execz .LBB102_24
; %bb.23:                               ;   in Loop: Header=BB102_4 Depth=2
	ds_load_b32 v58, v41
	s_waitcnt lgkmcnt(0)
	v_mov_b32_dpp v59, v58 row_shr:1 row_mask:0xf bank_mask:0xf
	s_delay_alu instid0(VALU_DEP_1) | instskip(NEXT) | instid1(VALU_DEP_1)
	v_cndmask_b32_e64 v59, v59, 0, s10
	v_add_nc_u32_e32 v58, v59, v58
	ds_store_b32 v41, v58
.LBB102_24:                             ;   in Loop: Header=BB102_4 Depth=2
	s_or_b32 exec_lo, exec_lo, s11
	v_mov_b32_e32 v58, 0
	s_waitcnt lgkmcnt(0)
	s_barrier
	buffer_gl0_inv
	s_and_saveexec_b32 s11, s7
	s_cbranch_execz .LBB102_26
; %bb.25:                               ;   in Loop: Header=BB102_4 Depth=2
	ds_load_b32 v58, v42
.LBB102_26:                             ;   in Loop: Header=BB102_4 Depth=2
	s_or_b32 exec_lo, exec_lo, s11
	s_waitcnt lgkmcnt(0)
	v_add_nc_u32_e32 v3, v58, v3
	s_cmp_gt_u32 s16, 55
	ds_bpermute_b32 v3, v39, v3
	s_waitcnt lgkmcnt(0)
	v_cndmask_b32_e64 v3, v3, v58, s8
	s_delay_alu instid0(VALU_DEP_1) | instskip(NEXT) | instid1(VALU_DEP_1)
	v_cndmask_b32_e64 v3, v3, 0, s9
	v_add_nc_u32_e32 v4, v3, v4
	s_delay_alu instid0(VALU_DEP_1) | instskip(NEXT) | instid1(VALU_DEP_1)
	v_add_nc_u32_e32 v5, v4, v5
	v_add_nc_u32_e32 v6, v5, v6
	s_delay_alu instid0(VALU_DEP_1) | instskip(NEXT) | instid1(VALU_DEP_1)
	v_add_nc_u32_e32 v58, v6, v7
	;; [unrolled: 3-line block ×3, first 2 shown]
	v_add_nc_u32_e32 v1, v0, v2
	ds_store_2addr_b64 v34, v[3:4], v[5:6] offset0:1 offset1:2
	ds_store_2addr_b64 v37, v[58:59], v[0:1] offset0:2 offset1:3
	s_waitcnt lgkmcnt(0)
	s_barrier
	buffer_gl0_inv
	ds_load_b32 v0, v9
	ds_load_b32 v1, v12
	;; [unrolled: 1-line block ×8, first 2 shown]
	s_waitcnt lgkmcnt(7)
	v_add_nc_u32_e32 v57, v0, v8
	s_waitcnt lgkmcnt(6)
	v_add3_u32 v54, v11, v10, v1
	s_waitcnt lgkmcnt(5)
	v_add3_u32 v51, v14, v13, v2
	;; [unrolled: 2-line block ×7, first 2 shown]
	s_cbranch_scc0 .LBB102_3
; %bb.27:                               ;   in Loop: Header=BB102_2 Depth=1
                                        ; implicit-def: $vgpr14_vgpr15
                                        ; implicit-def: $vgpr10_vgpr11
                                        ; implicit-def: $vgpr6_vgpr7
                                        ; implicit-def: $vgpr2_vgpr3
                                        ; implicit-def: $sgpr16_sgpr17
	s_branch .LBB102_1
.LBB102_28:
	v_lshlrev_b32_e32 v0, 3, v17
	s_add_u32 s0, s18, s12
	s_addc_u32 s1, s19, s13
	s_clause 0x7
	global_store_b64 v0, v[13:14], s[0:1]
	global_store_b64 v0, v[15:16], s[0:1] offset:512
	global_store_b64 v0, v[9:10], s[0:1] offset:1024
	;; [unrolled: 1-line block ×7, first 2 shown]
	s_nop 0
	s_sendmsg sendmsg(MSG_DEALLOC_VGPRS)
	s_endpgm
	.section	.rodata,"a",@progbits
	.p2align	6, 0x0
	.amdhsa_kernel _Z16sort_keys_kernelI22helper_blocked_blockedxLj64ELj8ELj10EEvPKT0_PS1_
		.amdhsa_group_segment_fixed_size 4096
		.amdhsa_private_segment_fixed_size 0
		.amdhsa_kernarg_size 272
		.amdhsa_user_sgpr_count 15
		.amdhsa_user_sgpr_dispatch_ptr 0
		.amdhsa_user_sgpr_queue_ptr 0
		.amdhsa_user_sgpr_kernarg_segment_ptr 1
		.amdhsa_user_sgpr_dispatch_id 0
		.amdhsa_user_sgpr_private_segment_size 0
		.amdhsa_wavefront_size32 1
		.amdhsa_uses_dynamic_stack 0
		.amdhsa_enable_private_segment 0
		.amdhsa_system_sgpr_workgroup_id_x 1
		.amdhsa_system_sgpr_workgroup_id_y 0
		.amdhsa_system_sgpr_workgroup_id_z 0
		.amdhsa_system_sgpr_workgroup_info 0
		.amdhsa_system_vgpr_workitem_id 2
		.amdhsa_next_free_vgpr 60
		.amdhsa_next_free_sgpr 24
		.amdhsa_reserve_vcc 1
		.amdhsa_float_round_mode_32 0
		.amdhsa_float_round_mode_16_64 0
		.amdhsa_float_denorm_mode_32 3
		.amdhsa_float_denorm_mode_16_64 3
		.amdhsa_dx10_clamp 1
		.amdhsa_ieee_mode 1
		.amdhsa_fp16_overflow 0
		.amdhsa_workgroup_processor_mode 1
		.amdhsa_memory_ordered 1
		.amdhsa_forward_progress 0
		.amdhsa_shared_vgpr_count 0
		.amdhsa_exception_fp_ieee_invalid_op 0
		.amdhsa_exception_fp_denorm_src 0
		.amdhsa_exception_fp_ieee_div_zero 0
		.amdhsa_exception_fp_ieee_overflow 0
		.amdhsa_exception_fp_ieee_underflow 0
		.amdhsa_exception_fp_ieee_inexact 0
		.amdhsa_exception_int_div_zero 0
	.end_amdhsa_kernel
	.section	.text._Z16sort_keys_kernelI22helper_blocked_blockedxLj64ELj8ELj10EEvPKT0_PS1_,"axG",@progbits,_Z16sort_keys_kernelI22helper_blocked_blockedxLj64ELj8ELj10EEvPKT0_PS1_,comdat
.Lfunc_end102:
	.size	_Z16sort_keys_kernelI22helper_blocked_blockedxLj64ELj8ELj10EEvPKT0_PS1_, .Lfunc_end102-_Z16sort_keys_kernelI22helper_blocked_blockedxLj64ELj8ELj10EEvPKT0_PS1_
                                        ; -- End function
	.section	.AMDGPU.csdata,"",@progbits
; Kernel info:
; codeLenInByte = 4492
; NumSgprs: 26
; NumVgprs: 60
; ScratchSize: 0
; MemoryBound: 0
; FloatMode: 240
; IeeeMode: 1
; LDSByteSize: 4096 bytes/workgroup (compile time only)
; SGPRBlocks: 3
; VGPRBlocks: 7
; NumSGPRsForWavesPerEU: 26
; NumVGPRsForWavesPerEU: 60
; Occupancy: 16
; WaveLimiterHint : 1
; COMPUTE_PGM_RSRC2:SCRATCH_EN: 0
; COMPUTE_PGM_RSRC2:USER_SGPR: 15
; COMPUTE_PGM_RSRC2:TRAP_HANDLER: 0
; COMPUTE_PGM_RSRC2:TGID_X_EN: 1
; COMPUTE_PGM_RSRC2:TGID_Y_EN: 0
; COMPUTE_PGM_RSRC2:TGID_Z_EN: 0
; COMPUTE_PGM_RSRC2:TIDIG_COMP_CNT: 2
	.section	.text._Z17sort_pairs_kernelI22helper_blocked_blockedxLj64ELj8ELj10EEvPKT0_PS1_,"axG",@progbits,_Z17sort_pairs_kernelI22helper_blocked_blockedxLj64ELj8ELj10EEvPKT0_PS1_,comdat
	.protected	_Z17sort_pairs_kernelI22helper_blocked_blockedxLj64ELj8ELj10EEvPKT0_PS1_ ; -- Begin function _Z17sort_pairs_kernelI22helper_blocked_blockedxLj64ELj8ELj10EEvPKT0_PS1_
	.globl	_Z17sort_pairs_kernelI22helper_blocked_blockedxLj64ELj8ELj10EEvPKT0_PS1_
	.p2align	8
	.type	_Z17sort_pairs_kernelI22helper_blocked_blockedxLj64ELj8ELj10EEvPKT0_PS1_,@function
_Z17sort_pairs_kernelI22helper_blocked_blockedxLj64ELj8ELj10EEvPKT0_PS1_: ; @_Z17sort_pairs_kernelI22helper_blocked_blockedxLj64ELj8ELj10EEvPKT0_PS1_
; %bb.0:
	s_clause 0x1
	s_load_b128 s[16:19], s[0:1], 0x0
	s_load_b32 s10, s[0:1], 0x1c
	v_mbcnt_lo_u32_b32 v18, -1, 0
	s_mov_b32 s21, 0
	s_lshl_b32 s20, s15, 9
	v_bfe_u32 v19, v0, 10, 10
	s_lshl_b64 s[12:13], s[20:21], 3
	v_add_nc_u32_e32 v22, -1, v18
	v_and_b32_e32 v20, 15, v18
	v_and_b32_e32 v21, 16, v18
	;; [unrolled: 1-line block ×3, first 2 shown]
	s_mov_b32 s20, s21
	v_cmp_gt_i32_e32 vcc_lo, 0, v22
	v_and_b32_e32 v49, 0x3ff, v0
	v_cmp_lt_u32_e64 s2, 1, v20
	v_cmp_lt_u32_e64 s3, 3, v20
	;; [unrolled: 1-line block ×3, first 2 shown]
	v_cmp_eq_u32_e64 s5, 0, v21
	v_lshlrev_b32_e32 v17, 3, v49
	v_cmp_eq_u32_e64 s9, 0, v23
	s_waitcnt lgkmcnt(0)
	s_add_u32 s0, s16, s12
	s_addc_u32 s1, s17, s13
	v_bfe_u32 v0, v0, 20, 10
	s_clause 0x7
	global_load_b64 v[13:14], v17, s[0:1]
	global_load_b64 v[15:16], v17, s[0:1] offset:512
	global_load_b64 v[9:10], v17, s[0:1] offset:1024
	;; [unrolled: 1-line block ×7, first 2 shown]
	v_cmp_eq_u32_e64 s1, 0, v20
	v_cndmask_b32_e32 v20, v22, v18, vcc_lo
	v_and_b32_e32 v24, 32, v49
	v_lshrrev_b32_e32 v21, 3, v49
	v_and_or_b32 v23, 0x100, v17, v18
	s_lshr_b32 s11, s10, 16
	s_and_b32 s10, s10, 0xffff
	v_or_b32_e32 v22, v18, v24
	v_and_b32_e32 v69, 4, v21
	v_lshlrev_b32_e32 v72, 3, v23
	v_mad_u32_u24 v0, v0, s11, v19
	v_or_b32_e32 v19, 31, v24
	v_lshlrev_b32_e32 v71, 6, v22
	v_cmp_eq_u32_e64 s0, 0, v18
	v_lshlrev_b32_e32 v66, 5, v49
	v_mad_u64_u32 v[17:18], null, v0, s10, v[49:50]
	v_mul_u32_u24_e32 v33, 60, v49
	v_cmp_eq_u32_e64 s10, v19, v49
	s_delay_alu instid0(VALU_DEP_4)
	v_mad_i32_i24 v70, 0xffffffe4, v49, v66
	v_cmp_gt_u32_e64 s6, 2, v49
	v_cmp_lt_u32_e64 s7, 31, v49
	v_cmp_eq_u32_e64 s8, 0, v49
	v_lshrrev_b32_e32 v74, 5, v17
	v_or_b32_e32 v67, 8, v66
	v_lshlrev_b32_e32 v68, 2, v20
	v_add_nc_u32_e32 v73, -4, v69
	v_add_nc_u32_e32 v75, v70, v33
	s_mov_b32 s14, s21
	s_mov_b32 s15, s21
	;; [unrolled: 1-line block ×3, first 2 shown]
	s_waitcnt vmcnt(7)
	v_add_co_u32 v21, vcc_lo, v13, 1
	v_add_co_ci_u32_e32 v22, vcc_lo, 0, v14, vcc_lo
	s_waitcnt vmcnt(6)
	v_add_co_u32 v23, vcc_lo, v15, 1
	v_add_co_ci_u32_e32 v24, vcc_lo, 0, v16, vcc_lo
	;; [unrolled: 3-line block ×8, first 2 shown]
	s_branch .LBB103_2
.LBB103_1:                              ;   in Loop: Header=BB103_2 Depth=1
	v_lshlrev_b32_e32 v0, 3, v82
	v_lshlrev_b32_e32 v33, 3, v81
	;; [unrolled: 1-line block ×3, first 2 shown]
	s_barrier
	buffer_gl0_inv
	ds_store_b64 v0, v[20:21]
	ds_store_b64 v33, v[30:31]
	;; [unrolled: 1-line block ×3, first 2 shown]
	v_lshlrev_b32_e32 v20, 3, v79
	v_lshlrev_b32_e32 v21, 3, v78
	;; [unrolled: 1-line block ×5, first 2 shown]
	ds_store_b64 v20, v[26:27]
	ds_store_b64 v21, v[24:25]
	;; [unrolled: 1-line block ×5, first 2 shown]
	s_waitcnt lgkmcnt(0)
	s_barrier
	buffer_gl0_inv
	ds_load_2addr_b64 v[13:16], v75 offset1:1
	ds_load_2addr_b64 v[9:12], v75 offset0:2 offset1:3
	ds_load_2addr_b64 v[5:8], v75 offset0:4 offset1:5
	;; [unrolled: 1-line block ×3, first 2 shown]
	s_waitcnt lgkmcnt(0)
	s_barrier
	buffer_gl0_inv
	ds_store_b64 v0, v[64:65]
	ds_store_b64 v33, v[62:63]
	;; [unrolled: 1-line block ×8, first 2 shown]
	s_waitcnt lgkmcnt(0)
	s_barrier
	buffer_gl0_inv
	ds_load_2addr_b64 v[21:24], v75 offset1:1
	ds_load_2addr_b64 v[25:28], v75 offset0:2 offset1:3
	ds_load_2addr_b64 v[29:32], v75 offset0:4 offset1:5
	;; [unrolled: 1-line block ×3, first 2 shown]
	s_add_i32 s22, s22, 1
	s_delay_alu instid0(SALU_CYCLE_1)
	s_cmp_eq_u32 s22, 10
	v_xor_b32_e32 v14, 0x80000000, v14
	v_xor_b32_e32 v16, 0x80000000, v16
	v_xor_b32_e32 v10, 0x80000000, v10
	v_xor_b32_e32 v12, 0x80000000, v12
	v_xor_b32_e32 v6, 0x80000000, v6
	v_xor_b32_e32 v8, 0x80000000, v8
	v_xor_b32_e32 v2, 0x80000000, v2
	v_xor_b32_e32 v4, 0x80000000, v4
	s_cbranch_scc1 .LBB103_28
.LBB103_2:                              ; =>This Loop Header: Depth=1
                                        ;     Child Loop BB103_4 Depth 2
	v_xor_b32_e32 v14, 0x80000000, v14
	v_xor_b32_e32 v16, 0x80000000, v16
	;; [unrolled: 1-line block ×8, first 2 shown]
	ds_store_2addr_b64 v71, v[13:14], v[15:16] offset1:1
	ds_store_2addr_b64 v71, v[9:10], v[11:12] offset0:2 offset1:3
	ds_store_2addr_b64 v71, v[5:6], v[7:8] offset0:4 offset1:5
	;; [unrolled: 1-line block ×3, first 2 shown]
	; wave barrier
	ds_load_2addr_b64 v[33:36], v72 offset1:32
	ds_load_2addr_b64 v[37:40], v72 offset0:64 offset1:96
	ds_load_2addr_b64 v[41:44], v72 offset0:128 offset1:160
	;; [unrolled: 1-line block ×3, first 2 shown]
	; wave barrier
	s_waitcnt lgkmcnt(11)
	ds_store_2addr_b64 v71, v[21:22], v[23:24] offset1:1
	s_waitcnt lgkmcnt(11)
	ds_store_2addr_b64 v71, v[25:26], v[27:28] offset0:2 offset1:3
	s_waitcnt lgkmcnt(11)
	ds_store_2addr_b64 v71, v[29:30], v[31:32] offset0:4 offset1:5
	;; [unrolled: 2-line block ×3, first 2 shown]
	; wave barrier
	ds_load_2addr_b64 v[0:3], v72 offset1:32
	ds_load_2addr_b64 v[4:7], v72 offset0:64 offset1:96
	ds_load_2addr_b64 v[8:11], v72 offset0:128 offset1:160
	;; [unrolled: 1-line block ×3, first 2 shown]
	s_mov_b64 s[16:17], 0
	s_waitcnt lgkmcnt(0)
	s_barrier
	s_branch .LBB103_4
.LBB103_3:                              ;   in Loop: Header=BB103_4 Depth=2
	v_lshlrev_b32_e32 v0, 3, v82
	v_lshlrev_b32_e32 v3, 3, v79
	;; [unrolled: 1-line block ×8, first 2 shown]
	s_barrier
	buffer_gl0_inv
	ds_store_b64 v0, v[20:21]
	ds_store_b64 v1, v[30:31]
	;; [unrolled: 1-line block ×8, first 2 shown]
	s_waitcnt lgkmcnt(0)
	s_barrier
	buffer_gl0_inv
	ds_load_2addr_b64 v[33:36], v72 offset1:32
	ds_load_2addr_b64 v[37:40], v72 offset0:64 offset1:96
	ds_load_2addr_b64 v[41:44], v72 offset0:128 offset1:160
	;; [unrolled: 1-line block ×3, first 2 shown]
	s_waitcnt lgkmcnt(0)
	s_barrier
	buffer_gl0_inv
	ds_store_b64 v0, v[64:65]
	ds_store_b64 v1, v[62:63]
	;; [unrolled: 1-line block ×8, first 2 shown]
	s_waitcnt lgkmcnt(0)
	s_barrier
	buffer_gl0_inv
	ds_load_2addr_b64 v[0:3], v72 offset1:32
	ds_load_2addr_b64 v[4:7], v72 offset0:64 offset1:96
	ds_load_2addr_b64 v[8:11], v72 offset0:128 offset1:160
	;; [unrolled: 1-line block ×3, first 2 shown]
	s_add_u32 s16, s16, 8
	s_addc_u32 s17, s17, 0
	s_waitcnt lgkmcnt(0)
	s_barrier
	s_cbranch_execz .LBB103_1
.LBB103_4:                              ;   Parent Loop BB103_2 Depth=1
                                        ; =>  This Inner Loop Header: Depth=2
	v_dual_mov_b32 v20, v33 :: v_dual_mov_b32 v21, v34
	v_dual_mov_b32 v28, v37 :: v_dual_mov_b32 v29, v38
	;; [unrolled: 1-line block ×3, first 2 shown]
	s_delay_alu instid0(VALU_DEP_3) | instskip(SKIP_3) | instid1(VALU_DEP_4)
	v_lshrrev_b64 v[32:33], s16, v[20:21]
	v_dual_mov_b32 v30, v35 :: v_dual_mov_b32 v31, v36
	v_mov_b32_e32 v59, v7
	v_dual_mov_b32 v26, v39 :: v_dual_mov_b32 v27, v40
	v_and_b32_e32 v33, 1, v32
	v_dual_mov_b32 v51, v15 :: v_dual_lshlrev_b32 v34, 30, v32
	v_dual_mov_b32 v50, v14 :: v_dual_lshlrev_b32 v35, 29, v32
	s_delay_alu instid0(VALU_DEP_3) | instskip(NEXT) | instid1(VALU_DEP_1)
	v_add_co_u32 v33, s11, v33, -1
	v_cndmask_b32_e64 v37, 0, 1, s11
	s_delay_alu instid0(VALU_DEP_4) | instskip(SKIP_2) | instid1(VALU_DEP_4)
	v_not_b32_e32 v41, v34
	v_dual_mov_b32 v53, v13 :: v_dual_lshlrev_b32 v36, 28, v32
	v_cmp_gt_i32_e64 s11, 0, v34
	v_cmp_ne_u32_e32 vcc_lo, 0, v37
	s_delay_alu instid0(VALU_DEP_4)
	v_ashrrev_i32_e32 v41, 31, v41
	v_mov_b32_e32 v52, v12
	v_not_b32_e32 v34, v35
	v_dual_mov_b32 v55, v11 :: v_dual_lshlrev_b32 v38, 27, v32
	v_xor_b32_e32 v33, vcc_lo, v33
	v_cmp_gt_i32_e32 vcc_lo, 0, v35
	v_not_b32_e32 v35, v36
	v_ashrrev_i32_e32 v34, 31, v34
	v_xor_b32_e32 v41, s11, v41
	v_dual_mov_b32 v58, v6 :: v_dual_and_b32 v33, exec_lo, v33
	v_dual_mov_b32 v54, v10 :: v_dual_lshlrev_b32 v39, 26, v32
	v_cmp_gt_i32_e64 s11, 0, v36
	v_not_b32_e32 v36, v38
	v_ashrrev_i32_e32 v35, 31, v35
	v_xor_b32_e32 v34, vcc_lo, v34
	v_and_b32_e32 v33, v33, v41
	v_dual_mov_b32 v61, v5 :: v_dual_lshlrev_b32 v40, 25, v32
	v_mov_b32_e32 v57, v9
	v_cmp_gt_i32_e32 vcc_lo, 0, v38
	v_not_b32_e32 v38, v39
	v_ashrrev_i32_e32 v36, 31, v36
	v_xor_b32_e32 v35, s11, v35
	v_dual_mov_b32 v60, v4 :: v_dual_and_b32 v33, v33, v34
	v_dual_mov_b32 v63, v3 :: v_dual_mov_b32 v62, v2
	v_dual_mov_b32 v56, v8 :: v_dual_lshlrev_b32 v37, 24, v32
	v_cmp_gt_i32_e64 s11, 0, v39
	v_not_b32_e32 v34, v40
	v_ashrrev_i32_e32 v38, 31, v38
	v_xor_b32_e32 v36, vcc_lo, v36
	v_and_b32_e32 v33, v33, v35
	v_dual_mov_b32 v3, s20 :: v_dual_mov_b32 v4, s21
	v_cmp_gt_i32_e32 vcc_lo, 0, v40
	v_not_b32_e32 v35, v37
	v_ashrrev_i32_e32 v34, 31, v34
	v_xor_b32_e32 v38, s11, v38
	v_and_b32_e32 v33, v33, v36
	v_dual_mov_b32 v5, s14 :: v_dual_mov_b32 v6, s15
	v_cmp_gt_i32_e64 s11, 0, v37
	v_ashrrev_i32_e32 v14, 31, v35
	v_xor_b32_e32 v15, vcc_lo, v34
	v_and_b32_e32 v33, v33, v38
	v_dual_mov_b32 v65, v1 :: v_dual_mov_b32 v64, v0
	s_delay_alu instid0(VALU_DEP_4) | instskip(SKIP_1) | instid1(VALU_DEP_4)
	v_xor_b32_e32 v8, s11, v14
	v_and_b32_e32 v0, 0xff, v32
	v_dual_mov_b32 v16, v47 :: v_dual_and_b32 v9, v33, v15
	v_dual_mov_b32 v17, v48 :: v_dual_mov_b32 v18, v45
	s_delay_alu instid0(VALU_DEP_2) | instskip(NEXT) | instid1(VALU_DEP_4)
	v_dual_mov_b32 v19, v46 :: v_dual_and_b32 v2, v9, v8
	v_lshl_add_u32 v0, v0, 1, v74
	v_dual_mov_b32 v22, v43 :: v_dual_mov_b32 v23, v44
	buffer_gl0_inv
	v_mbcnt_lo_u32_b32 v8, v2, 0
	v_cmp_ne_u32_e64 s11, 0, v2
	v_lshl_add_u32 v9, v0, 2, 8
	ds_store_2addr_b64 v66, v[3:4], v[5:6] offset0:1 offset1:2
	ds_store_2addr_b64 v67, v[3:4], v[5:6] offset0:2 offset1:3
	s_waitcnt lgkmcnt(0)
	v_cmp_eq_u32_e32 vcc_lo, 0, v8
	s_barrier
	buffer_gl0_inv
	; wave barrier
	s_and_b32 s23, s11, vcc_lo
	s_delay_alu instid0(SALU_CYCLE_1)
	s_and_saveexec_b32 s11, s23
	s_cbranch_execz .LBB103_6
; %bb.5:                                ;   in Loop: Header=BB103_4 Depth=2
	v_bcnt_u32_b32 v0, v2, 0
	ds_store_b32 v9, v0
.LBB103_6:                              ;   in Loop: Header=BB103_4 Depth=2
	s_or_b32 exec_lo, exec_lo, s11
	v_lshrrev_b64 v[0:1], s16, v[30:31]
	; wave barrier
	s_delay_alu instid0(VALU_DEP_1)
	v_and_b32_e32 v2, 1, v0
	v_lshlrev_b32_e32 v3, 30, v0
	v_lshlrev_b32_e32 v4, 29, v0
	;; [unrolled: 1-line block ×4, first 2 shown]
	v_add_co_u32 v2, s11, v2, -1
	s_delay_alu instid0(VALU_DEP_1)
	v_cndmask_b32_e64 v6, 0, 1, s11
	v_not_b32_e32 v12, v3
	v_cmp_gt_i32_e64 s11, 0, v3
	v_not_b32_e32 v3, v4
	v_lshlrev_b32_e32 v10, 26, v0
	v_cmp_ne_u32_e32 vcc_lo, 0, v6
	v_ashrrev_i32_e32 v6, 31, v12
	v_lshlrev_b32_e32 v11, 25, v0
	v_ashrrev_i32_e32 v3, 31, v3
	v_and_b32_e32 v1, 0xff, v0
	v_xor_b32_e32 v2, vcc_lo, v2
	v_cmp_gt_i32_e32 vcc_lo, 0, v4
	v_not_b32_e32 v4, v5
	v_xor_b32_e32 v6, s11, v6
	v_cmp_gt_i32_e64 s11, 0, v5
	v_and_b32_e32 v2, exec_lo, v2
	v_not_b32_e32 v5, v7
	v_ashrrev_i32_e32 v4, 31, v4
	v_xor_b32_e32 v3, vcc_lo, v3
	v_cmp_gt_i32_e32 vcc_lo, 0, v7
	v_and_b32_e32 v2, v2, v6
	v_not_b32_e32 v6, v10
	v_ashrrev_i32_e32 v5, 31, v5
	v_xor_b32_e32 v4, s11, v4
	v_lshlrev_b32_e32 v0, 24, v0
	v_and_b32_e32 v2, v2, v3
	v_cmp_gt_i32_e64 s11, 0, v10
	v_not_b32_e32 v3, v11
	v_ashrrev_i32_e32 v6, 31, v6
	v_xor_b32_e32 v5, vcc_lo, v5
	v_and_b32_e32 v2, v2, v4
	v_cmp_gt_i32_e32 vcc_lo, 0, v11
	v_not_b32_e32 v4, v0
	v_ashrrev_i32_e32 v3, 31, v3
	v_xor_b32_e32 v6, s11, v6
	v_and_b32_e32 v2, v2, v5
	v_lshlrev_b32_e32 v1, 1, v1
	v_cmp_gt_i32_e64 s11, 0, v0
	v_ashrrev_i32_e32 v0, 31, v4
	v_xor_b32_e32 v3, vcc_lo, v3
	v_and_b32_e32 v2, v2, v6
	v_add_lshl_u32 v1, v1, v74, 2
	s_delay_alu instid0(VALU_DEP_4) | instskip(NEXT) | instid1(VALU_DEP_3)
	v_xor_b32_e32 v0, s11, v0
	v_and_b32_e32 v2, v2, v3
	ds_load_b32 v10, v1 offset:8
	v_add_nc_u32_e32 v12, 8, v1
	; wave barrier
	v_and_b32_e32 v0, v2, v0
	s_delay_alu instid0(VALU_DEP_1) | instskip(SKIP_1) | instid1(VALU_DEP_2)
	v_mbcnt_lo_u32_b32 v11, v0, 0
	v_cmp_ne_u32_e64 s11, 0, v0
	v_cmp_eq_u32_e32 vcc_lo, 0, v11
	s_delay_alu instid0(VALU_DEP_2) | instskip(NEXT) | instid1(SALU_CYCLE_1)
	s_and_b32 s23, s11, vcc_lo
	s_and_saveexec_b32 s11, s23
	s_cbranch_execz .LBB103_8
; %bb.7:                                ;   in Loop: Header=BB103_4 Depth=2
	s_waitcnt lgkmcnt(0)
	v_bcnt_u32_b32 v0, v0, v10
	ds_store_b32 v12, v0
.LBB103_8:                              ;   in Loop: Header=BB103_4 Depth=2
	s_or_b32 exec_lo, exec_lo, s11
	v_lshrrev_b64 v[0:1], s16, v[28:29]
	; wave barrier
	s_delay_alu instid0(VALU_DEP_1)
	v_and_b32_e32 v2, 1, v0
	v_lshlrev_b32_e32 v3, 30, v0
	v_lshlrev_b32_e32 v4, 29, v0
	;; [unrolled: 1-line block ×4, first 2 shown]
	v_add_co_u32 v2, s11, v2, -1
	s_delay_alu instid0(VALU_DEP_1)
	v_cndmask_b32_e64 v6, 0, 1, s11
	v_not_b32_e32 v15, v3
	v_cmp_gt_i32_e64 s11, 0, v3
	v_not_b32_e32 v3, v4
	v_lshlrev_b32_e32 v13, 26, v0
	v_cmp_ne_u32_e32 vcc_lo, 0, v6
	v_ashrrev_i32_e32 v6, 31, v15
	v_lshlrev_b32_e32 v14, 25, v0
	v_ashrrev_i32_e32 v3, 31, v3
	v_and_b32_e32 v1, 0xff, v0
	v_xor_b32_e32 v2, vcc_lo, v2
	v_cmp_gt_i32_e32 vcc_lo, 0, v4
	v_not_b32_e32 v4, v5
	v_xor_b32_e32 v6, s11, v6
	v_cmp_gt_i32_e64 s11, 0, v5
	v_and_b32_e32 v2, exec_lo, v2
	v_not_b32_e32 v5, v7
	v_ashrrev_i32_e32 v4, 31, v4
	v_xor_b32_e32 v3, vcc_lo, v3
	v_cmp_gt_i32_e32 vcc_lo, 0, v7
	v_and_b32_e32 v2, v2, v6
	v_not_b32_e32 v6, v13
	v_ashrrev_i32_e32 v5, 31, v5
	v_xor_b32_e32 v4, s11, v4
	v_lshlrev_b32_e32 v0, 24, v0
	v_and_b32_e32 v2, v2, v3
	v_cmp_gt_i32_e64 s11, 0, v13
	v_not_b32_e32 v3, v14
	v_ashrrev_i32_e32 v6, 31, v6
	v_xor_b32_e32 v5, vcc_lo, v5
	v_and_b32_e32 v2, v2, v4
	v_cmp_gt_i32_e32 vcc_lo, 0, v14
	v_not_b32_e32 v4, v0
	v_ashrrev_i32_e32 v3, 31, v3
	v_xor_b32_e32 v6, s11, v6
	v_and_b32_e32 v2, v2, v5
	v_lshlrev_b32_e32 v1, 1, v1
	v_cmp_gt_i32_e64 s11, 0, v0
	v_ashrrev_i32_e32 v0, 31, v4
	v_xor_b32_e32 v3, vcc_lo, v3
	v_and_b32_e32 v2, v2, v6
	v_add_lshl_u32 v1, v1, v74, 2
	s_delay_alu instid0(VALU_DEP_4) | instskip(NEXT) | instid1(VALU_DEP_3)
	v_xor_b32_e32 v0, s11, v0
	v_and_b32_e32 v2, v2, v3
	ds_load_b32 v13, v1 offset:8
	v_add_nc_u32_e32 v15, 8, v1
	; wave barrier
	v_and_b32_e32 v0, v2, v0
	s_delay_alu instid0(VALU_DEP_1) | instskip(SKIP_1) | instid1(VALU_DEP_2)
	v_mbcnt_lo_u32_b32 v14, v0, 0
	v_cmp_ne_u32_e64 s11, 0, v0
	v_cmp_eq_u32_e32 vcc_lo, 0, v14
	s_delay_alu instid0(VALU_DEP_2) | instskip(NEXT) | instid1(SALU_CYCLE_1)
	s_and_b32 s23, s11, vcc_lo
	s_and_saveexec_b32 s11, s23
	s_cbranch_execz .LBB103_10
; %bb.9:                                ;   in Loop: Header=BB103_4 Depth=2
	s_waitcnt lgkmcnt(0)
	v_bcnt_u32_b32 v0, v0, v13
	ds_store_b32 v15, v0
.LBB103_10:                             ;   in Loop: Header=BB103_4 Depth=2
	s_or_b32 exec_lo, exec_lo, s11
	v_lshrrev_b64 v[0:1], s16, v[26:27]
	; wave barrier
	s_delay_alu instid0(VALU_DEP_1)
	v_and_b32_e32 v2, 1, v0
	v_lshlrev_b32_e32 v3, 30, v0
	v_lshlrev_b32_e32 v4, 29, v0
	;; [unrolled: 1-line block ×4, first 2 shown]
	v_add_co_u32 v2, s11, v2, -1
	s_delay_alu instid0(VALU_DEP_1)
	v_cndmask_b32_e64 v6, 0, 1, s11
	v_not_b32_e32 v34, v3
	v_cmp_gt_i32_e64 s11, 0, v3
	v_not_b32_e32 v3, v4
	v_lshlrev_b32_e32 v32, 26, v0
	v_cmp_ne_u32_e32 vcc_lo, 0, v6
	v_ashrrev_i32_e32 v6, 31, v34
	v_lshlrev_b32_e32 v33, 25, v0
	v_ashrrev_i32_e32 v3, 31, v3
	v_and_b32_e32 v1, 0xff, v0
	v_xor_b32_e32 v2, vcc_lo, v2
	v_cmp_gt_i32_e32 vcc_lo, 0, v4
	v_not_b32_e32 v4, v5
	v_xor_b32_e32 v6, s11, v6
	v_cmp_gt_i32_e64 s11, 0, v5
	v_and_b32_e32 v2, exec_lo, v2
	v_not_b32_e32 v5, v7
	v_ashrrev_i32_e32 v4, 31, v4
	v_xor_b32_e32 v3, vcc_lo, v3
	v_cmp_gt_i32_e32 vcc_lo, 0, v7
	v_and_b32_e32 v2, v2, v6
	v_not_b32_e32 v6, v32
	v_ashrrev_i32_e32 v5, 31, v5
	v_xor_b32_e32 v4, s11, v4
	v_lshlrev_b32_e32 v0, 24, v0
	v_and_b32_e32 v2, v2, v3
	v_cmp_gt_i32_e64 s11, 0, v32
	v_not_b32_e32 v3, v33
	v_ashrrev_i32_e32 v6, 31, v6
	v_xor_b32_e32 v5, vcc_lo, v5
	v_and_b32_e32 v2, v2, v4
	v_cmp_gt_i32_e32 vcc_lo, 0, v33
	v_not_b32_e32 v4, v0
	v_ashrrev_i32_e32 v3, 31, v3
	v_xor_b32_e32 v6, s11, v6
	v_and_b32_e32 v2, v2, v5
	v_lshlrev_b32_e32 v1, 1, v1
	v_cmp_gt_i32_e64 s11, 0, v0
	v_ashrrev_i32_e32 v0, 31, v4
	v_xor_b32_e32 v3, vcc_lo, v3
	v_and_b32_e32 v2, v2, v6
	v_add_lshl_u32 v1, v1, v74, 2
	s_delay_alu instid0(VALU_DEP_4) | instskip(NEXT) | instid1(VALU_DEP_3)
	v_xor_b32_e32 v0, s11, v0
	v_and_b32_e32 v2, v2, v3
	ds_load_b32 v32, v1 offset:8
	v_add_nc_u32_e32 v34, 8, v1
	; wave barrier
	v_and_b32_e32 v0, v2, v0
	s_delay_alu instid0(VALU_DEP_1) | instskip(SKIP_1) | instid1(VALU_DEP_2)
	v_mbcnt_lo_u32_b32 v33, v0, 0
	v_cmp_ne_u32_e64 s11, 0, v0
	v_cmp_eq_u32_e32 vcc_lo, 0, v33
	s_delay_alu instid0(VALU_DEP_2) | instskip(NEXT) | instid1(SALU_CYCLE_1)
	s_and_b32 s23, s11, vcc_lo
	s_and_saveexec_b32 s11, s23
	s_cbranch_execz .LBB103_12
; %bb.11:                               ;   in Loop: Header=BB103_4 Depth=2
	s_waitcnt lgkmcnt(0)
	v_bcnt_u32_b32 v0, v0, v32
	ds_store_b32 v34, v0
.LBB103_12:                             ;   in Loop: Header=BB103_4 Depth=2
	s_or_b32 exec_lo, exec_lo, s11
	v_lshrrev_b64 v[0:1], s16, v[24:25]
	; wave barrier
	s_delay_alu instid0(VALU_DEP_1)
	v_and_b32_e32 v2, 1, v0
	v_lshlrev_b32_e32 v3, 30, v0
	v_lshlrev_b32_e32 v4, 29, v0
	;; [unrolled: 1-line block ×4, first 2 shown]
	v_add_co_u32 v2, s11, v2, -1
	s_delay_alu instid0(VALU_DEP_1)
	v_cndmask_b32_e64 v6, 0, 1, s11
	v_not_b32_e32 v37, v3
	v_cmp_gt_i32_e64 s11, 0, v3
	v_not_b32_e32 v3, v4
	v_lshlrev_b32_e32 v35, 26, v0
	v_cmp_ne_u32_e32 vcc_lo, 0, v6
	v_ashrrev_i32_e32 v6, 31, v37
	v_lshlrev_b32_e32 v36, 25, v0
	v_ashrrev_i32_e32 v3, 31, v3
	v_and_b32_e32 v1, 0xff, v0
	v_xor_b32_e32 v2, vcc_lo, v2
	v_cmp_gt_i32_e32 vcc_lo, 0, v4
	v_not_b32_e32 v4, v5
	v_xor_b32_e32 v6, s11, v6
	v_cmp_gt_i32_e64 s11, 0, v5
	v_and_b32_e32 v2, exec_lo, v2
	v_not_b32_e32 v5, v7
	v_ashrrev_i32_e32 v4, 31, v4
	v_xor_b32_e32 v3, vcc_lo, v3
	v_cmp_gt_i32_e32 vcc_lo, 0, v7
	v_and_b32_e32 v2, v2, v6
	v_not_b32_e32 v6, v35
	v_ashrrev_i32_e32 v5, 31, v5
	v_xor_b32_e32 v4, s11, v4
	v_lshlrev_b32_e32 v0, 24, v0
	v_and_b32_e32 v2, v2, v3
	v_cmp_gt_i32_e64 s11, 0, v35
	v_not_b32_e32 v3, v36
	v_ashrrev_i32_e32 v6, 31, v6
	v_xor_b32_e32 v5, vcc_lo, v5
	v_and_b32_e32 v2, v2, v4
	v_cmp_gt_i32_e32 vcc_lo, 0, v36
	v_not_b32_e32 v4, v0
	v_ashrrev_i32_e32 v3, 31, v3
	v_xor_b32_e32 v6, s11, v6
	v_and_b32_e32 v2, v2, v5
	v_lshlrev_b32_e32 v1, 1, v1
	v_cmp_gt_i32_e64 s11, 0, v0
	v_ashrrev_i32_e32 v0, 31, v4
	v_xor_b32_e32 v3, vcc_lo, v3
	v_and_b32_e32 v2, v2, v6
	v_add_lshl_u32 v1, v1, v74, 2
	s_delay_alu instid0(VALU_DEP_4) | instskip(NEXT) | instid1(VALU_DEP_3)
	v_xor_b32_e32 v0, s11, v0
	v_and_b32_e32 v2, v2, v3
	ds_load_b32 v35, v1 offset:8
	v_add_nc_u32_e32 v37, 8, v1
	; wave barrier
	v_and_b32_e32 v0, v2, v0
	s_delay_alu instid0(VALU_DEP_1) | instskip(SKIP_1) | instid1(VALU_DEP_2)
	v_mbcnt_lo_u32_b32 v36, v0, 0
	v_cmp_ne_u32_e64 s11, 0, v0
	v_cmp_eq_u32_e32 vcc_lo, 0, v36
	s_delay_alu instid0(VALU_DEP_2) | instskip(NEXT) | instid1(SALU_CYCLE_1)
	s_and_b32 s23, s11, vcc_lo
	s_and_saveexec_b32 s11, s23
	s_cbranch_execz .LBB103_14
; %bb.13:                               ;   in Loop: Header=BB103_4 Depth=2
	s_waitcnt lgkmcnt(0)
	v_bcnt_u32_b32 v0, v0, v35
	ds_store_b32 v37, v0
.LBB103_14:                             ;   in Loop: Header=BB103_4 Depth=2
	s_or_b32 exec_lo, exec_lo, s11
	v_lshrrev_b64 v[0:1], s16, v[22:23]
	; wave barrier
	s_delay_alu instid0(VALU_DEP_1)
	v_and_b32_e32 v2, 1, v0
	v_lshlrev_b32_e32 v3, 30, v0
	v_lshlrev_b32_e32 v4, 29, v0
	;; [unrolled: 1-line block ×4, first 2 shown]
	v_add_co_u32 v2, s11, v2, -1
	s_delay_alu instid0(VALU_DEP_1)
	v_cndmask_b32_e64 v6, 0, 1, s11
	v_not_b32_e32 v40, v3
	v_cmp_gt_i32_e64 s11, 0, v3
	v_not_b32_e32 v3, v4
	v_lshlrev_b32_e32 v38, 26, v0
	v_cmp_ne_u32_e32 vcc_lo, 0, v6
	v_ashrrev_i32_e32 v6, 31, v40
	v_lshlrev_b32_e32 v39, 25, v0
	v_ashrrev_i32_e32 v3, 31, v3
	v_and_b32_e32 v1, 0xff, v0
	v_xor_b32_e32 v2, vcc_lo, v2
	v_cmp_gt_i32_e32 vcc_lo, 0, v4
	v_not_b32_e32 v4, v5
	v_xor_b32_e32 v6, s11, v6
	v_cmp_gt_i32_e64 s11, 0, v5
	v_and_b32_e32 v2, exec_lo, v2
	v_not_b32_e32 v5, v7
	v_ashrrev_i32_e32 v4, 31, v4
	v_xor_b32_e32 v3, vcc_lo, v3
	v_cmp_gt_i32_e32 vcc_lo, 0, v7
	v_and_b32_e32 v2, v2, v6
	v_not_b32_e32 v6, v38
	v_ashrrev_i32_e32 v5, 31, v5
	v_xor_b32_e32 v4, s11, v4
	v_lshlrev_b32_e32 v0, 24, v0
	v_and_b32_e32 v2, v2, v3
	v_cmp_gt_i32_e64 s11, 0, v38
	v_not_b32_e32 v3, v39
	v_ashrrev_i32_e32 v6, 31, v6
	v_xor_b32_e32 v5, vcc_lo, v5
	v_and_b32_e32 v2, v2, v4
	v_cmp_gt_i32_e32 vcc_lo, 0, v39
	v_not_b32_e32 v4, v0
	v_ashrrev_i32_e32 v3, 31, v3
	v_xor_b32_e32 v6, s11, v6
	v_and_b32_e32 v2, v2, v5
	v_lshlrev_b32_e32 v1, 1, v1
	v_cmp_gt_i32_e64 s11, 0, v0
	v_ashrrev_i32_e32 v0, 31, v4
	v_xor_b32_e32 v3, vcc_lo, v3
	v_and_b32_e32 v2, v2, v6
	v_add_lshl_u32 v1, v1, v74, 2
	s_delay_alu instid0(VALU_DEP_4) | instskip(NEXT) | instid1(VALU_DEP_3)
	v_xor_b32_e32 v0, s11, v0
	v_and_b32_e32 v2, v2, v3
	ds_load_b32 v38, v1 offset:8
	v_add_nc_u32_e32 v40, 8, v1
	; wave barrier
	v_and_b32_e32 v0, v2, v0
	s_delay_alu instid0(VALU_DEP_1) | instskip(SKIP_1) | instid1(VALU_DEP_2)
	v_mbcnt_lo_u32_b32 v39, v0, 0
	v_cmp_ne_u32_e64 s11, 0, v0
	v_cmp_eq_u32_e32 vcc_lo, 0, v39
	s_delay_alu instid0(VALU_DEP_2) | instskip(NEXT) | instid1(SALU_CYCLE_1)
	s_and_b32 s23, s11, vcc_lo
	s_and_saveexec_b32 s11, s23
	s_cbranch_execz .LBB103_16
; %bb.15:                               ;   in Loop: Header=BB103_4 Depth=2
	s_waitcnt lgkmcnt(0)
	v_bcnt_u32_b32 v0, v0, v38
	ds_store_b32 v40, v0
.LBB103_16:                             ;   in Loop: Header=BB103_4 Depth=2
	s_or_b32 exec_lo, exec_lo, s11
	v_lshrrev_b64 v[0:1], s16, v[18:19]
	; wave barrier
	s_delay_alu instid0(VALU_DEP_1)
	v_and_b32_e32 v2, 1, v0
	v_lshlrev_b32_e32 v3, 30, v0
	v_lshlrev_b32_e32 v4, 29, v0
	;; [unrolled: 1-line block ×4, first 2 shown]
	v_add_co_u32 v2, s11, v2, -1
	s_delay_alu instid0(VALU_DEP_1)
	v_cndmask_b32_e64 v6, 0, 1, s11
	v_not_b32_e32 v43, v3
	v_cmp_gt_i32_e64 s11, 0, v3
	v_not_b32_e32 v3, v4
	v_lshlrev_b32_e32 v41, 26, v0
	v_cmp_ne_u32_e32 vcc_lo, 0, v6
	v_ashrrev_i32_e32 v6, 31, v43
	v_lshlrev_b32_e32 v42, 25, v0
	v_ashrrev_i32_e32 v3, 31, v3
	v_and_b32_e32 v1, 0xff, v0
	v_xor_b32_e32 v2, vcc_lo, v2
	v_cmp_gt_i32_e32 vcc_lo, 0, v4
	v_not_b32_e32 v4, v5
	v_xor_b32_e32 v6, s11, v6
	v_cmp_gt_i32_e64 s11, 0, v5
	v_and_b32_e32 v2, exec_lo, v2
	v_not_b32_e32 v5, v7
	v_ashrrev_i32_e32 v4, 31, v4
	v_xor_b32_e32 v3, vcc_lo, v3
	v_cmp_gt_i32_e32 vcc_lo, 0, v7
	v_and_b32_e32 v2, v2, v6
	v_not_b32_e32 v6, v41
	v_ashrrev_i32_e32 v5, 31, v5
	v_xor_b32_e32 v4, s11, v4
	v_lshlrev_b32_e32 v0, 24, v0
	v_and_b32_e32 v2, v2, v3
	v_cmp_gt_i32_e64 s11, 0, v41
	v_not_b32_e32 v3, v42
	v_ashrrev_i32_e32 v6, 31, v6
	v_xor_b32_e32 v5, vcc_lo, v5
	v_and_b32_e32 v2, v2, v4
	v_cmp_gt_i32_e32 vcc_lo, 0, v42
	v_not_b32_e32 v4, v0
	v_ashrrev_i32_e32 v3, 31, v3
	v_xor_b32_e32 v6, s11, v6
	v_and_b32_e32 v2, v2, v5
	v_lshlrev_b32_e32 v1, 1, v1
	v_cmp_gt_i32_e64 s11, 0, v0
	v_ashrrev_i32_e32 v0, 31, v4
	v_xor_b32_e32 v3, vcc_lo, v3
	v_and_b32_e32 v2, v2, v6
	v_add_lshl_u32 v1, v1, v74, 2
	s_delay_alu instid0(VALU_DEP_4) | instskip(NEXT) | instid1(VALU_DEP_3)
	v_xor_b32_e32 v0, s11, v0
	v_and_b32_e32 v2, v2, v3
	ds_load_b32 v41, v1 offset:8
	v_add_nc_u32_e32 v43, 8, v1
	; wave barrier
	v_and_b32_e32 v0, v2, v0
	s_delay_alu instid0(VALU_DEP_1) | instskip(SKIP_1) | instid1(VALU_DEP_2)
	v_mbcnt_lo_u32_b32 v42, v0, 0
	v_cmp_ne_u32_e64 s11, 0, v0
	v_cmp_eq_u32_e32 vcc_lo, 0, v42
	s_delay_alu instid0(VALU_DEP_2) | instskip(NEXT) | instid1(SALU_CYCLE_1)
	s_and_b32 s23, s11, vcc_lo
	s_and_saveexec_b32 s11, s23
	s_cbranch_execz .LBB103_18
; %bb.17:                               ;   in Loop: Header=BB103_4 Depth=2
	s_waitcnt lgkmcnt(0)
	v_bcnt_u32_b32 v0, v0, v41
	ds_store_b32 v43, v0
.LBB103_18:                             ;   in Loop: Header=BB103_4 Depth=2
	s_or_b32 exec_lo, exec_lo, s11
	v_lshrrev_b64 v[0:1], s16, v[16:17]
	; wave barrier
	s_delay_alu instid0(VALU_DEP_1)
	v_and_b32_e32 v2, 1, v0
	v_lshlrev_b32_e32 v3, 30, v0
	v_lshlrev_b32_e32 v4, 29, v0
	v_lshlrev_b32_e32 v5, 28, v0
	v_lshlrev_b32_e32 v7, 27, v0
	v_add_co_u32 v2, s11, v2, -1
	s_delay_alu instid0(VALU_DEP_1)
	v_cndmask_b32_e64 v6, 0, 1, s11
	v_not_b32_e32 v46, v3
	v_cmp_gt_i32_e64 s11, 0, v3
	v_not_b32_e32 v3, v4
	v_lshlrev_b32_e32 v44, 26, v0
	v_cmp_ne_u32_e32 vcc_lo, 0, v6
	v_ashrrev_i32_e32 v6, 31, v46
	v_lshlrev_b32_e32 v45, 25, v0
	v_ashrrev_i32_e32 v3, 31, v3
	v_and_b32_e32 v1, 0xff, v0
	v_xor_b32_e32 v2, vcc_lo, v2
	v_cmp_gt_i32_e32 vcc_lo, 0, v4
	v_not_b32_e32 v4, v5
	v_xor_b32_e32 v6, s11, v6
	v_cmp_gt_i32_e64 s11, 0, v5
	v_and_b32_e32 v2, exec_lo, v2
	v_not_b32_e32 v5, v7
	v_ashrrev_i32_e32 v4, 31, v4
	v_xor_b32_e32 v3, vcc_lo, v3
	v_cmp_gt_i32_e32 vcc_lo, 0, v7
	v_and_b32_e32 v2, v2, v6
	v_not_b32_e32 v6, v44
	v_ashrrev_i32_e32 v5, 31, v5
	v_xor_b32_e32 v4, s11, v4
	v_lshlrev_b32_e32 v0, 24, v0
	v_and_b32_e32 v2, v2, v3
	v_cmp_gt_i32_e64 s11, 0, v44
	v_not_b32_e32 v3, v45
	v_ashrrev_i32_e32 v6, 31, v6
	v_xor_b32_e32 v5, vcc_lo, v5
	v_and_b32_e32 v2, v2, v4
	v_cmp_gt_i32_e32 vcc_lo, 0, v45
	v_not_b32_e32 v4, v0
	v_ashrrev_i32_e32 v3, 31, v3
	v_xor_b32_e32 v6, s11, v6
	v_and_b32_e32 v2, v2, v5
	v_lshlrev_b32_e32 v1, 1, v1
	v_cmp_gt_i32_e64 s11, 0, v0
	v_ashrrev_i32_e32 v0, 31, v4
	v_xor_b32_e32 v3, vcc_lo, v3
	v_and_b32_e32 v2, v2, v6
	v_add_lshl_u32 v1, v1, v74, 2
	s_delay_alu instid0(VALU_DEP_4) | instskip(NEXT) | instid1(VALU_DEP_3)
	v_xor_b32_e32 v0, s11, v0
	v_and_b32_e32 v2, v2, v3
	ds_load_b32 v44, v1 offset:8
	v_add_nc_u32_e32 v46, 8, v1
	; wave barrier
	v_and_b32_e32 v0, v2, v0
	s_delay_alu instid0(VALU_DEP_1) | instskip(SKIP_1) | instid1(VALU_DEP_2)
	v_mbcnt_lo_u32_b32 v45, v0, 0
	v_cmp_ne_u32_e64 s11, 0, v0
	v_cmp_eq_u32_e32 vcc_lo, 0, v45
	s_delay_alu instid0(VALU_DEP_2) | instskip(NEXT) | instid1(SALU_CYCLE_1)
	s_and_b32 s23, s11, vcc_lo
	s_and_saveexec_b32 s11, s23
	s_cbranch_execz .LBB103_20
; %bb.19:                               ;   in Loop: Header=BB103_4 Depth=2
	s_waitcnt lgkmcnt(0)
	v_bcnt_u32_b32 v0, v0, v44
	ds_store_b32 v46, v0
.LBB103_20:                             ;   in Loop: Header=BB103_4 Depth=2
	s_or_b32 exec_lo, exec_lo, s11
	; wave barrier
	s_waitcnt lgkmcnt(0)
	s_barrier
	buffer_gl0_inv
	ds_load_2addr_b64 v[4:7], v66 offset0:1 offset1:2
	ds_load_2addr_b64 v[0:3], v67 offset0:2 offset1:3
	s_waitcnt lgkmcnt(1)
	v_add_nc_u32_e32 v47, v5, v4
	s_delay_alu instid0(VALU_DEP_1) | instskip(SKIP_1) | instid1(VALU_DEP_1)
	v_add3_u32 v47, v47, v6, v7
	s_waitcnt lgkmcnt(0)
	v_add3_u32 v47, v47, v0, v1
	s_delay_alu instid0(VALU_DEP_1) | instskip(NEXT) | instid1(VALU_DEP_1)
	v_add3_u32 v3, v47, v2, v3
	v_mov_b32_dpp v47, v3 row_shr:1 row_mask:0xf bank_mask:0xf
	s_delay_alu instid0(VALU_DEP_1) | instskip(NEXT) | instid1(VALU_DEP_1)
	v_cndmask_b32_e64 v47, v47, 0, s1
	v_add_nc_u32_e32 v3, v47, v3
	s_delay_alu instid0(VALU_DEP_1) | instskip(NEXT) | instid1(VALU_DEP_1)
	v_mov_b32_dpp v47, v3 row_shr:2 row_mask:0xf bank_mask:0xf
	v_cndmask_b32_e64 v47, 0, v47, s2
	s_delay_alu instid0(VALU_DEP_1) | instskip(NEXT) | instid1(VALU_DEP_1)
	v_add_nc_u32_e32 v3, v3, v47
	v_mov_b32_dpp v47, v3 row_shr:4 row_mask:0xf bank_mask:0xf
	s_delay_alu instid0(VALU_DEP_1) | instskip(NEXT) | instid1(VALU_DEP_1)
	v_cndmask_b32_e64 v47, 0, v47, s3
	v_add_nc_u32_e32 v3, v3, v47
	s_delay_alu instid0(VALU_DEP_1) | instskip(NEXT) | instid1(VALU_DEP_1)
	v_mov_b32_dpp v47, v3 row_shr:8 row_mask:0xf bank_mask:0xf
	v_cndmask_b32_e64 v47, 0, v47, s4
	s_delay_alu instid0(VALU_DEP_1) | instskip(SKIP_3) | instid1(VALU_DEP_1)
	v_add_nc_u32_e32 v3, v3, v47
	ds_swizzle_b32 v47, v3 offset:swizzle(BROADCAST,32,15)
	s_waitcnt lgkmcnt(0)
	v_cndmask_b32_e64 v47, v47, 0, s5
	v_add_nc_u32_e32 v3, v3, v47
	s_and_saveexec_b32 s11, s10
	s_cbranch_execz .LBB103_22
; %bb.21:                               ;   in Loop: Header=BB103_4 Depth=2
	ds_store_b32 v69, v3
.LBB103_22:                             ;   in Loop: Header=BB103_4 Depth=2
	s_or_b32 exec_lo, exec_lo, s11
	s_waitcnt lgkmcnt(0)
	s_barrier
	buffer_gl0_inv
	s_and_saveexec_b32 s11, s6
	s_cbranch_execz .LBB103_24
; %bb.23:                               ;   in Loop: Header=BB103_4 Depth=2
	ds_load_b32 v47, v70
	s_waitcnt lgkmcnt(0)
	v_mov_b32_dpp v48, v47 row_shr:1 row_mask:0xf bank_mask:0xf
	s_delay_alu instid0(VALU_DEP_1) | instskip(NEXT) | instid1(VALU_DEP_1)
	v_cndmask_b32_e64 v48, v48, 0, s9
	v_add_nc_u32_e32 v47, v48, v47
	ds_store_b32 v70, v47
.LBB103_24:                             ;   in Loop: Header=BB103_4 Depth=2
	s_or_b32 exec_lo, exec_lo, s11
	v_mov_b32_e32 v47, 0
	s_waitcnt lgkmcnt(0)
	s_barrier
	buffer_gl0_inv
	s_and_saveexec_b32 s11, s7
	s_cbranch_execz .LBB103_26
; %bb.25:                               ;   in Loop: Header=BB103_4 Depth=2
	ds_load_b32 v47, v73
.LBB103_26:                             ;   in Loop: Header=BB103_4 Depth=2
	s_or_b32 exec_lo, exec_lo, s11
	s_waitcnt lgkmcnt(0)
	v_add_nc_u32_e32 v3, v47, v3
	s_cmp_gt_u32 s16, 55
	ds_bpermute_b32 v3, v68, v3
	s_waitcnt lgkmcnt(0)
	v_cndmask_b32_e64 v3, v3, v47, s0
	s_delay_alu instid0(VALU_DEP_1) | instskip(NEXT) | instid1(VALU_DEP_1)
	v_cndmask_b32_e64 v3, v3, 0, s8
	v_add_nc_u32_e32 v4, v3, v4
	s_delay_alu instid0(VALU_DEP_1) | instskip(NEXT) | instid1(VALU_DEP_1)
	v_add_nc_u32_e32 v5, v4, v5
	v_add_nc_u32_e32 v6, v5, v6
	s_delay_alu instid0(VALU_DEP_1) | instskip(NEXT) | instid1(VALU_DEP_1)
	v_add_nc_u32_e32 v47, v6, v7
	v_add_nc_u32_e32 v48, v47, v0
	s_delay_alu instid0(VALU_DEP_1) | instskip(NEXT) | instid1(VALU_DEP_1)
	v_add_nc_u32_e32 v0, v48, v1
	v_add_nc_u32_e32 v1, v0, v2
	ds_store_2addr_b64 v66, v[3:4], v[5:6] offset0:1 offset1:2
	ds_store_2addr_b64 v67, v[47:48], v[0:1] offset0:2 offset1:3
	s_waitcnt lgkmcnt(0)
	s_barrier
	buffer_gl0_inv
	ds_load_b32 v0, v9
	ds_load_b32 v1, v12
	;; [unrolled: 1-line block ×8, first 2 shown]
	s_waitcnt lgkmcnt(7)
	v_add_nc_u32_e32 v82, v0, v8
	s_waitcnt lgkmcnt(6)
	v_add3_u32 v81, v11, v10, v1
	s_waitcnt lgkmcnt(5)
	v_add3_u32 v80, v14, v13, v2
	;; [unrolled: 2-line block ×7, first 2 shown]
	s_cbranch_scc0 .LBB103_3
; %bb.27:                               ;   in Loop: Header=BB103_2 Depth=1
                                        ; implicit-def: $vgpr47_vgpr48
                                        ; implicit-def: $vgpr43_vgpr44
                                        ; implicit-def: $vgpr39_vgpr40
                                        ; implicit-def: $vgpr35_vgpr36
                                        ; implicit-def: $vgpr14_vgpr15
                                        ; implicit-def: $vgpr10_vgpr11
                                        ; implicit-def: $vgpr6_vgpr7
                                        ; implicit-def: $vgpr2_vgpr3
                                        ; implicit-def: $sgpr16_sgpr17
	s_branch .LBB103_1
.LBB103_28:
	s_waitcnt lgkmcnt(3)
	v_add_co_u32 v13, vcc_lo, v13, v21
	v_add_co_ci_u32_e32 v14, vcc_lo, v14, v22, vcc_lo
	v_add_co_u32 v15, vcc_lo, v15, v23
	v_add_co_ci_u32_e32 v16, vcc_lo, v16, v24, vcc_lo
	s_waitcnt lgkmcnt(2)
	v_add_co_u32 v9, vcc_lo, v9, v25
	v_add_co_ci_u32_e32 v10, vcc_lo, v10, v26, vcc_lo
	v_add_co_u32 v11, vcc_lo, v11, v27
	v_add_co_ci_u32_e32 v12, vcc_lo, v12, v28, vcc_lo
	;; [unrolled: 5-line block ×3, first 2 shown]
	s_waitcnt lgkmcnt(0)
	v_add_co_u32 v0, vcc_lo, v1, v17
	v_lshlrev_b32_e32 v17, 3, v49
	v_add_co_ci_u32_e32 v1, vcc_lo, v2, v18, vcc_lo
	s_add_u32 s0, s18, s12
	s_addc_u32 s1, s19, s13
	v_add_co_u32 v2, vcc_lo, v3, v19
	v_add_co_ci_u32_e32 v3, vcc_lo, v4, v20, vcc_lo
	s_clause 0x7
	global_store_b64 v17, v[13:14], s[0:1]
	global_store_b64 v17, v[15:16], s[0:1] offset:512
	global_store_b64 v17, v[9:10], s[0:1] offset:1024
	global_store_b64 v17, v[11:12], s[0:1] offset:1536
	global_store_b64 v17, v[5:6], s[0:1] offset:2048
	global_store_b64 v17, v[7:8], s[0:1] offset:2560
	global_store_b64 v17, v[0:1], s[0:1] offset:3072
	global_store_b64 v17, v[2:3], s[0:1] offset:3584
	s_nop 0
	s_sendmsg sendmsg(MSG_DEALLOC_VGPRS)
	s_endpgm
	.section	.rodata,"a",@progbits
	.p2align	6, 0x0
	.amdhsa_kernel _Z17sort_pairs_kernelI22helper_blocked_blockedxLj64ELj8ELj10EEvPKT0_PS1_
		.amdhsa_group_segment_fixed_size 4096
		.amdhsa_private_segment_fixed_size 0
		.amdhsa_kernarg_size 272
		.amdhsa_user_sgpr_count 15
		.amdhsa_user_sgpr_dispatch_ptr 0
		.amdhsa_user_sgpr_queue_ptr 0
		.amdhsa_user_sgpr_kernarg_segment_ptr 1
		.amdhsa_user_sgpr_dispatch_id 0
		.amdhsa_user_sgpr_private_segment_size 0
		.amdhsa_wavefront_size32 1
		.amdhsa_uses_dynamic_stack 0
		.amdhsa_enable_private_segment 0
		.amdhsa_system_sgpr_workgroup_id_x 1
		.amdhsa_system_sgpr_workgroup_id_y 0
		.amdhsa_system_sgpr_workgroup_id_z 0
		.amdhsa_system_sgpr_workgroup_info 0
		.amdhsa_system_vgpr_workitem_id 2
		.amdhsa_next_free_vgpr 83
		.amdhsa_next_free_sgpr 24
		.amdhsa_reserve_vcc 1
		.amdhsa_float_round_mode_32 0
		.amdhsa_float_round_mode_16_64 0
		.amdhsa_float_denorm_mode_32 3
		.amdhsa_float_denorm_mode_16_64 3
		.amdhsa_dx10_clamp 1
		.amdhsa_ieee_mode 1
		.amdhsa_fp16_overflow 0
		.amdhsa_workgroup_processor_mode 1
		.amdhsa_memory_ordered 1
		.amdhsa_forward_progress 0
		.amdhsa_shared_vgpr_count 0
		.amdhsa_exception_fp_ieee_invalid_op 0
		.amdhsa_exception_fp_denorm_src 0
		.amdhsa_exception_fp_ieee_div_zero 0
		.amdhsa_exception_fp_ieee_overflow 0
		.amdhsa_exception_fp_ieee_underflow 0
		.amdhsa_exception_fp_ieee_inexact 0
		.amdhsa_exception_int_div_zero 0
	.end_amdhsa_kernel
	.section	.text._Z17sort_pairs_kernelI22helper_blocked_blockedxLj64ELj8ELj10EEvPKT0_PS1_,"axG",@progbits,_Z17sort_pairs_kernelI22helper_blocked_blockedxLj64ELj8ELj10EEvPKT0_PS1_,comdat
.Lfunc_end103:
	.size	_Z17sort_pairs_kernelI22helper_blocked_blockedxLj64ELj8ELj10EEvPKT0_PS1_, .Lfunc_end103-_Z17sort_pairs_kernelI22helper_blocked_blockedxLj64ELj8ELj10EEvPKT0_PS1_
                                        ; -- End function
	.section	.AMDGPU.csdata,"",@progbits
; Kernel info:
; codeLenInByte = 5068
; NumSgprs: 26
; NumVgprs: 83
; ScratchSize: 0
; MemoryBound: 0
; FloatMode: 240
; IeeeMode: 1
; LDSByteSize: 4096 bytes/workgroup (compile time only)
; SGPRBlocks: 3
; VGPRBlocks: 10
; NumSGPRsForWavesPerEU: 26
; NumVGPRsForWavesPerEU: 83
; Occupancy: 16
; WaveLimiterHint : 1
; COMPUTE_PGM_RSRC2:SCRATCH_EN: 0
; COMPUTE_PGM_RSRC2:USER_SGPR: 15
; COMPUTE_PGM_RSRC2:TRAP_HANDLER: 0
; COMPUTE_PGM_RSRC2:TGID_X_EN: 1
; COMPUTE_PGM_RSRC2:TGID_Y_EN: 0
; COMPUTE_PGM_RSRC2:TGID_Z_EN: 0
; COMPUTE_PGM_RSRC2:TIDIG_COMP_CNT: 2
	.section	.text._Z16sort_keys_kernelI22helper_blocked_blockedxLj128ELj1ELj10EEvPKT0_PS1_,"axG",@progbits,_Z16sort_keys_kernelI22helper_blocked_blockedxLj128ELj1ELj10EEvPKT0_PS1_,comdat
	.protected	_Z16sort_keys_kernelI22helper_blocked_blockedxLj128ELj1ELj10EEvPKT0_PS1_ ; -- Begin function _Z16sort_keys_kernelI22helper_blocked_blockedxLj128ELj1ELj10EEvPKT0_PS1_
	.globl	_Z16sort_keys_kernelI22helper_blocked_blockedxLj128ELj1ELj10EEvPKT0_PS1_
	.p2align	8
	.type	_Z16sort_keys_kernelI22helper_blocked_blockedxLj128ELj1ELj10EEvPKT0_PS1_,@function
_Z16sort_keys_kernelI22helper_blocked_blockedxLj128ELj1ELj10EEvPKT0_PS1_: ; @_Z16sort_keys_kernelI22helper_blocked_blockedxLj128ELj1ELj10EEvPKT0_PS1_
; %bb.0:
	s_clause 0x1
	s_load_b128 s[16:19], s[0:1], 0x0
	s_load_b32 s11, s[0:1], 0x1c
	v_and_b32_e32 v8, 0x3ff, v0
	s_mov_b32 s13, 0
	s_lshl_b32 s12, s15, 7
	v_mbcnt_lo_u32_b32 v5, -1, 0
	s_lshl_b64 s[14:15], s[12:13], 3
	v_lshlrev_b32_e32 v1, 3, v8
	s_mov_b32 s12, s13
	v_bfe_u32 v3, v0, 10, 10
	v_bfe_u32 v0, v0, 20, 10
	v_dual_mov_b32 v11, s12 :: v_dual_and_b32 v4, 15, v5
	v_and_b32_e32 v6, 16, v5
	v_dual_mov_b32 v12, s13 :: v_dual_add_nc_u32 v7, -1, v5
	v_and_b32_e32 v13, 3, v5
	s_delay_alu instid0(VALU_DEP_4) | instskip(NEXT) | instid1(VALU_DEP_4)
	v_cmp_lt_u32_e64 s2, 1, v4
	v_cmp_eq_u32_e64 s5, 0, v6
	s_delay_alu instid0(VALU_DEP_4)
	v_cmp_gt_i32_e32 vcc_lo, 0, v7
	s_waitcnt lgkmcnt(0)
	s_add_u32 s0, s16, s14
	s_addc_u32 s1, s17, s15
	s_lshr_b32 s12, s11, 16
	global_load_b64 v[1:2], v1, s[0:1]
	s_mov_b32 s1, s13
	s_mov_b32 s0, s13
	s_delay_alu instid0(SALU_CYCLE_1)
	v_dual_mov_b32 v10, s1 :: v_dual_mov_b32 v9, s0
	v_mad_u32_u24 v0, v0, s12, v3
	v_lshlrev_b32_e32 v15, 5, v8
	v_dual_cndmask_b32 v7, v7, v5 :: v_dual_and_b32 v6, 0x60, v8
	v_lshrrev_b32_e32 v14, 3, v8
	s_and_b32 s11, s11, 0xffff
	v_cmp_eq_u32_e64 s1, 0, v4
	v_cmp_lt_u32_e64 s3, 3, v4
	v_cmp_lt_u32_e64 s4, 7, v4
	v_mad_u64_u32 v[3:4], null, v0, s11, v[8:9]
	v_cmp_eq_u32_e64 s9, 0, v13
	v_cmp_lt_u32_e64 s10, 1, v13
	v_lshlrev_b32_e32 v13, 2, v8
	v_or_b32_e32 v20, 31, v6
	v_and_b32_e32 v17, 12, v14
	v_or_b32_e32 v0, v5, v6
	v_mad_i32_i24 v19, 0xffffffe4, v8, v15
	v_cmp_eq_u32_e64 s0, 0, v5
	v_cmp_gt_u32_e64 s6, 4, v8
	v_cmp_lt_u32_e64 s7, 31, v8
	v_cmp_eq_u32_e64 s8, 0, v8
	v_or_b32_e32 v16, 16, v15
	v_lshlrev_b32_e32 v18, 2, v7
	v_cmp_eq_u32_e64 s11, v20, v8
	v_add_nc_u32_e32 v20, -4, v17
	v_lshlrev_b32_e32 v21, 3, v0
	v_lshrrev_b32_e32 v22, 5, v3
	v_add_nc_u32_e32 v23, v19, v13
	s_waitcnt vmcnt(0)
	v_xor_b32_e32 v2, 0x80000000, v2
	s_branch .LBB104_2
.LBB104_1:                              ;   in Loop: Header=BB104_2 Depth=1
	s_delay_alu instid0(VALU_DEP_1)
	v_lshlrev_b32_e32 v0, 3, v0
	s_barrier
	buffer_gl0_inv
	s_add_i32 s13, s13, 1
	ds_store_b64 v0, v[13:14]
	s_waitcnt lgkmcnt(0)
	s_barrier
	buffer_gl0_inv
	ds_load_b64 v[1:2], v23
	s_cmp_eq_u32 s13, 10
	s_cbranch_scc1 .LBB104_14
.LBB104_2:                              ; =>This Loop Header: Depth=1
                                        ;     Child Loop BB104_4 Depth 2
	s_mov_b64 s[16:17], 0
	s_branch .LBB104_4
.LBB104_3:                              ;   in Loop: Header=BB104_4 Depth=2
	s_delay_alu instid0(VALU_DEP_1)
	v_lshlrev_b32_e32 v1, 3, v0
	s_barrier
	buffer_gl0_inv
	s_add_u32 s16, s16, 8
	ds_store_b64 v1, v[13:14]
	s_waitcnt lgkmcnt(0)
	s_barrier
	buffer_gl0_inv
	ds_load_b64 v[1:2], v21
	s_addc_u32 s17, s17, 0
	s_waitcnt lgkmcnt(0)
	s_barrier
	buffer_gl0_inv
	s_cbranch_execz .LBB104_1
.LBB104_4:                              ;   Parent Loop BB104_2 Depth=1
                                        ; =>  This Inner Loop Header: Depth=2
	s_waitcnt lgkmcnt(0)
	v_dual_mov_b32 v14, v2 :: v_dual_mov_b32 v13, v1
	ds_store_2addr_b64 v15, v[11:12], v[9:10] offset0:2 offset1:3
	ds_store_2addr_b64 v16, v[11:12], v[9:10] offset0:2 offset1:3
	s_waitcnt lgkmcnt(0)
	s_barrier
	buffer_gl0_inv
	v_lshrrev_b64 v[1:2], s16, v[13:14]
	; wave barrier
	s_delay_alu instid0(VALU_DEP_1)
	v_and_b32_e32 v0, 1, v1
	v_lshlrev_b32_e32 v2, 30, v1
	v_lshlrev_b32_e32 v3, 29, v1
	;; [unrolled: 1-line block ×4, first 2 shown]
	v_add_co_u32 v0, s12, v0, -1
	s_delay_alu instid0(VALU_DEP_1)
	v_cndmask_b32_e64 v5, 0, 1, s12
	v_not_b32_e32 v25, v2
	v_cmp_gt_i32_e64 s12, 0, v2
	v_not_b32_e32 v2, v3
	v_lshlrev_b32_e32 v7, 26, v1
	v_cmp_ne_u32_e32 vcc_lo, 0, v5
	v_ashrrev_i32_e32 v25, 31, v25
	v_lshlrev_b32_e32 v24, 25, v1
	v_ashrrev_i32_e32 v2, 31, v2
	v_lshlrev_b32_e32 v5, 24, v1
	v_xor_b32_e32 v0, vcc_lo, v0
	v_cmp_gt_i32_e32 vcc_lo, 0, v3
	v_not_b32_e32 v3, v4
	v_xor_b32_e32 v25, s12, v25
	v_cmp_gt_i32_e64 s12, 0, v4
	v_and_b32_e32 v0, exec_lo, v0
	v_not_b32_e32 v4, v6
	v_ashrrev_i32_e32 v3, 31, v3
	v_xor_b32_e32 v2, vcc_lo, v2
	v_cmp_gt_i32_e32 vcc_lo, 0, v6
	v_and_b32_e32 v0, v0, v25
	v_not_b32_e32 v6, v7
	v_ashrrev_i32_e32 v4, 31, v4
	v_xor_b32_e32 v3, s12, v3
	v_cmp_gt_i32_e64 s12, 0, v7
	v_and_b32_e32 v0, v0, v2
	v_not_b32_e32 v2, v24
	v_ashrrev_i32_e32 v6, 31, v6
	v_xor_b32_e32 v4, vcc_lo, v4
	v_cmp_gt_i32_e32 vcc_lo, 0, v24
	v_and_b32_e32 v0, v0, v3
	v_not_b32_e32 v3, v5
	v_ashrrev_i32_e32 v2, 31, v2
	v_xor_b32_e32 v6, s12, v6
	v_cmp_gt_i32_e64 s12, 0, v5
	v_and_b32_e32 v0, v0, v4
	v_ashrrev_i32_e32 v3, 31, v3
	v_xor_b32_e32 v2, vcc_lo, v2
	v_and_b32_e32 v1, 0xff, v1
	s_delay_alu instid0(VALU_DEP_4) | instskip(NEXT) | instid1(VALU_DEP_4)
	v_and_b32_e32 v0, v0, v6
	v_xor_b32_e32 v3, s12, v3
	s_delay_alu instid0(VALU_DEP_3) | instskip(NEXT) | instid1(VALU_DEP_3)
	v_lshl_add_u32 v1, v1, 2, v22
	v_and_b32_e32 v0, v0, v2
	s_delay_alu instid0(VALU_DEP_2) | instskip(NEXT) | instid1(VALU_DEP_2)
	v_lshl_add_u32 v25, v1, 2, 16
	v_and_b32_e32 v0, v0, v3
	s_delay_alu instid0(VALU_DEP_1) | instskip(SKIP_1) | instid1(VALU_DEP_2)
	v_mbcnt_lo_u32_b32 v24, v0, 0
	v_cmp_ne_u32_e64 s12, 0, v0
	v_cmp_eq_u32_e32 vcc_lo, 0, v24
	s_delay_alu instid0(VALU_DEP_2) | instskip(NEXT) | instid1(SALU_CYCLE_1)
	s_and_b32 s20, s12, vcc_lo
	s_and_saveexec_b32 s12, s20
	s_cbranch_execz .LBB104_6
; %bb.5:                                ;   in Loop: Header=BB104_4 Depth=2
	v_bcnt_u32_b32 v0, v0, 0
	ds_store_b32 v25, v0
.LBB104_6:                              ;   in Loop: Header=BB104_4 Depth=2
	s_or_b32 exec_lo, exec_lo, s12
	; wave barrier
	s_waitcnt lgkmcnt(0)
	s_barrier
	buffer_gl0_inv
	ds_load_2addr_b64 v[4:7], v15 offset0:2 offset1:3
	ds_load_2addr_b64 v[0:3], v16 offset0:2 offset1:3
	s_waitcnt lgkmcnt(1)
	v_add_nc_u32_e32 v26, v5, v4
	s_delay_alu instid0(VALU_DEP_1) | instskip(SKIP_1) | instid1(VALU_DEP_1)
	v_add3_u32 v26, v26, v6, v7
	s_waitcnt lgkmcnt(0)
	v_add3_u32 v26, v26, v0, v1
	s_delay_alu instid0(VALU_DEP_1) | instskip(NEXT) | instid1(VALU_DEP_1)
	v_add3_u32 v3, v26, v2, v3
	v_mov_b32_dpp v26, v3 row_shr:1 row_mask:0xf bank_mask:0xf
	s_delay_alu instid0(VALU_DEP_1) | instskip(NEXT) | instid1(VALU_DEP_1)
	v_cndmask_b32_e64 v26, v26, 0, s1
	v_add_nc_u32_e32 v3, v26, v3
	s_delay_alu instid0(VALU_DEP_1) | instskip(NEXT) | instid1(VALU_DEP_1)
	v_mov_b32_dpp v26, v3 row_shr:2 row_mask:0xf bank_mask:0xf
	v_cndmask_b32_e64 v26, 0, v26, s2
	s_delay_alu instid0(VALU_DEP_1) | instskip(NEXT) | instid1(VALU_DEP_1)
	v_add_nc_u32_e32 v3, v3, v26
	v_mov_b32_dpp v26, v3 row_shr:4 row_mask:0xf bank_mask:0xf
	s_delay_alu instid0(VALU_DEP_1) | instskip(NEXT) | instid1(VALU_DEP_1)
	v_cndmask_b32_e64 v26, 0, v26, s3
	v_add_nc_u32_e32 v3, v3, v26
	s_delay_alu instid0(VALU_DEP_1) | instskip(NEXT) | instid1(VALU_DEP_1)
	v_mov_b32_dpp v26, v3 row_shr:8 row_mask:0xf bank_mask:0xf
	v_cndmask_b32_e64 v26, 0, v26, s4
	s_delay_alu instid0(VALU_DEP_1) | instskip(SKIP_3) | instid1(VALU_DEP_1)
	v_add_nc_u32_e32 v3, v3, v26
	ds_swizzle_b32 v26, v3 offset:swizzle(BROADCAST,32,15)
	s_waitcnt lgkmcnt(0)
	v_cndmask_b32_e64 v26, v26, 0, s5
	v_add_nc_u32_e32 v3, v3, v26
	s_and_saveexec_b32 s12, s11
	s_cbranch_execz .LBB104_8
; %bb.7:                                ;   in Loop: Header=BB104_4 Depth=2
	ds_store_b32 v17, v3
.LBB104_8:                              ;   in Loop: Header=BB104_4 Depth=2
	s_or_b32 exec_lo, exec_lo, s12
	s_waitcnt lgkmcnt(0)
	s_barrier
	buffer_gl0_inv
	s_and_saveexec_b32 s12, s6
	s_cbranch_execz .LBB104_10
; %bb.9:                                ;   in Loop: Header=BB104_4 Depth=2
	ds_load_b32 v26, v19
	s_waitcnt lgkmcnt(0)
	v_mov_b32_dpp v27, v26 row_shr:1 row_mask:0xf bank_mask:0xf
	s_delay_alu instid0(VALU_DEP_1) | instskip(NEXT) | instid1(VALU_DEP_1)
	v_cndmask_b32_e64 v27, v27, 0, s9
	v_add_nc_u32_e32 v26, v27, v26
	s_delay_alu instid0(VALU_DEP_1) | instskip(NEXT) | instid1(VALU_DEP_1)
	v_mov_b32_dpp v27, v26 row_shr:2 row_mask:0xf bank_mask:0xf
	v_cndmask_b32_e64 v27, 0, v27, s10
	s_delay_alu instid0(VALU_DEP_1)
	v_add_nc_u32_e32 v26, v26, v27
	ds_store_b32 v19, v26
.LBB104_10:                             ;   in Loop: Header=BB104_4 Depth=2
	s_or_b32 exec_lo, exec_lo, s12
	v_mov_b32_e32 v26, 0
	s_waitcnt lgkmcnt(0)
	s_barrier
	buffer_gl0_inv
	s_and_saveexec_b32 s12, s7
	s_cbranch_execz .LBB104_12
; %bb.11:                               ;   in Loop: Header=BB104_4 Depth=2
	ds_load_b32 v26, v20
.LBB104_12:                             ;   in Loop: Header=BB104_4 Depth=2
	s_or_b32 exec_lo, exec_lo, s12
	s_waitcnt lgkmcnt(0)
	v_add_nc_u32_e32 v3, v26, v3
	s_cmp_gt_u32 s16, 55
	ds_bpermute_b32 v3, v18, v3
	s_waitcnt lgkmcnt(0)
	v_cndmask_b32_e64 v3, v3, v26, s0
	s_delay_alu instid0(VALU_DEP_1) | instskip(NEXT) | instid1(VALU_DEP_1)
	v_cndmask_b32_e64 v3, v3, 0, s8
	v_add_nc_u32_e32 v4, v3, v4
	s_delay_alu instid0(VALU_DEP_1) | instskip(NEXT) | instid1(VALU_DEP_1)
	v_add_nc_u32_e32 v5, v4, v5
	v_add_nc_u32_e32 v6, v5, v6
	s_delay_alu instid0(VALU_DEP_1) | instskip(NEXT) | instid1(VALU_DEP_1)
	v_add_nc_u32_e32 v26, v6, v7
	;; [unrolled: 3-line block ×3, first 2 shown]
	v_add_nc_u32_e32 v1, v0, v2
	ds_store_2addr_b64 v15, v[3:4], v[5:6] offset0:2 offset1:3
	ds_store_2addr_b64 v16, v[26:27], v[0:1] offset0:2 offset1:3
	s_waitcnt lgkmcnt(0)
	s_barrier
	buffer_gl0_inv
	ds_load_b32 v0, v25
	s_waitcnt lgkmcnt(0)
	v_add_nc_u32_e32 v0, v0, v24
	s_cbranch_scc0 .LBB104_3
; %bb.13:                               ;   in Loop: Header=BB104_2 Depth=1
                                        ; implicit-def: $vgpr1_vgpr2
                                        ; implicit-def: $sgpr16_sgpr17
	s_branch .LBB104_1
.LBB104_14:
	s_waitcnt lgkmcnt(0)
	v_xor_b32_e32 v2, 0x80000000, v2
	v_lshlrev_b32_e32 v0, 3, v8
	s_add_u32 s0, s18, s14
	s_addc_u32 s1, s19, s15
	global_store_b64 v0, v[1:2], s[0:1]
	s_nop 0
	s_sendmsg sendmsg(MSG_DEALLOC_VGPRS)
	s_endpgm
	.section	.rodata,"a",@progbits
	.p2align	6, 0x0
	.amdhsa_kernel _Z16sort_keys_kernelI22helper_blocked_blockedxLj128ELj1ELj10EEvPKT0_PS1_
		.amdhsa_group_segment_fixed_size 4112
		.amdhsa_private_segment_fixed_size 0
		.amdhsa_kernarg_size 272
		.amdhsa_user_sgpr_count 15
		.amdhsa_user_sgpr_dispatch_ptr 0
		.amdhsa_user_sgpr_queue_ptr 0
		.amdhsa_user_sgpr_kernarg_segment_ptr 1
		.amdhsa_user_sgpr_dispatch_id 0
		.amdhsa_user_sgpr_private_segment_size 0
		.amdhsa_wavefront_size32 1
		.amdhsa_uses_dynamic_stack 0
		.amdhsa_enable_private_segment 0
		.amdhsa_system_sgpr_workgroup_id_x 1
		.amdhsa_system_sgpr_workgroup_id_y 0
		.amdhsa_system_sgpr_workgroup_id_z 0
		.amdhsa_system_sgpr_workgroup_info 0
		.amdhsa_system_vgpr_workitem_id 2
		.amdhsa_next_free_vgpr 28
		.amdhsa_next_free_sgpr 21
		.amdhsa_reserve_vcc 1
		.amdhsa_float_round_mode_32 0
		.amdhsa_float_round_mode_16_64 0
		.amdhsa_float_denorm_mode_32 3
		.amdhsa_float_denorm_mode_16_64 3
		.amdhsa_dx10_clamp 1
		.amdhsa_ieee_mode 1
		.amdhsa_fp16_overflow 0
		.amdhsa_workgroup_processor_mode 1
		.amdhsa_memory_ordered 1
		.amdhsa_forward_progress 0
		.amdhsa_shared_vgpr_count 0
		.amdhsa_exception_fp_ieee_invalid_op 0
		.amdhsa_exception_fp_denorm_src 0
		.amdhsa_exception_fp_ieee_div_zero 0
		.amdhsa_exception_fp_ieee_overflow 0
		.amdhsa_exception_fp_ieee_underflow 0
		.amdhsa_exception_fp_ieee_inexact 0
		.amdhsa_exception_int_div_zero 0
	.end_amdhsa_kernel
	.section	.text._Z16sort_keys_kernelI22helper_blocked_blockedxLj128ELj1ELj10EEvPKT0_PS1_,"axG",@progbits,_Z16sort_keys_kernelI22helper_blocked_blockedxLj128ELj1ELj10EEvPKT0_PS1_,comdat
.Lfunc_end104:
	.size	_Z16sort_keys_kernelI22helper_blocked_blockedxLj128ELj1ELj10EEvPKT0_PS1_, .Lfunc_end104-_Z16sort_keys_kernelI22helper_blocked_blockedxLj128ELj1ELj10EEvPKT0_PS1_
                                        ; -- End function
	.section	.AMDGPU.csdata,"",@progbits
; Kernel info:
; codeLenInByte = 1432
; NumSgprs: 23
; NumVgprs: 28
; ScratchSize: 0
; MemoryBound: 0
; FloatMode: 240
; IeeeMode: 1
; LDSByteSize: 4112 bytes/workgroup (compile time only)
; SGPRBlocks: 2
; VGPRBlocks: 3
; NumSGPRsForWavesPerEU: 23
; NumVGPRsForWavesPerEU: 28
; Occupancy: 16
; WaveLimiterHint : 0
; COMPUTE_PGM_RSRC2:SCRATCH_EN: 0
; COMPUTE_PGM_RSRC2:USER_SGPR: 15
; COMPUTE_PGM_RSRC2:TRAP_HANDLER: 0
; COMPUTE_PGM_RSRC2:TGID_X_EN: 1
; COMPUTE_PGM_RSRC2:TGID_Y_EN: 0
; COMPUTE_PGM_RSRC2:TGID_Z_EN: 0
; COMPUTE_PGM_RSRC2:TIDIG_COMP_CNT: 2
	.section	.text._Z17sort_pairs_kernelI22helper_blocked_blockedxLj128ELj1ELj10EEvPKT0_PS1_,"axG",@progbits,_Z17sort_pairs_kernelI22helper_blocked_blockedxLj128ELj1ELj10EEvPKT0_PS1_,comdat
	.protected	_Z17sort_pairs_kernelI22helper_blocked_blockedxLj128ELj1ELj10EEvPKT0_PS1_ ; -- Begin function _Z17sort_pairs_kernelI22helper_blocked_blockedxLj128ELj1ELj10EEvPKT0_PS1_
	.globl	_Z17sort_pairs_kernelI22helper_blocked_blockedxLj128ELj1ELj10EEvPKT0_PS1_
	.p2align	8
	.type	_Z17sort_pairs_kernelI22helper_blocked_blockedxLj128ELj1ELj10EEvPKT0_PS1_,@function
_Z17sort_pairs_kernelI22helper_blocked_blockedxLj128ELj1ELj10EEvPKT0_PS1_: ; @_Z17sort_pairs_kernelI22helper_blocked_blockedxLj128ELj1ELj10EEvPKT0_PS1_
; %bb.0:
	s_clause 0x1
	s_load_b128 s[16:19], s[0:1], 0x0
	s_load_b32 s11, s[0:1], 0x1c
	v_and_b32_e32 v8, 0x3ff, v0
	s_mov_b32 s13, 0
	s_lshl_b32 s12, s15, 7
	v_mbcnt_lo_u32_b32 v5, -1, 0
	s_lshl_b64 s[14:15], s[12:13], 3
	v_lshlrev_b32_e32 v1, 3, v8
	s_mov_b32 s12, s13
	v_bfe_u32 v3, v0, 10, 10
	v_bfe_u32 v0, v0, 20, 10
	v_dual_mov_b32 v11, s12 :: v_dual_and_b32 v4, 15, v5
	v_dual_mov_b32 v12, s13 :: v_dual_add_nc_u32 v7, -1, v5
	v_and_b32_e32 v6, 16, v5
	v_and_b32_e32 v13, 3, v5
	s_delay_alu instid0(VALU_DEP_4)
	v_cmp_lt_u32_e64 s2, 1, v4
	v_cmp_lt_u32_e64 s3, 3, v4
	;; [unrolled: 1-line block ×3, first 2 shown]
	s_waitcnt lgkmcnt(0)
	s_add_u32 s0, s16, s14
	s_addc_u32 s1, s17, s15
	s_lshr_b32 s12, s11, 16
	global_load_b64 v[1:2], v1, s[0:1]
	s_mov_b32 s1, s13
	s_mov_b32 s0, s13
	s_delay_alu instid0(SALU_CYCLE_1)
	v_dual_mov_b32 v10, s1 :: v_dual_mov_b32 v9, s0
	v_mad_u32_u24 v0, v0, s12, v3
	s_and_b32 s11, s11, 0xffff
	v_lshlrev_b32_e32 v17, 5, v8
	v_cmp_eq_u32_e64 s1, 0, v4
	v_cmp_eq_u32_e64 s5, 0, v6
	v_cmp_gt_i32_e32 vcc_lo, 0, v7
	v_and_b32_e32 v6, 0x60, v8
	v_lshrrev_b32_e32 v14, 3, v8
	v_mad_u64_u32 v[3:4], null, v0, s11, v[8:9]
	v_cndmask_b32_e32 v7, v7, v5, vcc_lo
	v_cmp_eq_u32_e64 s9, 0, v13
	v_cmp_lt_u32_e64 s10, 1, v13
	v_lshlrev_b32_e32 v13, 2, v8
	v_or_b32_e32 v15, 31, v6
	v_and_b32_e32 v19, 12, v14
	v_or_b32_e32 v0, v5, v6
	v_mad_i32_i24 v21, 0xffffffe4, v8, v17
	v_lshrrev_b32_e32 v24, 5, v3
	v_cmp_eq_u32_e64 s0, 0, v5
	v_cmp_gt_u32_e64 s6, 4, v8
	v_cmp_lt_u32_e64 s7, 31, v8
	v_cmp_eq_u32_e64 s8, 0, v8
	v_or_b32_e32 v18, 16, v17
	v_lshlrev_b32_e32 v20, 2, v7
	v_cmp_eq_u32_e64 s11, v15, v8
	v_add_nc_u32_e32 v22, -4, v19
	v_lshlrev_b32_e32 v23, 3, v0
	v_add_nc_u32_e32 v25, v21, v13
	s_waitcnt vmcnt(0)
	v_add_co_u32 v3, vcc_lo, v1, 1
	v_add_co_ci_u32_e32 v4, vcc_lo, 0, v2, vcc_lo
	v_xor_b32_e32 v2, 0x80000000, v2
	s_branch .LBB105_2
.LBB105_1:                              ;   in Loop: Header=BB105_2 Depth=1
	s_delay_alu instid0(VALU_DEP_1)
	v_lshlrev_b32_e32 v0, 3, v0
	s_barrier
	buffer_gl0_inv
	s_add_i32 s13, s13, 1
	ds_store_b64 v0, v[13:14]
	s_waitcnt lgkmcnt(0)
	s_barrier
	buffer_gl0_inv
	ds_load_b64 v[1:2], v25
	s_waitcnt lgkmcnt(0)
	s_barrier
	buffer_gl0_inv
	ds_store_b64 v0, v[15:16]
	s_waitcnt lgkmcnt(0)
	s_barrier
	buffer_gl0_inv
	ds_load_b64 v[3:4], v25
	s_cmp_lg_u32 s13, 10
	s_cbranch_scc0 .LBB105_14
.LBB105_2:                              ; =>This Loop Header: Depth=1
                                        ;     Child Loop BB105_4 Depth 2
	s_mov_b64 s[16:17], 0
	s_branch .LBB105_4
.LBB105_3:                              ;   in Loop: Header=BB105_4 Depth=2
	s_delay_alu instid0(VALU_DEP_1)
	v_lshlrev_b32_e32 v3, 3, v0
	s_barrier
	buffer_gl0_inv
	s_add_u32 s16, s16, 8
	ds_store_b64 v3, v[13:14]
	s_waitcnt lgkmcnt(0)
	s_barrier
	buffer_gl0_inv
	ds_load_b64 v[1:2], v23
	s_waitcnt lgkmcnt(0)
	s_barrier
	buffer_gl0_inv
	ds_store_b64 v3, v[15:16]
	s_waitcnt lgkmcnt(0)
	s_barrier
	buffer_gl0_inv
	ds_load_b64 v[3:4], v23
	s_addc_u32 s17, s17, 0
	s_waitcnt lgkmcnt(0)
	s_barrier
	buffer_gl0_inv
	s_cbranch_execz .LBB105_1
.LBB105_4:                              ;   Parent Loop BB105_2 Depth=1
                                        ; =>  This Inner Loop Header: Depth=2
	s_delay_alu instid0(VALU_DEP_1)
	v_dual_mov_b32 v14, v2 :: v_dual_mov_b32 v13, v1
	ds_store_2addr_b64 v17, v[11:12], v[9:10] offset0:2 offset1:3
	ds_store_2addr_b64 v18, v[11:12], v[9:10] offset0:2 offset1:3
	s_waitcnt lgkmcnt(0)
	s_barrier
	buffer_gl0_inv
	v_lshrrev_b64 v[1:2], s16, v[13:14]
	; wave barrier
	s_delay_alu instid0(VALU_DEP_1)
	v_and_b32_e32 v0, 1, v1
	v_lshlrev_b32_e32 v2, 30, v1
	v_lshlrev_b32_e32 v5, 29, v1
	;; [unrolled: 1-line block ×4, first 2 shown]
	v_add_co_u32 v0, s12, v0, -1
	s_delay_alu instid0(VALU_DEP_1)
	v_cndmask_b32_e64 v7, 0, 1, s12
	v_not_b32_e32 v27, v2
	v_cmp_gt_i32_e64 s12, 0, v2
	v_not_b32_e32 v2, v5
	v_lshlrev_b32_e32 v16, 26, v1
	v_cmp_ne_u32_e32 vcc_lo, 0, v7
	v_ashrrev_i32_e32 v27, 31, v27
	v_lshlrev_b32_e32 v26, 25, v1
	v_ashrrev_i32_e32 v2, 31, v2
	v_lshlrev_b32_e32 v7, 24, v1
	v_xor_b32_e32 v0, vcc_lo, v0
	v_cmp_gt_i32_e32 vcc_lo, 0, v5
	v_not_b32_e32 v5, v6
	v_xor_b32_e32 v27, s12, v27
	v_cmp_gt_i32_e64 s12, 0, v6
	v_and_b32_e32 v0, exec_lo, v0
	v_not_b32_e32 v6, v15
	v_ashrrev_i32_e32 v5, 31, v5
	v_xor_b32_e32 v2, vcc_lo, v2
	v_cmp_gt_i32_e32 vcc_lo, 0, v15
	v_and_b32_e32 v0, v0, v27
	v_not_b32_e32 v15, v16
	v_ashrrev_i32_e32 v6, 31, v6
	v_xor_b32_e32 v5, s12, v5
	v_cmp_gt_i32_e64 s12, 0, v16
	v_and_b32_e32 v0, v0, v2
	v_not_b32_e32 v2, v26
	v_ashrrev_i32_e32 v15, 31, v15
	v_xor_b32_e32 v6, vcc_lo, v6
	v_cmp_gt_i32_e32 vcc_lo, 0, v26
	v_and_b32_e32 v0, v0, v5
	v_not_b32_e32 v5, v7
	v_ashrrev_i32_e32 v2, 31, v2
	v_xor_b32_e32 v15, s12, v15
	v_cmp_gt_i32_e64 s12, 0, v7
	v_and_b32_e32 v0, v0, v6
	v_ashrrev_i32_e32 v5, 31, v5
	v_xor_b32_e32 v2, vcc_lo, v2
	v_and_b32_e32 v1, 0xff, v1
	s_delay_alu instid0(VALU_DEP_4) | instskip(SKIP_2) | instid1(VALU_DEP_4)
	v_and_b32_e32 v0, v0, v15
	v_mov_b32_e32 v16, v4
	v_xor_b32_e32 v5, s12, v5
	v_lshl_add_u32 v1, v1, 2, v24
	s_delay_alu instid0(VALU_DEP_4) | instskip(NEXT) | instid1(VALU_DEP_2)
	v_dual_mov_b32 v15, v3 :: v_dual_and_b32 v0, v0, v2
	v_lshl_add_u32 v27, v1, 2, 16
	s_delay_alu instid0(VALU_DEP_2) | instskip(NEXT) | instid1(VALU_DEP_1)
	v_and_b32_e32 v0, v0, v5
	v_mbcnt_lo_u32_b32 v26, v0, 0
	v_cmp_ne_u32_e64 s12, 0, v0
	s_delay_alu instid0(VALU_DEP_2) | instskip(NEXT) | instid1(VALU_DEP_2)
	v_cmp_eq_u32_e32 vcc_lo, 0, v26
	s_and_b32 s20, s12, vcc_lo
	s_delay_alu instid0(SALU_CYCLE_1)
	s_and_saveexec_b32 s12, s20
	s_cbranch_execz .LBB105_6
; %bb.5:                                ;   in Loop: Header=BB105_4 Depth=2
	v_bcnt_u32_b32 v0, v0, 0
	ds_store_b32 v27, v0
.LBB105_6:                              ;   in Loop: Header=BB105_4 Depth=2
	s_or_b32 exec_lo, exec_lo, s12
	; wave barrier
	s_waitcnt lgkmcnt(0)
	s_barrier
	buffer_gl0_inv
	ds_load_2addr_b64 v[4:7], v17 offset0:2 offset1:3
	ds_load_2addr_b64 v[0:3], v18 offset0:2 offset1:3
	s_waitcnt lgkmcnt(1)
	v_add_nc_u32_e32 v28, v5, v4
	s_delay_alu instid0(VALU_DEP_1) | instskip(SKIP_1) | instid1(VALU_DEP_1)
	v_add3_u32 v28, v28, v6, v7
	s_waitcnt lgkmcnt(0)
	v_add3_u32 v28, v28, v0, v1
	s_delay_alu instid0(VALU_DEP_1) | instskip(NEXT) | instid1(VALU_DEP_1)
	v_add3_u32 v3, v28, v2, v3
	v_mov_b32_dpp v28, v3 row_shr:1 row_mask:0xf bank_mask:0xf
	s_delay_alu instid0(VALU_DEP_1) | instskip(NEXT) | instid1(VALU_DEP_1)
	v_cndmask_b32_e64 v28, v28, 0, s1
	v_add_nc_u32_e32 v3, v28, v3
	s_delay_alu instid0(VALU_DEP_1) | instskip(NEXT) | instid1(VALU_DEP_1)
	v_mov_b32_dpp v28, v3 row_shr:2 row_mask:0xf bank_mask:0xf
	v_cndmask_b32_e64 v28, 0, v28, s2
	s_delay_alu instid0(VALU_DEP_1) | instskip(NEXT) | instid1(VALU_DEP_1)
	v_add_nc_u32_e32 v3, v3, v28
	v_mov_b32_dpp v28, v3 row_shr:4 row_mask:0xf bank_mask:0xf
	s_delay_alu instid0(VALU_DEP_1) | instskip(NEXT) | instid1(VALU_DEP_1)
	v_cndmask_b32_e64 v28, 0, v28, s3
	v_add_nc_u32_e32 v3, v3, v28
	s_delay_alu instid0(VALU_DEP_1) | instskip(NEXT) | instid1(VALU_DEP_1)
	v_mov_b32_dpp v28, v3 row_shr:8 row_mask:0xf bank_mask:0xf
	v_cndmask_b32_e64 v28, 0, v28, s4
	s_delay_alu instid0(VALU_DEP_1) | instskip(SKIP_3) | instid1(VALU_DEP_1)
	v_add_nc_u32_e32 v3, v3, v28
	ds_swizzle_b32 v28, v3 offset:swizzle(BROADCAST,32,15)
	s_waitcnt lgkmcnt(0)
	v_cndmask_b32_e64 v28, v28, 0, s5
	v_add_nc_u32_e32 v3, v3, v28
	s_and_saveexec_b32 s12, s11
	s_cbranch_execz .LBB105_8
; %bb.7:                                ;   in Loop: Header=BB105_4 Depth=2
	ds_store_b32 v19, v3
.LBB105_8:                              ;   in Loop: Header=BB105_4 Depth=2
	s_or_b32 exec_lo, exec_lo, s12
	s_waitcnt lgkmcnt(0)
	s_barrier
	buffer_gl0_inv
	s_and_saveexec_b32 s12, s6
	s_cbranch_execz .LBB105_10
; %bb.9:                                ;   in Loop: Header=BB105_4 Depth=2
	ds_load_b32 v28, v21
	s_waitcnt lgkmcnt(0)
	v_mov_b32_dpp v29, v28 row_shr:1 row_mask:0xf bank_mask:0xf
	s_delay_alu instid0(VALU_DEP_1) | instskip(NEXT) | instid1(VALU_DEP_1)
	v_cndmask_b32_e64 v29, v29, 0, s9
	v_add_nc_u32_e32 v28, v29, v28
	s_delay_alu instid0(VALU_DEP_1) | instskip(NEXT) | instid1(VALU_DEP_1)
	v_mov_b32_dpp v29, v28 row_shr:2 row_mask:0xf bank_mask:0xf
	v_cndmask_b32_e64 v29, 0, v29, s10
	s_delay_alu instid0(VALU_DEP_1)
	v_add_nc_u32_e32 v28, v28, v29
	ds_store_b32 v21, v28
.LBB105_10:                             ;   in Loop: Header=BB105_4 Depth=2
	s_or_b32 exec_lo, exec_lo, s12
	v_mov_b32_e32 v28, 0
	s_waitcnt lgkmcnt(0)
	s_barrier
	buffer_gl0_inv
	s_and_saveexec_b32 s12, s7
	s_cbranch_execz .LBB105_12
; %bb.11:                               ;   in Loop: Header=BB105_4 Depth=2
	ds_load_b32 v28, v22
.LBB105_12:                             ;   in Loop: Header=BB105_4 Depth=2
	s_or_b32 exec_lo, exec_lo, s12
	s_waitcnt lgkmcnt(0)
	v_add_nc_u32_e32 v3, v28, v3
	s_cmp_gt_u32 s16, 55
	ds_bpermute_b32 v3, v20, v3
	s_waitcnt lgkmcnt(0)
	v_cndmask_b32_e64 v3, v3, v28, s0
	s_delay_alu instid0(VALU_DEP_1) | instskip(NEXT) | instid1(VALU_DEP_1)
	v_cndmask_b32_e64 v3, v3, 0, s8
	v_add_nc_u32_e32 v4, v3, v4
	s_delay_alu instid0(VALU_DEP_1) | instskip(NEXT) | instid1(VALU_DEP_1)
	v_add_nc_u32_e32 v5, v4, v5
	v_add_nc_u32_e32 v6, v5, v6
	s_delay_alu instid0(VALU_DEP_1) | instskip(NEXT) | instid1(VALU_DEP_1)
	v_add_nc_u32_e32 v28, v6, v7
	;; [unrolled: 3-line block ×3, first 2 shown]
	v_add_nc_u32_e32 v1, v0, v2
	ds_store_2addr_b64 v17, v[3:4], v[5:6] offset0:2 offset1:3
	ds_store_2addr_b64 v18, v[28:29], v[0:1] offset0:2 offset1:3
	s_waitcnt lgkmcnt(0)
	s_barrier
	buffer_gl0_inv
	ds_load_b32 v0, v27
	s_waitcnt lgkmcnt(0)
	v_add_nc_u32_e32 v0, v0, v26
	s_cbranch_scc0 .LBB105_3
; %bb.13:                               ;   in Loop: Header=BB105_2 Depth=1
                                        ; implicit-def: $vgpr3_vgpr4
                                        ; implicit-def: $vgpr1_vgpr2
                                        ; implicit-def: $sgpr16_sgpr17
	s_branch .LBB105_1
.LBB105_14:
	s_waitcnt lgkmcnt(0)
	v_add_co_u32 v0, vcc_lo, v3, v1
	v_add_co_ci_u32_e32 v1, vcc_lo, v4, v2, vcc_lo
	v_lshlrev_b32_e32 v2, 3, v8
	s_delay_alu instid0(VALU_DEP_3) | instskip(NEXT) | instid1(VALU_DEP_3)
	v_add_co_u32 v0, vcc_lo, v0, 0
	v_add_co_ci_u32_e32 v1, vcc_lo, 0x80000000, v1, vcc_lo
	s_add_u32 s0, s18, s14
	s_addc_u32 s1, s19, s15
	global_store_b64 v2, v[0:1], s[0:1]
	s_nop 0
	s_sendmsg sendmsg(MSG_DEALLOC_VGPRS)
	s_endpgm
	.section	.rodata,"a",@progbits
	.p2align	6, 0x0
	.amdhsa_kernel _Z17sort_pairs_kernelI22helper_blocked_blockedxLj128ELj1ELj10EEvPKT0_PS1_
		.amdhsa_group_segment_fixed_size 4112
		.amdhsa_private_segment_fixed_size 0
		.amdhsa_kernarg_size 272
		.amdhsa_user_sgpr_count 15
		.amdhsa_user_sgpr_dispatch_ptr 0
		.amdhsa_user_sgpr_queue_ptr 0
		.amdhsa_user_sgpr_kernarg_segment_ptr 1
		.amdhsa_user_sgpr_dispatch_id 0
		.amdhsa_user_sgpr_private_segment_size 0
		.amdhsa_wavefront_size32 1
		.amdhsa_uses_dynamic_stack 0
		.amdhsa_enable_private_segment 0
		.amdhsa_system_sgpr_workgroup_id_x 1
		.amdhsa_system_sgpr_workgroup_id_y 0
		.amdhsa_system_sgpr_workgroup_id_z 0
		.amdhsa_system_sgpr_workgroup_info 0
		.amdhsa_system_vgpr_workitem_id 2
		.amdhsa_next_free_vgpr 30
		.amdhsa_next_free_sgpr 21
		.amdhsa_reserve_vcc 1
		.amdhsa_float_round_mode_32 0
		.amdhsa_float_round_mode_16_64 0
		.amdhsa_float_denorm_mode_32 3
		.amdhsa_float_denorm_mode_16_64 3
		.amdhsa_dx10_clamp 1
		.amdhsa_ieee_mode 1
		.amdhsa_fp16_overflow 0
		.amdhsa_workgroup_processor_mode 1
		.amdhsa_memory_ordered 1
		.amdhsa_forward_progress 0
		.amdhsa_shared_vgpr_count 0
		.amdhsa_exception_fp_ieee_invalid_op 0
		.amdhsa_exception_fp_denorm_src 0
		.amdhsa_exception_fp_ieee_div_zero 0
		.amdhsa_exception_fp_ieee_overflow 0
		.amdhsa_exception_fp_ieee_underflow 0
		.amdhsa_exception_fp_ieee_inexact 0
		.amdhsa_exception_int_div_zero 0
	.end_amdhsa_kernel
	.section	.text._Z17sort_pairs_kernelI22helper_blocked_blockedxLj128ELj1ELj10EEvPKT0_PS1_,"axG",@progbits,_Z17sort_pairs_kernelI22helper_blocked_blockedxLj128ELj1ELj10EEvPKT0_PS1_,comdat
.Lfunc_end105:
	.size	_Z17sort_pairs_kernelI22helper_blocked_blockedxLj128ELj1ELj10EEvPKT0_PS1_, .Lfunc_end105-_Z17sort_pairs_kernelI22helper_blocked_blockedxLj128ELj1ELj10EEvPKT0_PS1_
                                        ; -- End function
	.section	.AMDGPU.csdata,"",@progbits
; Kernel info:
; codeLenInByte = 1568
; NumSgprs: 23
; NumVgprs: 30
; ScratchSize: 0
; MemoryBound: 0
; FloatMode: 240
; IeeeMode: 1
; LDSByteSize: 4112 bytes/workgroup (compile time only)
; SGPRBlocks: 2
; VGPRBlocks: 3
; NumSGPRsForWavesPerEU: 23
; NumVGPRsForWavesPerEU: 30
; Occupancy: 16
; WaveLimiterHint : 0
; COMPUTE_PGM_RSRC2:SCRATCH_EN: 0
; COMPUTE_PGM_RSRC2:USER_SGPR: 15
; COMPUTE_PGM_RSRC2:TRAP_HANDLER: 0
; COMPUTE_PGM_RSRC2:TGID_X_EN: 1
; COMPUTE_PGM_RSRC2:TGID_Y_EN: 0
; COMPUTE_PGM_RSRC2:TGID_Z_EN: 0
; COMPUTE_PGM_RSRC2:TIDIG_COMP_CNT: 2
	.section	.text._Z16sort_keys_kernelI22helper_blocked_blockedxLj128ELj3ELj10EEvPKT0_PS1_,"axG",@progbits,_Z16sort_keys_kernelI22helper_blocked_blockedxLj128ELj3ELj10EEvPKT0_PS1_,comdat
	.protected	_Z16sort_keys_kernelI22helper_blocked_blockedxLj128ELj3ELj10EEvPKT0_PS1_ ; -- Begin function _Z16sort_keys_kernelI22helper_blocked_blockedxLj128ELj3ELj10EEvPKT0_PS1_
	.globl	_Z16sort_keys_kernelI22helper_blocked_blockedxLj128ELj3ELj10EEvPKT0_PS1_
	.p2align	8
	.type	_Z16sort_keys_kernelI22helper_blocked_blockedxLj128ELj3ELj10EEvPKT0_PS1_,@function
_Z16sort_keys_kernelI22helper_blocked_blockedxLj128ELj3ELj10EEvPKT0_PS1_: ; @_Z16sort_keys_kernelI22helper_blocked_blockedxLj128ELj3ELj10EEvPKT0_PS1_
; %bb.0:
	s_clause 0x1
	s_load_b128 s[16:19], s[0:1], 0x0
	s_load_b32 s2, s[0:1], 0x1c
	s_mov_b32 s13, 0
	s_mul_i32 s12, s15, 0x180
	v_bfe_u32 v9, v0, 10, 10
	s_lshl_b64 s[14:15], s[12:13], 3
	s_mov_b32 s12, s13
	v_and_b32_e32 v8, 0x3ff, v0
	v_bfe_u32 v0, v0, 20, 10
	v_mbcnt_lo_u32_b32 v12, -1, 0
	s_delay_alu instid0(VALU_DEP_3) | instskip(NEXT) | instid1(VALU_DEP_2)
	v_lshlrev_b32_e32 v5, 3, v8
	v_cmp_eq_u32_e64 s8, 0, v12
	s_waitcnt lgkmcnt(0)
	s_add_u32 s0, s16, s14
	s_addc_u32 s1, s17, s15
	s_mov_b32 s16, s13
	s_clause 0x2
	global_load_b64 v[1:2], v5, s[0:1]
	global_load_b64 v[3:4], v5, s[0:1] offset:1024
	global_load_b64 v[5:6], v5, s[0:1] offset:2048
	s_lshr_b32 s0, s2, 16
	s_mov_b32 s17, s13
	v_mad_u32_u24 v0, v0, s0, v9
	s_and_b32 s0, s2, 0xffff
	s_delay_alu instid0(VALU_DEP_1) | instid1(SALU_CYCLE_1)
	v_mad_u64_u32 v[9:10], null, v0, s0, v[8:9]
	v_and_b32_e32 v10, 15, v12
	s_delay_alu instid0(VALU_DEP_1) | instskip(NEXT) | instid1(VALU_DEP_3)
	v_cmp_eq_u32_e64 s0, 0, v10
	v_lshrrev_b32_e32 v23, 5, v9
	v_add_nc_u32_e32 v9, -1, v12
	v_cmp_lt_u32_e64 s1, 1, v10
	v_cmp_lt_u32_e64 s2, 3, v10
	;; [unrolled: 1-line block ×3, first 2 shown]
	s_delay_alu instid0(VALU_DEP_4) | instskip(SKIP_1) | instid1(VALU_DEP_1)
	v_cmp_gt_i32_e32 vcc_lo, 0, v9
	v_cndmask_b32_e32 v9, v9, v12, vcc_lo
	v_lshlrev_b32_e32 v24, 2, v9
	v_and_b32_e32 v9, 3, v12
	s_delay_alu instid0(VALU_DEP_1)
	v_cmp_eq_u32_e64 s10, 0, v9
	v_cmp_lt_u32_e64 s11, 1, v9
	v_mov_b32_e32 v9, s12
	v_lshrrev_b32_e32 v7, 5, v8
	v_lshlrev_b32_e32 v19, 5, v8
	v_cmp_gt_u32_e64 s6, 4, v8
	v_cmp_lt_u32_e64 s7, 31, v8
	v_cmp_eq_u32_e64 s9, 0, v8
	v_mul_u32_u24_e32 v11, 0x60, v7
	v_lshlrev_b32_e32 v25, 2, v7
	v_mad_i32_i24 v26, 0xffffffe4, v8, v19
	v_or_b32_e32 v22, 16, v19
	v_mov_b32_e32 v10, s13
	v_or_b32_e32 v0, v12, v11
	v_lshlrev_b32_e32 v13, 3, v11
	v_and_b32_e32 v11, 16, v12
	v_add_nc_u32_e32 v27, -4, v25
	s_delay_alu instid0(VALU_DEP_4) | instskip(SKIP_3) | instid1(VALU_DEP_3)
	v_lshlrev_b32_e32 v21, 3, v0
	v_and_b32_e32 v0, 0x60, v8
	v_mad_u32_u24 v20, v12, 24, v13
	v_cmp_eq_u32_e64 s4, 0, v11
	v_or_b32_e32 v13, 31, v0
	v_mul_u32_u24_e32 v0, 3, v0
	s_delay_alu instid0(VALU_DEP_2) | instskip(NEXT) | instid1(VALU_DEP_2)
	v_cmp_eq_u32_e64 s5, v13, v8
	v_or_b32_e32 v0, v12, v0
	v_dual_mov_b32 v11, s16 :: v_dual_mov_b32 v12, s17
	s_delay_alu instid0(VALU_DEP_2) | instskip(SKIP_1) | instid1(VALU_DEP_1)
	v_lshlrev_b32_e32 v28, 3, v0
	v_mul_u32_u24_e32 v0, 20, v8
	v_add_nc_u32_e32 v29, v26, v0
	s_branch .LBB106_2
.LBB106_1:                              ;   in Loop: Header=BB106_2 Depth=1
	v_lshlrev_b32_e32 v0, 3, v30
	v_lshlrev_b32_e32 v1, 3, v7
	;; [unrolled: 1-line block ×3, first 2 shown]
	s_barrier
	buffer_gl0_inv
	ds_store_b64 v0, v[13:14]
	ds_store_b64 v1, v[17:18]
	;; [unrolled: 1-line block ×3, first 2 shown]
	s_waitcnt lgkmcnt(0)
	s_barrier
	buffer_gl0_inv
	ds_load_2addr_b64 v[1:4], v29 offset1:1
	ds_load_b64 v[5:6], v29 offset:16
	s_add_i32 s13, s13, 1
	s_delay_alu instid0(SALU_CYCLE_1)
	s_cmp_eq_u32 s13, 10
	s_waitcnt lgkmcnt(1)
	v_xor_b32_e32 v2, 0x80000000, v2
	v_xor_b32_e32 v4, 0x80000000, v4
	s_waitcnt lgkmcnt(0)
	v_xor_b32_e32 v6, 0x80000000, v6
	s_cbranch_scc1 .LBB106_18
.LBB106_2:                              ; =>This Loop Header: Depth=1
                                        ;     Child Loop BB106_4 Depth 2
	s_waitcnt vmcnt(2)
	v_xor_b32_e32 v2, 0x80000000, v2
	s_waitcnt vmcnt(1)
	v_xor_b32_e32 v4, 0x80000000, v4
	;; [unrolled: 2-line block ×3, first 2 shown]
	s_mov_b64 s[16:17], 0
	ds_store_2addr_b64 v20, v[1:2], v[3:4] offset1:1
	ds_store_b64 v20, v[5:6] offset:16
	; wave barrier
	ds_load_2addr_b64 v[0:3], v21 offset1:32
	ds_load_b64 v[4:5], v21 offset:512
	s_waitcnt lgkmcnt(0)
	s_barrier
	buffer_gl0_inv
	; wave barrier
	s_barrier
	s_branch .LBB106_4
.LBB106_3:                              ;   in Loop: Header=BB106_4 Depth=2
	v_lshlrev_b32_e32 v0, 3, v30
	v_lshlrev_b32_e32 v1, 3, v7
	s_delay_alu instid0(VALU_DEP_3)
	v_lshlrev_b32_e32 v2, 3, v6
	s_barrier
	buffer_gl0_inv
	ds_store_b64 v0, v[13:14]
	ds_store_b64 v1, v[17:18]
	;; [unrolled: 1-line block ×3, first 2 shown]
	s_waitcnt lgkmcnt(0)
	s_barrier
	buffer_gl0_inv
	ds_load_2addr_b64 v[0:3], v28 offset1:32
	ds_load_b64 v[4:5], v28 offset:512
	s_add_u32 s16, s16, 8
	s_addc_u32 s17, s17, 0
	s_waitcnt lgkmcnt(0)
	s_barrier
	s_cbranch_execz .LBB106_1
.LBB106_4:                              ;   Parent Loop BB106_2 Depth=1
                                        ; =>  This Inner Loop Header: Depth=2
	v_dual_mov_b32 v14, v1 :: v_dual_mov_b32 v13, v0
	buffer_gl0_inv
	ds_store_2addr_b64 v19, v[9:10], v[11:12] offset0:2 offset1:3
	ds_store_2addr_b64 v22, v[9:10], v[11:12] offset0:2 offset1:3
	s_waitcnt lgkmcnt(0)
	s_barrier
	v_lshrrev_b64 v[6:7], s16, v[13:14]
	buffer_gl0_inv
	; wave barrier
	v_and_b32_e32 v0, 1, v6
	v_lshlrev_b32_e32 v1, 30, v6
	v_lshlrev_b32_e32 v7, 29, v6
	;; [unrolled: 1-line block ×4, first 2 shown]
	v_add_co_u32 v0, s12, v0, -1
	s_delay_alu instid0(VALU_DEP_1)
	v_cndmask_b32_e64 v16, 0, 1, s12
	v_not_b32_e32 v31, v1
	v_cmp_gt_i32_e64 s12, 0, v1
	v_not_b32_e32 v1, v7
	v_lshlrev_b32_e32 v18, 26, v6
	v_cmp_ne_u32_e32 vcc_lo, 0, v16
	v_ashrrev_i32_e32 v31, 31, v31
	v_lshlrev_b32_e32 v30, 25, v6
	v_ashrrev_i32_e32 v1, 31, v1
	v_lshlrev_b32_e32 v16, 24, v6
	v_xor_b32_e32 v0, vcc_lo, v0
	v_cmp_gt_i32_e32 vcc_lo, 0, v7
	v_not_b32_e32 v7, v15
	v_xor_b32_e32 v31, s12, v31
	v_cmp_gt_i32_e64 s12, 0, v15
	v_and_b32_e32 v0, exec_lo, v0
	v_not_b32_e32 v15, v17
	v_ashrrev_i32_e32 v7, 31, v7
	v_xor_b32_e32 v1, vcc_lo, v1
	v_cmp_gt_i32_e32 vcc_lo, 0, v17
	v_and_b32_e32 v0, v0, v31
	v_not_b32_e32 v17, v18
	v_ashrrev_i32_e32 v15, 31, v15
	v_xor_b32_e32 v7, s12, v7
	v_cmp_gt_i32_e64 s12, 0, v18
	v_and_b32_e32 v0, v0, v1
	v_not_b32_e32 v1, v30
	v_ashrrev_i32_e32 v17, 31, v17
	v_xor_b32_e32 v15, vcc_lo, v15
	v_cmp_gt_i32_e32 vcc_lo, 0, v30
	v_and_b32_e32 v0, v0, v7
	v_not_b32_e32 v7, v16
	v_ashrrev_i32_e32 v1, 31, v1
	v_xor_b32_e32 v17, s12, v17
	v_cmp_gt_i32_e64 s12, 0, v16
	v_and_b32_e32 v0, v0, v15
	v_ashrrev_i32_e32 v7, 31, v7
	v_xor_b32_e32 v1, vcc_lo, v1
	v_dual_mov_b32 v16, v5 :: v_dual_mov_b32 v15, v4
	s_delay_alu instid0(VALU_DEP_4) | instskip(NEXT) | instid1(VALU_DEP_4)
	v_and_b32_e32 v0, v0, v17
	v_xor_b32_e32 v7, s12, v7
	v_dual_mov_b32 v18, v3 :: v_dual_mov_b32 v17, v2
	s_delay_alu instid0(VALU_DEP_3) | instskip(SKIP_1) | instid1(VALU_DEP_2)
	v_and_b32_e32 v0, v0, v1
	v_and_b32_e32 v1, 0xff, v6
	;; [unrolled: 1-line block ×3, first 2 shown]
	s_delay_alu instid0(VALU_DEP_2) | instskip(NEXT) | instid1(VALU_DEP_2)
	v_lshl_add_u32 v1, v1, 2, v23
	v_mbcnt_lo_u32_b32 v30, v0, 0
	v_cmp_ne_u32_e64 s12, 0, v0
	s_delay_alu instid0(VALU_DEP_3) | instskip(NEXT) | instid1(VALU_DEP_3)
	v_lshl_add_u32 v31, v1, 2, 16
	v_cmp_eq_u32_e32 vcc_lo, 0, v30
	s_delay_alu instid0(VALU_DEP_3) | instskip(NEXT) | instid1(SALU_CYCLE_1)
	s_and_b32 s20, s12, vcc_lo
	s_and_saveexec_b32 s12, s20
	s_cbranch_execz .LBB106_6
; %bb.5:                                ;   in Loop: Header=BB106_4 Depth=2
	v_bcnt_u32_b32 v0, v0, 0
	ds_store_b32 v31, v0
.LBB106_6:                              ;   in Loop: Header=BB106_4 Depth=2
	s_or_b32 exec_lo, exec_lo, s12
	v_lshrrev_b64 v[0:1], s16, v[17:18]
	; wave barrier
	s_delay_alu instid0(VALU_DEP_1)
	v_and_b32_e32 v2, 1, v0
	v_lshlrev_b32_e32 v3, 30, v0
	v_lshlrev_b32_e32 v4, 29, v0
	;; [unrolled: 1-line block ×4, first 2 shown]
	v_add_co_u32 v2, s12, v2, -1
	s_delay_alu instid0(VALU_DEP_1)
	v_cndmask_b32_e64 v6, 0, 1, s12
	v_not_b32_e32 v34, v3
	v_cmp_gt_i32_e64 s12, 0, v3
	v_not_b32_e32 v3, v4
	v_lshlrev_b32_e32 v32, 26, v0
	v_cmp_ne_u32_e32 vcc_lo, 0, v6
	v_ashrrev_i32_e32 v6, 31, v34
	v_lshlrev_b32_e32 v33, 25, v0
	v_ashrrev_i32_e32 v3, 31, v3
	v_and_b32_e32 v1, 0xff, v0
	v_xor_b32_e32 v2, vcc_lo, v2
	v_cmp_gt_i32_e32 vcc_lo, 0, v4
	v_not_b32_e32 v4, v5
	v_xor_b32_e32 v6, s12, v6
	v_cmp_gt_i32_e64 s12, 0, v5
	v_and_b32_e32 v2, exec_lo, v2
	v_not_b32_e32 v5, v7
	v_ashrrev_i32_e32 v4, 31, v4
	v_xor_b32_e32 v3, vcc_lo, v3
	v_cmp_gt_i32_e32 vcc_lo, 0, v7
	v_and_b32_e32 v2, v2, v6
	v_not_b32_e32 v6, v32
	v_ashrrev_i32_e32 v5, 31, v5
	v_xor_b32_e32 v4, s12, v4
	v_lshlrev_b32_e32 v0, 24, v0
	v_and_b32_e32 v2, v2, v3
	v_cmp_gt_i32_e64 s12, 0, v32
	v_not_b32_e32 v3, v33
	v_ashrrev_i32_e32 v6, 31, v6
	v_xor_b32_e32 v5, vcc_lo, v5
	v_and_b32_e32 v2, v2, v4
	v_cmp_gt_i32_e32 vcc_lo, 0, v33
	v_not_b32_e32 v4, v0
	v_ashrrev_i32_e32 v3, 31, v3
	v_xor_b32_e32 v6, s12, v6
	v_and_b32_e32 v2, v2, v5
	v_lshlrev_b32_e32 v1, 2, v1
	v_cmp_gt_i32_e64 s12, 0, v0
	v_ashrrev_i32_e32 v0, 31, v4
	v_xor_b32_e32 v3, vcc_lo, v3
	v_and_b32_e32 v2, v2, v6
	v_add_lshl_u32 v1, v1, v23, 2
	s_delay_alu instid0(VALU_DEP_4) | instskip(NEXT) | instid1(VALU_DEP_3)
	v_xor_b32_e32 v0, s12, v0
	v_and_b32_e32 v2, v2, v3
	ds_load_b32 v32, v1 offset:16
	v_add_nc_u32_e32 v34, 16, v1
	; wave barrier
	v_and_b32_e32 v0, v2, v0
	s_delay_alu instid0(VALU_DEP_1) | instskip(SKIP_1) | instid1(VALU_DEP_2)
	v_mbcnt_lo_u32_b32 v33, v0, 0
	v_cmp_ne_u32_e64 s12, 0, v0
	v_cmp_eq_u32_e32 vcc_lo, 0, v33
	s_delay_alu instid0(VALU_DEP_2) | instskip(NEXT) | instid1(SALU_CYCLE_1)
	s_and_b32 s20, s12, vcc_lo
	s_and_saveexec_b32 s12, s20
	s_cbranch_execz .LBB106_8
; %bb.7:                                ;   in Loop: Header=BB106_4 Depth=2
	s_waitcnt lgkmcnt(0)
	v_bcnt_u32_b32 v0, v0, v32
	ds_store_b32 v34, v0
.LBB106_8:                              ;   in Loop: Header=BB106_4 Depth=2
	s_or_b32 exec_lo, exec_lo, s12
	v_lshrrev_b64 v[0:1], s16, v[15:16]
	; wave barrier
	s_delay_alu instid0(VALU_DEP_1)
	v_and_b32_e32 v2, 1, v0
	v_lshlrev_b32_e32 v3, 30, v0
	v_lshlrev_b32_e32 v4, 29, v0
	;; [unrolled: 1-line block ×4, first 2 shown]
	v_add_co_u32 v2, s12, v2, -1
	s_delay_alu instid0(VALU_DEP_1)
	v_cndmask_b32_e64 v6, 0, 1, s12
	v_not_b32_e32 v37, v3
	v_cmp_gt_i32_e64 s12, 0, v3
	v_not_b32_e32 v3, v4
	v_lshlrev_b32_e32 v35, 26, v0
	v_cmp_ne_u32_e32 vcc_lo, 0, v6
	v_ashrrev_i32_e32 v6, 31, v37
	v_lshlrev_b32_e32 v36, 25, v0
	v_ashrrev_i32_e32 v3, 31, v3
	v_and_b32_e32 v1, 0xff, v0
	v_xor_b32_e32 v2, vcc_lo, v2
	v_cmp_gt_i32_e32 vcc_lo, 0, v4
	v_not_b32_e32 v4, v5
	v_xor_b32_e32 v6, s12, v6
	v_cmp_gt_i32_e64 s12, 0, v5
	v_and_b32_e32 v2, exec_lo, v2
	v_not_b32_e32 v5, v7
	v_ashrrev_i32_e32 v4, 31, v4
	v_xor_b32_e32 v3, vcc_lo, v3
	v_cmp_gt_i32_e32 vcc_lo, 0, v7
	v_and_b32_e32 v2, v2, v6
	v_not_b32_e32 v6, v35
	v_ashrrev_i32_e32 v5, 31, v5
	v_xor_b32_e32 v4, s12, v4
	v_lshlrev_b32_e32 v0, 24, v0
	v_and_b32_e32 v2, v2, v3
	v_cmp_gt_i32_e64 s12, 0, v35
	v_not_b32_e32 v3, v36
	v_ashrrev_i32_e32 v6, 31, v6
	v_xor_b32_e32 v5, vcc_lo, v5
	v_and_b32_e32 v2, v2, v4
	v_cmp_gt_i32_e32 vcc_lo, 0, v36
	v_not_b32_e32 v4, v0
	v_ashrrev_i32_e32 v3, 31, v3
	v_xor_b32_e32 v6, s12, v6
	v_and_b32_e32 v2, v2, v5
	v_lshlrev_b32_e32 v1, 2, v1
	v_cmp_gt_i32_e64 s12, 0, v0
	v_ashrrev_i32_e32 v0, 31, v4
	v_xor_b32_e32 v3, vcc_lo, v3
	v_and_b32_e32 v2, v2, v6
	v_add_lshl_u32 v1, v1, v23, 2
	s_delay_alu instid0(VALU_DEP_4) | instskip(NEXT) | instid1(VALU_DEP_3)
	v_xor_b32_e32 v0, s12, v0
	v_and_b32_e32 v2, v2, v3
	ds_load_b32 v35, v1 offset:16
	v_add_nc_u32_e32 v37, 16, v1
	; wave barrier
	v_and_b32_e32 v0, v2, v0
	s_delay_alu instid0(VALU_DEP_1) | instskip(SKIP_1) | instid1(VALU_DEP_2)
	v_mbcnt_lo_u32_b32 v36, v0, 0
	v_cmp_ne_u32_e64 s12, 0, v0
	v_cmp_eq_u32_e32 vcc_lo, 0, v36
	s_delay_alu instid0(VALU_DEP_2) | instskip(NEXT) | instid1(SALU_CYCLE_1)
	s_and_b32 s20, s12, vcc_lo
	s_and_saveexec_b32 s12, s20
	s_cbranch_execz .LBB106_10
; %bb.9:                                ;   in Loop: Header=BB106_4 Depth=2
	s_waitcnt lgkmcnt(0)
	v_bcnt_u32_b32 v0, v0, v35
	ds_store_b32 v37, v0
.LBB106_10:                             ;   in Loop: Header=BB106_4 Depth=2
	s_or_b32 exec_lo, exec_lo, s12
	; wave barrier
	s_waitcnt lgkmcnt(0)
	s_barrier
	buffer_gl0_inv
	ds_load_2addr_b64 v[4:7], v19 offset0:2 offset1:3
	ds_load_2addr_b64 v[0:3], v22 offset0:2 offset1:3
	s_waitcnt lgkmcnt(1)
	v_add_nc_u32_e32 v38, v5, v4
	s_delay_alu instid0(VALU_DEP_1) | instskip(SKIP_1) | instid1(VALU_DEP_1)
	v_add3_u32 v38, v38, v6, v7
	s_waitcnt lgkmcnt(0)
	v_add3_u32 v38, v38, v0, v1
	s_delay_alu instid0(VALU_DEP_1) | instskip(NEXT) | instid1(VALU_DEP_1)
	v_add3_u32 v3, v38, v2, v3
	v_mov_b32_dpp v38, v3 row_shr:1 row_mask:0xf bank_mask:0xf
	s_delay_alu instid0(VALU_DEP_1) | instskip(NEXT) | instid1(VALU_DEP_1)
	v_cndmask_b32_e64 v38, v38, 0, s0
	v_add_nc_u32_e32 v3, v38, v3
	s_delay_alu instid0(VALU_DEP_1) | instskip(NEXT) | instid1(VALU_DEP_1)
	v_mov_b32_dpp v38, v3 row_shr:2 row_mask:0xf bank_mask:0xf
	v_cndmask_b32_e64 v38, 0, v38, s1
	s_delay_alu instid0(VALU_DEP_1) | instskip(NEXT) | instid1(VALU_DEP_1)
	v_add_nc_u32_e32 v3, v3, v38
	v_mov_b32_dpp v38, v3 row_shr:4 row_mask:0xf bank_mask:0xf
	s_delay_alu instid0(VALU_DEP_1) | instskip(NEXT) | instid1(VALU_DEP_1)
	v_cndmask_b32_e64 v38, 0, v38, s2
	v_add_nc_u32_e32 v3, v3, v38
	s_delay_alu instid0(VALU_DEP_1) | instskip(NEXT) | instid1(VALU_DEP_1)
	v_mov_b32_dpp v38, v3 row_shr:8 row_mask:0xf bank_mask:0xf
	v_cndmask_b32_e64 v38, 0, v38, s3
	s_delay_alu instid0(VALU_DEP_1) | instskip(SKIP_3) | instid1(VALU_DEP_1)
	v_add_nc_u32_e32 v3, v3, v38
	ds_swizzle_b32 v38, v3 offset:swizzle(BROADCAST,32,15)
	s_waitcnt lgkmcnt(0)
	v_cndmask_b32_e64 v38, v38, 0, s4
	v_add_nc_u32_e32 v3, v3, v38
	s_and_saveexec_b32 s12, s5
	s_cbranch_execz .LBB106_12
; %bb.11:                               ;   in Loop: Header=BB106_4 Depth=2
	ds_store_b32 v25, v3
.LBB106_12:                             ;   in Loop: Header=BB106_4 Depth=2
	s_or_b32 exec_lo, exec_lo, s12
	s_waitcnt lgkmcnt(0)
	s_barrier
	buffer_gl0_inv
	s_and_saveexec_b32 s12, s6
	s_cbranch_execz .LBB106_14
; %bb.13:                               ;   in Loop: Header=BB106_4 Depth=2
	ds_load_b32 v38, v26
	s_waitcnt lgkmcnt(0)
	v_mov_b32_dpp v39, v38 row_shr:1 row_mask:0xf bank_mask:0xf
	s_delay_alu instid0(VALU_DEP_1) | instskip(NEXT) | instid1(VALU_DEP_1)
	v_cndmask_b32_e64 v39, v39, 0, s10
	v_add_nc_u32_e32 v38, v39, v38
	s_delay_alu instid0(VALU_DEP_1) | instskip(NEXT) | instid1(VALU_DEP_1)
	v_mov_b32_dpp v39, v38 row_shr:2 row_mask:0xf bank_mask:0xf
	v_cndmask_b32_e64 v39, 0, v39, s11
	s_delay_alu instid0(VALU_DEP_1)
	v_add_nc_u32_e32 v38, v38, v39
	ds_store_b32 v26, v38
.LBB106_14:                             ;   in Loop: Header=BB106_4 Depth=2
	s_or_b32 exec_lo, exec_lo, s12
	v_mov_b32_e32 v38, 0
	s_waitcnt lgkmcnt(0)
	s_barrier
	buffer_gl0_inv
	s_and_saveexec_b32 s12, s7
	s_cbranch_execz .LBB106_16
; %bb.15:                               ;   in Loop: Header=BB106_4 Depth=2
	ds_load_b32 v38, v27
.LBB106_16:                             ;   in Loop: Header=BB106_4 Depth=2
	s_or_b32 exec_lo, exec_lo, s12
	s_waitcnt lgkmcnt(0)
	v_add_nc_u32_e32 v3, v38, v3
	s_cmp_gt_u32 s16, 55
	ds_bpermute_b32 v3, v24, v3
	s_waitcnt lgkmcnt(0)
	v_cndmask_b32_e64 v3, v3, v38, s8
	s_delay_alu instid0(VALU_DEP_1) | instskip(NEXT) | instid1(VALU_DEP_1)
	v_cndmask_b32_e64 v3, v3, 0, s9
	v_add_nc_u32_e32 v4, v3, v4
	s_delay_alu instid0(VALU_DEP_1) | instskip(NEXT) | instid1(VALU_DEP_1)
	v_add_nc_u32_e32 v5, v4, v5
	v_add_nc_u32_e32 v6, v5, v6
	s_delay_alu instid0(VALU_DEP_1) | instskip(NEXT) | instid1(VALU_DEP_1)
	v_add_nc_u32_e32 v38, v6, v7
	;; [unrolled: 3-line block ×3, first 2 shown]
	v_add_nc_u32_e32 v1, v0, v2
	ds_store_2addr_b64 v19, v[3:4], v[5:6] offset0:2 offset1:3
	ds_store_2addr_b64 v22, v[38:39], v[0:1] offset0:2 offset1:3
	s_waitcnt lgkmcnt(0)
	s_barrier
	buffer_gl0_inv
	ds_load_b32 v0, v31
	ds_load_b32 v1, v34
	;; [unrolled: 1-line block ×3, first 2 shown]
	s_waitcnt lgkmcnt(2)
	v_add_nc_u32_e32 v30, v0, v30
	s_waitcnt lgkmcnt(1)
	v_add3_u32 v7, v33, v32, v1
	s_waitcnt lgkmcnt(0)
	v_add3_u32 v6, v36, v35, v2
	s_cbranch_scc0 .LBB106_3
; %bb.17:                               ;   in Loop: Header=BB106_2 Depth=1
                                        ; implicit-def: $vgpr4_vgpr5
                                        ; implicit-def: $vgpr2_vgpr3
                                        ; implicit-def: $sgpr16_sgpr17
	s_branch .LBB106_1
.LBB106_18:
	v_lshlrev_b32_e32 v0, 3, v8
	s_add_u32 s0, s18, s14
	s_addc_u32 s1, s19, s15
	s_clause 0x2
	global_store_b64 v0, v[1:2], s[0:1]
	global_store_b64 v0, v[3:4], s[0:1] offset:1024
	global_store_b64 v0, v[5:6], s[0:1] offset:2048
	s_nop 0
	s_sendmsg sendmsg(MSG_DEALLOC_VGPRS)
	s_endpgm
	.section	.rodata,"a",@progbits
	.p2align	6, 0x0
	.amdhsa_kernel _Z16sort_keys_kernelI22helper_blocked_blockedxLj128ELj3ELj10EEvPKT0_PS1_
		.amdhsa_group_segment_fixed_size 4112
		.amdhsa_private_segment_fixed_size 0
		.amdhsa_kernarg_size 272
		.amdhsa_user_sgpr_count 15
		.amdhsa_user_sgpr_dispatch_ptr 0
		.amdhsa_user_sgpr_queue_ptr 0
		.amdhsa_user_sgpr_kernarg_segment_ptr 1
		.amdhsa_user_sgpr_dispatch_id 0
		.amdhsa_user_sgpr_private_segment_size 0
		.amdhsa_wavefront_size32 1
		.amdhsa_uses_dynamic_stack 0
		.amdhsa_enable_private_segment 0
		.amdhsa_system_sgpr_workgroup_id_x 1
		.amdhsa_system_sgpr_workgroup_id_y 0
		.amdhsa_system_sgpr_workgroup_id_z 0
		.amdhsa_system_sgpr_workgroup_info 0
		.amdhsa_system_vgpr_workitem_id 2
		.amdhsa_next_free_vgpr 40
		.amdhsa_next_free_sgpr 21
		.amdhsa_reserve_vcc 1
		.amdhsa_float_round_mode_32 0
		.amdhsa_float_round_mode_16_64 0
		.amdhsa_float_denorm_mode_32 3
		.amdhsa_float_denorm_mode_16_64 3
		.amdhsa_dx10_clamp 1
		.amdhsa_ieee_mode 1
		.amdhsa_fp16_overflow 0
		.amdhsa_workgroup_processor_mode 1
		.amdhsa_memory_ordered 1
		.amdhsa_forward_progress 0
		.amdhsa_shared_vgpr_count 0
		.amdhsa_exception_fp_ieee_invalid_op 0
		.amdhsa_exception_fp_denorm_src 0
		.amdhsa_exception_fp_ieee_div_zero 0
		.amdhsa_exception_fp_ieee_overflow 0
		.amdhsa_exception_fp_ieee_underflow 0
		.amdhsa_exception_fp_ieee_inexact 0
		.amdhsa_exception_int_div_zero 0
	.end_amdhsa_kernel
	.section	.text._Z16sort_keys_kernelI22helper_blocked_blockedxLj128ELj3ELj10EEvPKT0_PS1_,"axG",@progbits,_Z16sort_keys_kernelI22helper_blocked_blockedxLj128ELj3ELj10EEvPKT0_PS1_,comdat
.Lfunc_end106:
	.size	_Z16sort_keys_kernelI22helper_blocked_blockedxLj128ELj3ELj10EEvPKT0_PS1_, .Lfunc_end106-_Z16sort_keys_kernelI22helper_blocked_blockedxLj128ELj3ELj10EEvPKT0_PS1_
                                        ; -- End function
	.section	.AMDGPU.csdata,"",@progbits
; Kernel info:
; codeLenInByte = 2400
; NumSgprs: 23
; NumVgprs: 40
; ScratchSize: 0
; MemoryBound: 0
; FloatMode: 240
; IeeeMode: 1
; LDSByteSize: 4112 bytes/workgroup (compile time only)
; SGPRBlocks: 2
; VGPRBlocks: 4
; NumSGPRsForWavesPerEU: 23
; NumVGPRsForWavesPerEU: 40
; Occupancy: 16
; WaveLimiterHint : 1
; COMPUTE_PGM_RSRC2:SCRATCH_EN: 0
; COMPUTE_PGM_RSRC2:USER_SGPR: 15
; COMPUTE_PGM_RSRC2:TRAP_HANDLER: 0
; COMPUTE_PGM_RSRC2:TGID_X_EN: 1
; COMPUTE_PGM_RSRC2:TGID_Y_EN: 0
; COMPUTE_PGM_RSRC2:TGID_Z_EN: 0
; COMPUTE_PGM_RSRC2:TIDIG_COMP_CNT: 2
	.section	.text._Z17sort_pairs_kernelI22helper_blocked_blockedxLj128ELj3ELj10EEvPKT0_PS1_,"axG",@progbits,_Z17sort_pairs_kernelI22helper_blocked_blockedxLj128ELj3ELj10EEvPKT0_PS1_,comdat
	.protected	_Z17sort_pairs_kernelI22helper_blocked_blockedxLj128ELj3ELj10EEvPKT0_PS1_ ; -- Begin function _Z17sort_pairs_kernelI22helper_blocked_blockedxLj128ELj3ELj10EEvPKT0_PS1_
	.globl	_Z17sort_pairs_kernelI22helper_blocked_blockedxLj128ELj3ELj10EEvPKT0_PS1_
	.p2align	8
	.type	_Z17sort_pairs_kernelI22helper_blocked_blockedxLj128ELj3ELj10EEvPKT0_PS1_,@function
_Z17sort_pairs_kernelI22helper_blocked_blockedxLj128ELj3ELj10EEvPKT0_PS1_: ; @_Z17sort_pairs_kernelI22helper_blocked_blockedxLj128ELj3ELj10EEvPKT0_PS1_
; %bb.0:
	s_clause 0x1
	s_load_b128 s[16:19], s[0:1], 0x0
	s_load_b32 s11, s[0:1], 0x1c
	v_and_b32_e32 v9, 0x3ff, v0
	s_mov_b32 s13, 0
	s_mul_i32 s12, s15, 0x180
	v_mbcnt_lo_u32_b32 v7, -1, 0
	s_lshl_b64 s[14:15], s[12:13], 3
	s_mov_b32 s12, s13
	s_delay_alu instid0(SALU_CYCLE_1) | instskip(NEXT) | instid1(VALU_DEP_2)
	v_dual_mov_b32 v12, s12 :: v_dual_lshlrev_b32 v5, 3, v9
	v_add_nc_u32_e32 v16, -1, v7
	v_dual_mov_b32 v13, s13 :: v_dual_and_b32 v8, 16, v7
	v_and_b32_e32 v17, 3, v7
	v_and_b32_e32 v6, 15, v7
	s_delay_alu instid0(VALU_DEP_4) | instskip(NEXT) | instid1(VALU_DEP_4)
	v_cmp_gt_i32_e32 vcc_lo, 0, v16
	v_cmp_eq_u32_e64 s5, 0, v8
	s_delay_alu instid0(VALU_DEP_4)
	v_cmp_eq_u32_e64 s9, 0, v17
	v_cmp_lt_u32_e64 s10, 1, v17
	s_waitcnt lgkmcnt(0)
	s_add_u32 s0, s16, s14
	s_addc_u32 s1, s17, s15
	s_clause 0x2
	global_load_b64 v[1:2], v5, s[0:1]
	global_load_b64 v[3:4], v5, s[0:1] offset:1024
	global_load_b64 v[14:15], v5, s[0:1] offset:2048
	s_mov_b32 s1, s13
	s_mov_b32 s0, s13
	v_mov_b32_e32 v11, s1
	v_bfe_u32 v5, v0, 10, 10
	v_bfe_u32 v0, v0, 20, 10
	s_lshr_b32 s12, s11, 16
	v_mov_b32_e32 v10, s0
	v_lshrrev_b32_e32 v18, 5, v9
	v_cmp_eq_u32_e64 s1, 0, v6
	v_cmp_lt_u32_e64 s2, 1, v6
	v_cmp_lt_u32_e64 s3, 3, v6
	;; [unrolled: 1-line block ×3, first 2 shown]
	v_and_b32_e32 v6, 0x60, v9
	v_dual_cndmask_b32 v8, v16, v7 :: v_dual_lshlrev_b32 v33, 2, v18
	v_mad_u32_u24 v0, v0, s12, v5
	s_and_b32 s11, s11, 0xffff
	s_delay_alu instid0(VALU_DEP_3) | instskip(NEXT) | instid1(VALU_DEP_3)
	v_or_b32_e32 v17, 31, v6
	v_lshlrev_b32_e32 v32, 2, v8
	v_mul_u32_u24_e32 v8, 3, v6
	v_mad_u64_u32 v[5:6], null, v0, s11, v[9:10]
	v_mul_u32_u24_e32 v16, 0x60, v18
	v_lshlrev_b32_e32 v30, 5, v9
	s_delay_alu instid0(VALU_DEP_4)
	v_or_b32_e32 v6, v7, v8
	v_cmp_eq_u32_e64 s0, 0, v7
	v_mul_u32_u24_e32 v19, 20, v9
	v_lshlrev_b32_e32 v18, 3, v16
	v_lshrrev_b32_e32 v39, 5, v5
	v_lshlrev_b32_e32 v38, 3, v6
	v_mad_i32_i24 v34, 0xffffffe4, v9, v30
	v_or_b32_e32 v0, v7, v16
	v_mad_u32_u24 v36, v7, 24, v18
	v_cmp_gt_u32_e64 s6, 4, v9
	v_cmp_lt_u32_e64 s7, 31, v9
	v_cmp_eq_u32_e64 s8, 0, v9
	v_or_b32_e32 v31, 16, v30
	v_cmp_eq_u32_e64 s11, v17, v9
	v_add_nc_u32_e32 v35, -4, v33
	v_lshlrev_b32_e32 v37, 3, v0
	v_add_nc_u32_e32 v40, v34, v19
	s_waitcnt vmcnt(2)
	v_add_co_u32 v5, vcc_lo, v1, 1
	v_add_co_ci_u32_e32 v6, vcc_lo, 0, v2, vcc_lo
	s_waitcnt vmcnt(1)
	v_add_co_u32 v7, vcc_lo, v3, 1
	v_add_co_ci_u32_e32 v8, vcc_lo, 0, v4, vcc_lo
	;; [unrolled: 3-line block ×3, first 2 shown]
	s_branch .LBB107_2
.LBB107_1:                              ;   in Loop: Header=BB107_2 Depth=1
	v_lshlrev_b32_e32 v0, 3, v44
	v_lshlrev_b32_e32 v5, 3, v43
	;; [unrolled: 1-line block ×3, first 2 shown]
	s_barrier
	buffer_gl0_inv
	ds_store_b64 v0, v[14:15]
	ds_store_b64 v5, v[24:25]
	;; [unrolled: 1-line block ×3, first 2 shown]
	s_waitcnt lgkmcnt(0)
	s_barrier
	buffer_gl0_inv
	ds_load_2addr_b64 v[1:4], v40 offset1:1
	ds_load_b64 v[14:15], v40 offset:16
	s_waitcnt lgkmcnt(0)
	s_barrier
	buffer_gl0_inv
	ds_store_b64 v0, v[20:21]
	ds_store_b64 v5, v[18:19]
	;; [unrolled: 1-line block ×3, first 2 shown]
	s_waitcnt lgkmcnt(0)
	s_barrier
	buffer_gl0_inv
	ds_load_2addr_b64 v[5:8], v40 offset1:1
	ds_load_b64 v[16:17], v40 offset:16
	s_add_i32 s13, s13, 1
	s_delay_alu instid0(SALU_CYCLE_1)
	s_cmp_eq_u32 s13, 10
	v_xor_b32_e32 v2, 0x80000000, v2
	v_xor_b32_e32 v4, 0x80000000, v4
	;; [unrolled: 1-line block ×3, first 2 shown]
	s_cbranch_scc1 .LBB107_18
.LBB107_2:                              ; =>This Loop Header: Depth=1
                                        ;     Child Loop BB107_4 Depth 2
	s_delay_alu instid0(VALU_DEP_3) | instskip(NEXT) | instid1(VALU_DEP_3)
	v_xor_b32_e32 v2, 0x80000000, v2
	v_xor_b32_e32 v4, 0x80000000, v4
	s_delay_alu instid0(VALU_DEP_3)
	v_xor_b32_e32 v15, 0x80000000, v15
	s_mov_b64 s[16:17], 0
	ds_store_2addr_b64 v36, v[1:2], v[3:4] offset1:1
	ds_store_b64 v36, v[14:15] offset:16
	; wave barrier
	ds_load_2addr_b64 v[0:3], v37 offset1:32
	ds_load_b64 v[26:27], v37 offset:512
	; wave barrier
	s_waitcnt lgkmcnt(5)
	ds_store_2addr_b64 v36, v[5:6], v[7:8] offset1:1
	s_waitcnt lgkmcnt(5)
	ds_store_b64 v36, v[16:17] offset:16
	; wave barrier
	ds_load_2addr_b64 v[4:7], v37 offset1:32
	ds_load_b64 v[28:29], v37 offset:512
	s_waitcnt lgkmcnt(0)
	s_barrier
	s_branch .LBB107_4
.LBB107_3:                              ;   in Loop: Header=BB107_4 Depth=2
	v_lshlrev_b32_e32 v4, 3, v44
	v_lshlrev_b32_e32 v5, 3, v43
	s_delay_alu instid0(VALU_DEP_3)
	v_lshlrev_b32_e32 v6, 3, v8
	s_barrier
	buffer_gl0_inv
	ds_store_b64 v4, v[14:15]
	ds_store_b64 v5, v[24:25]
	;; [unrolled: 1-line block ×3, first 2 shown]
	s_waitcnt lgkmcnt(0)
	s_barrier
	buffer_gl0_inv
	ds_load_2addr_b64 v[0:3], v38 offset1:32
	ds_load_b64 v[26:27], v38 offset:512
	s_waitcnt lgkmcnt(0)
	s_barrier
	buffer_gl0_inv
	ds_store_b64 v4, v[20:21]
	ds_store_b64 v5, v[18:19]
	;; [unrolled: 1-line block ×3, first 2 shown]
	s_waitcnt lgkmcnt(0)
	s_barrier
	buffer_gl0_inv
	ds_load_2addr_b64 v[4:7], v38 offset1:32
	ds_load_b64 v[28:29], v38 offset:512
	s_add_u32 s16, s16, 8
	s_addc_u32 s17, s17, 0
	s_waitcnt lgkmcnt(0)
	s_barrier
	s_cbranch_execz .LBB107_1
.LBB107_4:                              ;   Parent Loop BB107_2 Depth=1
                                        ; =>  This Inner Loop Header: Depth=2
	v_dual_mov_b32 v15, v1 :: v_dual_mov_b32 v14, v0
	buffer_gl0_inv
	ds_store_2addr_b64 v30, v[12:13], v[10:11] offset0:2 offset1:3
	ds_store_2addr_b64 v31, v[12:13], v[10:11] offset0:2 offset1:3
	s_waitcnt lgkmcnt(0)
	s_barrier
	v_lshrrev_b64 v[41:42], s16, v[14:15]
	buffer_gl0_inv
	; wave barrier
	v_dual_mov_b32 v22, v26 :: v_dual_mov_b32 v25, v3
	v_dual_mov_b32 v23, v27 :: v_dual_and_b32 v0, 1, v41
	v_lshlrev_b32_e32 v1, 30, v41
	v_lshlrev_b32_e32 v8, 29, v41
	v_lshlrev_b32_e32 v16, 28, v41
	s_delay_alu instid0(VALU_DEP_4) | instskip(NEXT) | instid1(VALU_DEP_1)
	v_add_co_u32 v0, s12, v0, -1
	v_cndmask_b32_e64 v17, 0, 1, s12
	v_not_b32_e32 v21, v1
	v_cmp_gt_i32_e64 s12, 0, v1
	v_not_b32_e32 v1, v8
	v_lshlrev_b32_e32 v18, 27, v41
	v_cmp_ne_u32_e32 vcc_lo, 0, v17
	v_ashrrev_i32_e32 v21, 31, v21
	v_dual_mov_b32 v24, v2 :: v_dual_lshlrev_b32 v19, 26, v41
	v_ashrrev_i32_e32 v1, 31, v1
	v_xor_b32_e32 v0, vcc_lo, v0
	v_cmp_gt_i32_e32 vcc_lo, 0, v8
	v_not_b32_e32 v8, v16
	v_xor_b32_e32 v21, s12, v21
	v_cmp_gt_i32_e64 s12, 0, v16
	v_and_b32_e32 v0, exec_lo, v0
	v_not_b32_e32 v16, v18
	v_ashrrev_i32_e32 v8, 31, v8
	v_xor_b32_e32 v1, vcc_lo, v1
	v_cmp_gt_i32_e32 vcc_lo, 0, v18
	v_and_b32_e32 v0, v0, v21
	v_not_b32_e32 v18, v19
	v_ashrrev_i32_e32 v16, 31, v16
	v_xor_b32_e32 v8, s12, v8
	v_cmp_gt_i32_e64 s12, 0, v19
	v_and_b32_e32 v0, v0, v1
	v_ashrrev_i32_e32 v18, 31, v18
	v_xor_b32_e32 v16, vcc_lo, v16
	v_lshlrev_b32_e32 v20, 25, v41
	v_lshlrev_b32_e32 v17, 24, v41
	v_and_b32_e32 v0, v0, v8
	v_xor_b32_e32 v18, s12, v18
	s_delay_alu instid0(VALU_DEP_2) | instskip(NEXT) | instid1(VALU_DEP_1)
	v_and_b32_e32 v0, v0, v16
	v_dual_mov_b32 v19, v7 :: v_dual_and_b32 v0, v0, v18
	v_mov_b32_e32 v18, v6
	v_not_b32_e32 v1, v20
	v_cmp_gt_i32_e32 vcc_lo, 0, v20
	v_not_b32_e32 v8, v17
	v_cmp_gt_i32_e64 s12, 0, v17
	v_mov_b32_e32 v16, v28
	v_ashrrev_i32_e32 v1, 31, v1
	v_mov_b32_e32 v21, v5
	v_ashrrev_i32_e32 v8, 31, v8
	v_dual_mov_b32 v17, v29 :: v_dual_mov_b32 v20, v4
	s_delay_alu instid0(VALU_DEP_4) | instskip(NEXT) | instid1(VALU_DEP_3)
	v_xor_b32_e32 v1, vcc_lo, v1
	v_xor_b32_e32 v8, s12, v8
	s_delay_alu instid0(VALU_DEP_2) | instskip(SKIP_1) | instid1(VALU_DEP_2)
	v_and_b32_e32 v0, v0, v1
	v_and_b32_e32 v1, 0xff, v41
	;; [unrolled: 1-line block ×3, first 2 shown]
	s_delay_alu instid0(VALU_DEP_2) | instskip(NEXT) | instid1(VALU_DEP_2)
	v_lshl_add_u32 v1, v1, 2, v39
	v_mbcnt_lo_u32_b32 v8, v0, 0
	v_cmp_ne_u32_e64 s12, 0, v0
	s_delay_alu instid0(VALU_DEP_3) | instskip(NEXT) | instid1(VALU_DEP_3)
	v_lshl_add_u32 v26, v1, 2, 16
	v_cmp_eq_u32_e32 vcc_lo, 0, v8
	s_delay_alu instid0(VALU_DEP_3) | instskip(NEXT) | instid1(SALU_CYCLE_1)
	s_and_b32 s20, s12, vcc_lo
	s_and_saveexec_b32 s12, s20
	s_cbranch_execz .LBB107_6
; %bb.5:                                ;   in Loop: Header=BB107_4 Depth=2
	v_bcnt_u32_b32 v0, v0, 0
	ds_store_b32 v26, v0
.LBB107_6:                              ;   in Loop: Header=BB107_4 Depth=2
	s_or_b32 exec_lo, exec_lo, s12
	v_lshrrev_b64 v[0:1], s16, v[24:25]
	; wave barrier
	s_delay_alu instid0(VALU_DEP_1)
	v_and_b32_e32 v2, 1, v0
	v_lshlrev_b32_e32 v3, 30, v0
	v_lshlrev_b32_e32 v4, 29, v0
	;; [unrolled: 1-line block ×4, first 2 shown]
	v_add_co_u32 v2, s12, v2, -1
	s_delay_alu instid0(VALU_DEP_1)
	v_cndmask_b32_e64 v6, 0, 1, s12
	v_not_b32_e32 v29, v3
	v_cmp_gt_i32_e64 s12, 0, v3
	v_not_b32_e32 v3, v4
	v_lshlrev_b32_e32 v27, 26, v0
	v_cmp_ne_u32_e32 vcc_lo, 0, v6
	v_ashrrev_i32_e32 v6, 31, v29
	v_lshlrev_b32_e32 v28, 25, v0
	v_ashrrev_i32_e32 v3, 31, v3
	v_and_b32_e32 v1, 0xff, v0
	v_xor_b32_e32 v2, vcc_lo, v2
	v_cmp_gt_i32_e32 vcc_lo, 0, v4
	v_not_b32_e32 v4, v5
	v_xor_b32_e32 v6, s12, v6
	v_cmp_gt_i32_e64 s12, 0, v5
	v_and_b32_e32 v2, exec_lo, v2
	v_not_b32_e32 v5, v7
	v_ashrrev_i32_e32 v4, 31, v4
	v_xor_b32_e32 v3, vcc_lo, v3
	v_cmp_gt_i32_e32 vcc_lo, 0, v7
	v_and_b32_e32 v2, v2, v6
	v_not_b32_e32 v6, v27
	v_ashrrev_i32_e32 v5, 31, v5
	v_xor_b32_e32 v4, s12, v4
	v_lshlrev_b32_e32 v0, 24, v0
	v_and_b32_e32 v2, v2, v3
	v_cmp_gt_i32_e64 s12, 0, v27
	v_not_b32_e32 v3, v28
	v_ashrrev_i32_e32 v6, 31, v6
	v_xor_b32_e32 v5, vcc_lo, v5
	v_and_b32_e32 v2, v2, v4
	v_cmp_gt_i32_e32 vcc_lo, 0, v28
	v_not_b32_e32 v4, v0
	v_ashrrev_i32_e32 v3, 31, v3
	v_xor_b32_e32 v6, s12, v6
	v_and_b32_e32 v2, v2, v5
	v_lshlrev_b32_e32 v1, 2, v1
	v_cmp_gt_i32_e64 s12, 0, v0
	v_ashrrev_i32_e32 v0, 31, v4
	v_xor_b32_e32 v3, vcc_lo, v3
	v_and_b32_e32 v2, v2, v6
	v_add_lshl_u32 v1, v1, v39, 2
	s_delay_alu instid0(VALU_DEP_4) | instskip(NEXT) | instid1(VALU_DEP_3)
	v_xor_b32_e32 v0, s12, v0
	v_and_b32_e32 v2, v2, v3
	ds_load_b32 v27, v1 offset:16
	v_add_nc_u32_e32 v29, 16, v1
	; wave barrier
	v_and_b32_e32 v0, v2, v0
	s_delay_alu instid0(VALU_DEP_1) | instskip(SKIP_1) | instid1(VALU_DEP_2)
	v_mbcnt_lo_u32_b32 v28, v0, 0
	v_cmp_ne_u32_e64 s12, 0, v0
	v_cmp_eq_u32_e32 vcc_lo, 0, v28
	s_delay_alu instid0(VALU_DEP_2) | instskip(NEXT) | instid1(SALU_CYCLE_1)
	s_and_b32 s20, s12, vcc_lo
	s_and_saveexec_b32 s12, s20
	s_cbranch_execz .LBB107_8
; %bb.7:                                ;   in Loop: Header=BB107_4 Depth=2
	s_waitcnt lgkmcnt(0)
	v_bcnt_u32_b32 v0, v0, v27
	ds_store_b32 v29, v0
.LBB107_8:                              ;   in Loop: Header=BB107_4 Depth=2
	s_or_b32 exec_lo, exec_lo, s12
	v_lshrrev_b64 v[0:1], s16, v[22:23]
	; wave barrier
	s_delay_alu instid0(VALU_DEP_1)
	v_and_b32_e32 v2, 1, v0
	v_lshlrev_b32_e32 v3, 30, v0
	v_lshlrev_b32_e32 v4, 29, v0
	;; [unrolled: 1-line block ×4, first 2 shown]
	v_add_co_u32 v2, s12, v2, -1
	s_delay_alu instid0(VALU_DEP_1)
	v_cndmask_b32_e64 v6, 0, 1, s12
	v_not_b32_e32 v43, v3
	v_cmp_gt_i32_e64 s12, 0, v3
	v_not_b32_e32 v3, v4
	v_lshlrev_b32_e32 v41, 26, v0
	v_cmp_ne_u32_e32 vcc_lo, 0, v6
	v_ashrrev_i32_e32 v6, 31, v43
	v_lshlrev_b32_e32 v42, 25, v0
	v_ashrrev_i32_e32 v3, 31, v3
	v_and_b32_e32 v1, 0xff, v0
	v_xor_b32_e32 v2, vcc_lo, v2
	v_cmp_gt_i32_e32 vcc_lo, 0, v4
	v_not_b32_e32 v4, v5
	v_xor_b32_e32 v6, s12, v6
	v_cmp_gt_i32_e64 s12, 0, v5
	v_and_b32_e32 v2, exec_lo, v2
	v_not_b32_e32 v5, v7
	v_ashrrev_i32_e32 v4, 31, v4
	v_xor_b32_e32 v3, vcc_lo, v3
	v_cmp_gt_i32_e32 vcc_lo, 0, v7
	v_and_b32_e32 v2, v2, v6
	v_not_b32_e32 v6, v41
	v_ashrrev_i32_e32 v5, 31, v5
	v_xor_b32_e32 v4, s12, v4
	v_lshlrev_b32_e32 v0, 24, v0
	v_and_b32_e32 v2, v2, v3
	v_cmp_gt_i32_e64 s12, 0, v41
	v_not_b32_e32 v3, v42
	v_ashrrev_i32_e32 v6, 31, v6
	v_xor_b32_e32 v5, vcc_lo, v5
	v_and_b32_e32 v2, v2, v4
	v_cmp_gt_i32_e32 vcc_lo, 0, v42
	v_not_b32_e32 v4, v0
	v_ashrrev_i32_e32 v3, 31, v3
	v_xor_b32_e32 v6, s12, v6
	v_and_b32_e32 v2, v2, v5
	v_lshlrev_b32_e32 v1, 2, v1
	v_cmp_gt_i32_e64 s12, 0, v0
	v_ashrrev_i32_e32 v0, 31, v4
	v_xor_b32_e32 v3, vcc_lo, v3
	v_and_b32_e32 v2, v2, v6
	v_add_lshl_u32 v1, v1, v39, 2
	s_delay_alu instid0(VALU_DEP_4) | instskip(NEXT) | instid1(VALU_DEP_3)
	v_xor_b32_e32 v0, s12, v0
	v_and_b32_e32 v2, v2, v3
	ds_load_b32 v41, v1 offset:16
	v_add_nc_u32_e32 v43, 16, v1
	; wave barrier
	v_and_b32_e32 v0, v2, v0
	s_delay_alu instid0(VALU_DEP_1) | instskip(SKIP_1) | instid1(VALU_DEP_2)
	v_mbcnt_lo_u32_b32 v42, v0, 0
	v_cmp_ne_u32_e64 s12, 0, v0
	v_cmp_eq_u32_e32 vcc_lo, 0, v42
	s_delay_alu instid0(VALU_DEP_2) | instskip(NEXT) | instid1(SALU_CYCLE_1)
	s_and_b32 s20, s12, vcc_lo
	s_and_saveexec_b32 s12, s20
	s_cbranch_execz .LBB107_10
; %bb.9:                                ;   in Loop: Header=BB107_4 Depth=2
	s_waitcnt lgkmcnt(0)
	v_bcnt_u32_b32 v0, v0, v41
	ds_store_b32 v43, v0
.LBB107_10:                             ;   in Loop: Header=BB107_4 Depth=2
	s_or_b32 exec_lo, exec_lo, s12
	; wave barrier
	s_waitcnt lgkmcnt(0)
	s_barrier
	buffer_gl0_inv
	ds_load_2addr_b64 v[4:7], v30 offset0:2 offset1:3
	ds_load_2addr_b64 v[0:3], v31 offset0:2 offset1:3
	s_waitcnt lgkmcnt(1)
	v_add_nc_u32_e32 v44, v5, v4
	s_delay_alu instid0(VALU_DEP_1) | instskip(SKIP_1) | instid1(VALU_DEP_1)
	v_add3_u32 v44, v44, v6, v7
	s_waitcnt lgkmcnt(0)
	v_add3_u32 v44, v44, v0, v1
	s_delay_alu instid0(VALU_DEP_1) | instskip(NEXT) | instid1(VALU_DEP_1)
	v_add3_u32 v3, v44, v2, v3
	v_mov_b32_dpp v44, v3 row_shr:1 row_mask:0xf bank_mask:0xf
	s_delay_alu instid0(VALU_DEP_1) | instskip(NEXT) | instid1(VALU_DEP_1)
	v_cndmask_b32_e64 v44, v44, 0, s1
	v_add_nc_u32_e32 v3, v44, v3
	s_delay_alu instid0(VALU_DEP_1) | instskip(NEXT) | instid1(VALU_DEP_1)
	v_mov_b32_dpp v44, v3 row_shr:2 row_mask:0xf bank_mask:0xf
	v_cndmask_b32_e64 v44, 0, v44, s2
	s_delay_alu instid0(VALU_DEP_1) | instskip(NEXT) | instid1(VALU_DEP_1)
	v_add_nc_u32_e32 v3, v3, v44
	v_mov_b32_dpp v44, v3 row_shr:4 row_mask:0xf bank_mask:0xf
	s_delay_alu instid0(VALU_DEP_1) | instskip(NEXT) | instid1(VALU_DEP_1)
	v_cndmask_b32_e64 v44, 0, v44, s3
	v_add_nc_u32_e32 v3, v3, v44
	s_delay_alu instid0(VALU_DEP_1) | instskip(NEXT) | instid1(VALU_DEP_1)
	v_mov_b32_dpp v44, v3 row_shr:8 row_mask:0xf bank_mask:0xf
	v_cndmask_b32_e64 v44, 0, v44, s4
	s_delay_alu instid0(VALU_DEP_1) | instskip(SKIP_3) | instid1(VALU_DEP_1)
	v_add_nc_u32_e32 v3, v3, v44
	ds_swizzle_b32 v44, v3 offset:swizzle(BROADCAST,32,15)
	s_waitcnt lgkmcnt(0)
	v_cndmask_b32_e64 v44, v44, 0, s5
	v_add_nc_u32_e32 v3, v3, v44
	s_and_saveexec_b32 s12, s11
	s_cbranch_execz .LBB107_12
; %bb.11:                               ;   in Loop: Header=BB107_4 Depth=2
	ds_store_b32 v33, v3
.LBB107_12:                             ;   in Loop: Header=BB107_4 Depth=2
	s_or_b32 exec_lo, exec_lo, s12
	s_waitcnt lgkmcnt(0)
	s_barrier
	buffer_gl0_inv
	s_and_saveexec_b32 s12, s6
	s_cbranch_execz .LBB107_14
; %bb.13:                               ;   in Loop: Header=BB107_4 Depth=2
	ds_load_b32 v44, v34
	s_waitcnt lgkmcnt(0)
	v_mov_b32_dpp v45, v44 row_shr:1 row_mask:0xf bank_mask:0xf
	s_delay_alu instid0(VALU_DEP_1) | instskip(NEXT) | instid1(VALU_DEP_1)
	v_cndmask_b32_e64 v45, v45, 0, s9
	v_add_nc_u32_e32 v44, v45, v44
	s_delay_alu instid0(VALU_DEP_1) | instskip(NEXT) | instid1(VALU_DEP_1)
	v_mov_b32_dpp v45, v44 row_shr:2 row_mask:0xf bank_mask:0xf
	v_cndmask_b32_e64 v45, 0, v45, s10
	s_delay_alu instid0(VALU_DEP_1)
	v_add_nc_u32_e32 v44, v44, v45
	ds_store_b32 v34, v44
.LBB107_14:                             ;   in Loop: Header=BB107_4 Depth=2
	s_or_b32 exec_lo, exec_lo, s12
	v_mov_b32_e32 v44, 0
	s_waitcnt lgkmcnt(0)
	s_barrier
	buffer_gl0_inv
	s_and_saveexec_b32 s12, s7
	s_cbranch_execz .LBB107_16
; %bb.15:                               ;   in Loop: Header=BB107_4 Depth=2
	ds_load_b32 v44, v35
.LBB107_16:                             ;   in Loop: Header=BB107_4 Depth=2
	s_or_b32 exec_lo, exec_lo, s12
	s_waitcnt lgkmcnt(0)
	v_add_nc_u32_e32 v3, v44, v3
	s_cmp_gt_u32 s16, 55
	ds_bpermute_b32 v3, v32, v3
	s_waitcnt lgkmcnt(0)
	v_cndmask_b32_e64 v3, v3, v44, s0
	s_delay_alu instid0(VALU_DEP_1) | instskip(NEXT) | instid1(VALU_DEP_1)
	v_cndmask_b32_e64 v3, v3, 0, s8
	v_add_nc_u32_e32 v4, v3, v4
	s_delay_alu instid0(VALU_DEP_1) | instskip(NEXT) | instid1(VALU_DEP_1)
	v_add_nc_u32_e32 v5, v4, v5
	v_add_nc_u32_e32 v6, v5, v6
	s_delay_alu instid0(VALU_DEP_1) | instskip(NEXT) | instid1(VALU_DEP_1)
	v_add_nc_u32_e32 v44, v6, v7
	;; [unrolled: 3-line block ×3, first 2 shown]
	v_add_nc_u32_e32 v1, v0, v2
	ds_store_2addr_b64 v30, v[3:4], v[5:6] offset0:2 offset1:3
	ds_store_2addr_b64 v31, v[44:45], v[0:1] offset0:2 offset1:3
	s_waitcnt lgkmcnt(0)
	s_barrier
	buffer_gl0_inv
	ds_load_b32 v0, v26
	ds_load_b32 v1, v29
	;; [unrolled: 1-line block ×3, first 2 shown]
	s_waitcnt lgkmcnt(2)
	v_add_nc_u32_e32 v44, v0, v8
	s_waitcnt lgkmcnt(1)
	v_add3_u32 v43, v28, v27, v1
	s_waitcnt lgkmcnt(0)
	v_add3_u32 v8, v42, v41, v2
	s_cbranch_scc0 .LBB107_3
; %bb.17:                               ;   in Loop: Header=BB107_2 Depth=1
                                        ; implicit-def: $vgpr26_vgpr27
                                        ; implicit-def: $vgpr2_vgpr3
                                        ; implicit-def: $vgpr28_vgpr29
                                        ; implicit-def: $vgpr6_vgpr7
                                        ; implicit-def: $sgpr16_sgpr17
	s_branch .LBB107_1
.LBB107_18:
	s_waitcnt lgkmcnt(1)
	v_add_co_u32 v0, vcc_lo, v1, v5
	v_add_co_ci_u32_e32 v1, vcc_lo, v2, v6, vcc_lo
	v_add_co_u32 v2, vcc_lo, v3, v7
	v_add_co_ci_u32_e32 v3, vcc_lo, v4, v8, vcc_lo
	v_lshlrev_b32_e32 v6, 3, v9
	s_waitcnt lgkmcnt(0)
	v_add_co_u32 v4, vcc_lo, v14, v16
	v_add_co_ci_u32_e32 v5, vcc_lo, v15, v17, vcc_lo
	s_add_u32 s0, s18, s14
	s_addc_u32 s1, s19, s15
	s_clause 0x2
	global_store_b64 v6, v[0:1], s[0:1]
	global_store_b64 v6, v[2:3], s[0:1] offset:1024
	global_store_b64 v6, v[4:5], s[0:1] offset:2048
	s_nop 0
	s_sendmsg sendmsg(MSG_DEALLOC_VGPRS)
	s_endpgm
	.section	.rodata,"a",@progbits
	.p2align	6, 0x0
	.amdhsa_kernel _Z17sort_pairs_kernelI22helper_blocked_blockedxLj128ELj3ELj10EEvPKT0_PS1_
		.amdhsa_group_segment_fixed_size 4112
		.amdhsa_private_segment_fixed_size 0
		.amdhsa_kernarg_size 272
		.amdhsa_user_sgpr_count 15
		.amdhsa_user_sgpr_dispatch_ptr 0
		.amdhsa_user_sgpr_queue_ptr 0
		.amdhsa_user_sgpr_kernarg_segment_ptr 1
		.amdhsa_user_sgpr_dispatch_id 0
		.amdhsa_user_sgpr_private_segment_size 0
		.amdhsa_wavefront_size32 1
		.amdhsa_uses_dynamic_stack 0
		.amdhsa_enable_private_segment 0
		.amdhsa_system_sgpr_workgroup_id_x 1
		.amdhsa_system_sgpr_workgroup_id_y 0
		.amdhsa_system_sgpr_workgroup_id_z 0
		.amdhsa_system_sgpr_workgroup_info 0
		.amdhsa_system_vgpr_workitem_id 2
		.amdhsa_next_free_vgpr 46
		.amdhsa_next_free_sgpr 21
		.amdhsa_reserve_vcc 1
		.amdhsa_float_round_mode_32 0
		.amdhsa_float_round_mode_16_64 0
		.amdhsa_float_denorm_mode_32 3
		.amdhsa_float_denorm_mode_16_64 3
		.amdhsa_dx10_clamp 1
		.amdhsa_ieee_mode 1
		.amdhsa_fp16_overflow 0
		.amdhsa_workgroup_processor_mode 1
		.amdhsa_memory_ordered 1
		.amdhsa_forward_progress 0
		.amdhsa_shared_vgpr_count 0
		.amdhsa_exception_fp_ieee_invalid_op 0
		.amdhsa_exception_fp_denorm_src 0
		.amdhsa_exception_fp_ieee_div_zero 0
		.amdhsa_exception_fp_ieee_overflow 0
		.amdhsa_exception_fp_ieee_underflow 0
		.amdhsa_exception_fp_ieee_inexact 0
		.amdhsa_exception_int_div_zero 0
	.end_amdhsa_kernel
	.section	.text._Z17sort_pairs_kernelI22helper_blocked_blockedxLj128ELj3ELj10EEvPKT0_PS1_,"axG",@progbits,_Z17sort_pairs_kernelI22helper_blocked_blockedxLj128ELj3ELj10EEvPKT0_PS1_,comdat
.Lfunc_end107:
	.size	_Z17sort_pairs_kernelI22helper_blocked_blockedxLj128ELj3ELj10EEvPKT0_PS1_, .Lfunc_end107-_Z17sort_pairs_kernelI22helper_blocked_blockedxLj128ELj3ELj10EEvPKT0_PS1_
                                        ; -- End function
	.section	.AMDGPU.csdata,"",@progbits
; Kernel info:
; codeLenInByte = 2668
; NumSgprs: 23
; NumVgprs: 46
; ScratchSize: 0
; MemoryBound: 0
; FloatMode: 240
; IeeeMode: 1
; LDSByteSize: 4112 bytes/workgroup (compile time only)
; SGPRBlocks: 2
; VGPRBlocks: 5
; NumSGPRsForWavesPerEU: 23
; NumVGPRsForWavesPerEU: 46
; Occupancy: 16
; WaveLimiterHint : 1
; COMPUTE_PGM_RSRC2:SCRATCH_EN: 0
; COMPUTE_PGM_RSRC2:USER_SGPR: 15
; COMPUTE_PGM_RSRC2:TRAP_HANDLER: 0
; COMPUTE_PGM_RSRC2:TGID_X_EN: 1
; COMPUTE_PGM_RSRC2:TGID_Y_EN: 0
; COMPUTE_PGM_RSRC2:TGID_Z_EN: 0
; COMPUTE_PGM_RSRC2:TIDIG_COMP_CNT: 2
	.section	.text._Z16sort_keys_kernelI22helper_blocked_blockedxLj128ELj4ELj10EEvPKT0_PS1_,"axG",@progbits,_Z16sort_keys_kernelI22helper_blocked_blockedxLj128ELj4ELj10EEvPKT0_PS1_,comdat
	.protected	_Z16sort_keys_kernelI22helper_blocked_blockedxLj128ELj4ELj10EEvPKT0_PS1_ ; -- Begin function _Z16sort_keys_kernelI22helper_blocked_blockedxLj128ELj4ELj10EEvPKT0_PS1_
	.globl	_Z16sort_keys_kernelI22helper_blocked_blockedxLj128ELj4ELj10EEvPKT0_PS1_
	.p2align	8
	.type	_Z16sort_keys_kernelI22helper_blocked_blockedxLj128ELj4ELj10EEvPKT0_PS1_,@function
_Z16sort_keys_kernelI22helper_blocked_blockedxLj128ELj4ELj10EEvPKT0_PS1_: ; @_Z16sort_keys_kernelI22helper_blocked_blockedxLj128ELj4ELj10EEvPKT0_PS1_
; %bb.0:
	s_clause 0x1
	s_load_b128 s[16:19], s[0:1], 0x0
	s_load_b32 s3, s[0:1], 0x1c
	s_mov_b32 s23, 0
	s_lshl_b32 s22, s15, 9
	v_bfe_u32 v10, v0, 10, 10
	s_lshl_b64 s[20:21], s[22:23], 3
	s_mov_b32 s22, s23
	v_and_b32_e32 v9, 0x3ff, v0
	v_bfe_u32 v0, v0, 20, 10
	v_mbcnt_lo_u32_b32 v12, -1, 0
	s_delay_alu instid0(VALU_DEP_1) | instskip(SKIP_3) | instid1(VALU_DEP_4)
	v_add_nc_u32_e32 v14, -1, v12
	v_and_b32_e32 v13, 3, v12
	v_and_b32_e32 v22, 28, v12
	v_cmp_eq_u32_e64 s12, 0, v12
	v_cmp_gt_i32_e32 vcc_lo, 0, v14
	s_waitcnt lgkmcnt(0)
	s_add_u32 s0, s16, s20
	s_addc_u32 s1, s17, s21
	s_lshr_b32 s2, s3, 16
	s_and_b32 s3, s3, 0xffff
	v_mad_u32_u24 v0, v0, s2, v10
	s_mov_b32 s16, s23
	s_mov_b32 s17, s23
	v_cmp_eq_u32_e64 s2, 1, v13
	v_cmp_lt_u32_e64 s14, 1, v13
	v_mad_u64_u32 v[10:11], null, v0, s3, v[9:10]
	v_and_b32_e32 v0, 15, v12
	v_or_b32_e32 v11, 31, v9
	v_cmp_eq_u32_e64 s3, 0, v13
	s_delay_alu instid0(VALU_DEP_3)
	v_cmp_eq_u32_e64 s4, 0, v0
	v_lshrrev_b32_e32 v28, 5, v10
	v_and_b32_e32 v10, 16, v12
	v_cmp_lt_u32_e64 s5, 1, v0
	v_cmp_lt_u32_e64 s6, 3, v0
	;; [unrolled: 1-line block ×3, first 2 shown]
	v_cmp_eq_u32_e64 s9, v11, v9
	v_cmp_eq_u32_e64 s8, 0, v10
	v_dual_cndmask_b32 v0, v14, v12 :: v_dual_lshlrev_b32 v11, 2, v9
	v_lshrrev_b32_e32 v10, 3, v9
	s_delay_alu instid0(VALU_DEP_2) | instskip(NEXT) | instid1(VALU_DEP_3)
	v_lshlrev_b32_e32 v29, 2, v0
	v_and_or_b32 v0, 0x180, v11, v12
	s_delay_alu instid0(VALU_DEP_3)
	v_and_b32_e32 v30, 12, v10
	v_dual_mov_b32 v10, s22 :: v_dual_lshlrev_b32 v3, 3, v9
	s_clause 0x3
	global_load_b64 v[5:6], v3, s[0:1]
	global_load_b64 v[7:8], v3, s[0:1] offset:1024
	global_load_b64 v[1:2], v3, s[0:1] offset:2048
	;; [unrolled: 1-line block ×3, first 2 shown]
	v_lshlrev_b32_e32 v23, 5, v9
	v_lshlrev_b32_e32 v33, 3, v0
	v_mul_u32_u24_e32 v0, 28, v9
	v_cmp_eq_u32_e64 s0, 3, v13
	v_cmp_eq_u32_e64 s1, 2, v13
	v_mov_b32_e32 v12, s16
	v_mad_i32_i24 v31, 0xffffffe4, v9, v23
	v_or_b32_e32 v27, 16, v23
	v_cmp_gt_u32_e64 s10, 4, v9
	v_cmp_lt_u32_e64 s11, 31, v9
	v_cmp_eq_u32_e64 s13, 0, v9
	v_dual_mov_b32 v11, s23 :: v_dual_add_nc_u32 v32, -4, v30
	v_or_b32_e32 v24, 32, v22
	v_or_b32_e32 v25, 64, v22
	;; [unrolled: 1-line block ×3, first 2 shown]
	v_dual_mov_b32 v13, s17 :: v_dual_add_nc_u32 v34, v31, v0
	s_branch .LBB108_2
.LBB108_1:                              ;   in Loop: Header=BB108_2 Depth=1
	v_lshlrev_b32_e32 v0, 3, v38
	v_lshlrev_b32_e32 v1, 3, v36
	;; [unrolled: 1-line block ×4, first 2 shown]
	s_barrier
	buffer_gl0_inv
	ds_store_b64 v0, v[14:15]
	ds_store_b64 v1, v[20:21]
	ds_store_b64 v2, v[18:19]
	ds_store_b64 v3, v[16:17]
	s_waitcnt lgkmcnt(0)
	s_barrier
	buffer_gl0_inv
	ds_load_2addr_b64 v[5:8], v34 offset1:1
	ds_load_2addr_b64 v[1:4], v34 offset0:2 offset1:3
	s_add_i32 s23, s23, 1
	s_delay_alu instid0(SALU_CYCLE_1)
	s_cmp_eq_u32 s23, 10
	s_waitcnt lgkmcnt(1)
	v_xor_b32_e32 v6, 0x80000000, v6
	v_xor_b32_e32 v8, 0x80000000, v8
	s_waitcnt lgkmcnt(0)
	v_xor_b32_e32 v2, 0x80000000, v2
	v_xor_b32_e32 v4, 0x80000000, v4
	s_cbranch_scc1 .LBB108_20
.LBB108_2:                              ; =>This Loop Header: Depth=1
                                        ;     Child Loop BB108_4 Depth 2
	s_waitcnt vmcnt(3)
	v_xor_b32_e32 v0, 0x80000000, v6
	s_waitcnt vmcnt(2)
	v_xor_b32_e32 v6, 0x80000000, v8
	ds_bpermute_b32 v8, v22, v5
	ds_bpermute_b32 v14, v22, v7
	s_waitcnt vmcnt(1)
	v_xor_b32_e32 v2, 0x80000000, v2
	ds_bpermute_b32 v15, v22, v0
	ds_bpermute_b32 v16, v22, v6
	ds_bpermute_b32 v17, v22, v1
	ds_bpermute_b32 v18, v24, v0
	ds_bpermute_b32 v19, v24, v6
	ds_bpermute_b32 v20, v22, v2
	ds_bpermute_b32 v35, v24, v5
	ds_bpermute_b32 v36, v24, v7
	ds_bpermute_b32 v38, v25, v5
	ds_bpermute_b32 v39, v25, v7
	ds_bpermute_b32 v5, v26, v5
	ds_bpermute_b32 v7, v26, v7
	ds_bpermute_b32 v41, v24, v2
	ds_bpermute_b32 v42, v25, v0
	s_waitcnt vmcnt(0)
	v_xor_b32_e32 v4, 0x80000000, v4
	ds_bpermute_b32 v37, v24, v1
	ds_bpermute_b32 v43, v26, v2
	;; [unrolled: 1-line block ×3, first 2 shown]
	s_waitcnt lgkmcnt(17)
	v_cndmask_b32_e64 v8, v8, v14, s2
	ds_bpermute_b32 v14, v25, v6
	ds_bpermute_b32 v6, v26, v6
	s_waitcnt lgkmcnt(17)
	v_cndmask_b32_e64 v15, v15, v16, s2
	ds_bpermute_b32 v16, v26, v0
	s_waitcnt lgkmcnt(17)
	v_cndmask_b32_e64 v0, v8, v17, s1
	s_waitcnt lgkmcnt(15)
	v_cndmask_b32_e64 v8, v18, v19, s2
	ds_bpermute_b32 v18, v25, v1
	s_waitcnt lgkmcnt(15)
	v_cndmask_b32_e64 v15, v15, v20, s1
	ds_bpermute_b32 v19, v25, v2
	ds_bpermute_b32 v20, v26, v1
	;; [unrolled: 1-line block ×9, first 2 shown]
	s_waitcnt lgkmcnt(22)
	v_cndmask_b32_e64 v2, v35, v36, s2
	s_waitcnt lgkmcnt(17)
	v_cndmask_b32_e64 v3, v8, v41, s1
	v_cndmask_b32_e64 v4, v38, v39, s2
	s_waitcnt lgkmcnt(12)
	v_cndmask_b32_e64 v8, v42, v14, s2
	v_cndmask_b32_e64 v5, v5, v7, s2
	;; [unrolled: 1-line block ×3, first 2 shown]
	s_waitcnt lgkmcnt(10)
	v_cndmask_b32_e64 v6, v16, v6, s2
	v_cndmask_b32_e64 v0, v0, v21, s0
	s_mov_b64 s[16:17], 0
	s_waitcnt lgkmcnt(9)
	v_cndmask_b32_e64 v4, v4, v18, s1
	s_waitcnt lgkmcnt(0)
	v_cndmask_b32_e64 v7, v8, v19, s1
	v_cndmask_b32_e64 v8, v5, v20, s1
	;; [unrolled: 1-line block ×10, first 2 shown]
	s_barrier
	s_branch .LBB108_4
.LBB108_3:                              ;   in Loop: Header=BB108_4 Depth=2
	v_lshlrev_b32_e32 v0, 3, v38
	v_lshlrev_b32_e32 v1, 3, v36
	;; [unrolled: 1-line block ×4, first 2 shown]
	s_barrier
	buffer_gl0_inv
	ds_store_b64 v0, v[14:15]
	ds_store_b64 v1, v[20:21]
	;; [unrolled: 1-line block ×4, first 2 shown]
	s_waitcnt lgkmcnt(0)
	s_barrier
	buffer_gl0_inv
	ds_load_2addr_b64 v[0:3], v33 offset1:32
	ds_load_2addr_b64 v[4:7], v33 offset0:64 offset1:96
	s_add_u32 s16, s16, 8
	s_addc_u32 s17, s17, 0
	s_waitcnt lgkmcnt(0)
	s_barrier
	s_cbranch_execz .LBB108_1
.LBB108_4:                              ;   Parent Loop BB108_2 Depth=1
                                        ; =>  This Inner Loop Header: Depth=2
	v_dual_mov_b32 v15, v1 :: v_dual_mov_b32 v14, v0
	buffer_gl0_inv
	ds_store_2addr_b64 v23, v[10:11], v[12:13] offset0:2 offset1:3
	ds_store_2addr_b64 v27, v[10:11], v[12:13] offset0:2 offset1:3
	s_waitcnt lgkmcnt(0)
	s_barrier
	v_lshrrev_b64 v[35:36], s16, v[14:15]
	buffer_gl0_inv
	; wave barrier
	v_and_b32_e32 v0, 1, v35
	v_lshlrev_b32_e32 v1, 30, v35
	v_lshlrev_b32_e32 v8, 29, v35
	;; [unrolled: 1-line block ×4, first 2 shown]
	v_add_co_u32 v0, s15, v0, -1
	s_delay_alu instid0(VALU_DEP_1)
	v_cndmask_b32_e64 v17, 0, 1, s15
	v_not_b32_e32 v21, v1
	v_cmp_gt_i32_e64 s15, 0, v1
	v_not_b32_e32 v1, v8
	v_lshlrev_b32_e32 v19, 26, v35
	v_cmp_ne_u32_e32 vcc_lo, 0, v17
	v_ashrrev_i32_e32 v21, 31, v21
	v_lshlrev_b32_e32 v20, 25, v35
	v_ashrrev_i32_e32 v1, 31, v1
	v_lshlrev_b32_e32 v17, 24, v35
	v_xor_b32_e32 v0, vcc_lo, v0
	v_cmp_gt_i32_e32 vcc_lo, 0, v8
	v_not_b32_e32 v8, v16
	v_xor_b32_e32 v21, s15, v21
	v_cmp_gt_i32_e64 s15, 0, v16
	v_and_b32_e32 v0, exec_lo, v0
	v_not_b32_e32 v16, v18
	v_ashrrev_i32_e32 v8, 31, v8
	v_xor_b32_e32 v1, vcc_lo, v1
	v_cmp_gt_i32_e32 vcc_lo, 0, v18
	v_and_b32_e32 v0, v0, v21
	v_not_b32_e32 v18, v19
	v_ashrrev_i32_e32 v16, 31, v16
	v_xor_b32_e32 v8, s15, v8
	v_cmp_gt_i32_e64 s15, 0, v19
	v_and_b32_e32 v0, v0, v1
	v_not_b32_e32 v1, v20
	v_ashrrev_i32_e32 v18, 31, v18
	v_xor_b32_e32 v16, vcc_lo, v16
	v_cmp_gt_i32_e32 vcc_lo, 0, v20
	v_dual_mov_b32 v21, v3 :: v_dual_and_b32 v0, v0, v8
	v_mov_b32_e32 v20, v2
	v_not_b32_e32 v8, v17
	v_ashrrev_i32_e32 v1, 31, v1
	v_xor_b32_e32 v18, s15, v18
	v_and_b32_e32 v0, v0, v16
	v_cmp_gt_i32_e64 s15, 0, v17
	v_ashrrev_i32_e32 v8, 31, v8
	v_xor_b32_e32 v1, vcc_lo, v1
	s_delay_alu instid0(VALU_DEP_4) | instskip(SKIP_1) | instid1(VALU_DEP_4)
	v_dual_mov_b32 v17, v7 :: v_dual_and_b32 v0, v0, v18
	v_mov_b32_e32 v19, v5
	v_xor_b32_e32 v8, s15, v8
	v_mov_b32_e32 v16, v6
	v_mov_b32_e32 v18, v4
	v_and_b32_e32 v0, v0, v1
	v_and_b32_e32 v1, 0xff, v35
	s_delay_alu instid0(VALU_DEP_2) | instskip(NEXT) | instid1(VALU_DEP_2)
	v_and_b32_e32 v0, v0, v8
	v_lshl_add_u32 v1, v1, 2, v28
	s_delay_alu instid0(VALU_DEP_2) | instskip(SKIP_1) | instid1(VALU_DEP_3)
	v_mbcnt_lo_u32_b32 v8, v0, 0
	v_cmp_ne_u32_e64 s15, 0, v0
	v_lshl_add_u32 v35, v1, 2, 16
	s_delay_alu instid0(VALU_DEP_3) | instskip(NEXT) | instid1(VALU_DEP_3)
	v_cmp_eq_u32_e32 vcc_lo, 0, v8
	s_and_b32 s22, s15, vcc_lo
	s_delay_alu instid0(SALU_CYCLE_1)
	s_and_saveexec_b32 s15, s22
	s_cbranch_execz .LBB108_6
; %bb.5:                                ;   in Loop: Header=BB108_4 Depth=2
	v_bcnt_u32_b32 v0, v0, 0
	ds_store_b32 v35, v0
.LBB108_6:                              ;   in Loop: Header=BB108_4 Depth=2
	s_or_b32 exec_lo, exec_lo, s15
	v_lshrrev_b64 v[0:1], s16, v[20:21]
	; wave barrier
	s_delay_alu instid0(VALU_DEP_1)
	v_and_b32_e32 v2, 1, v0
	v_lshlrev_b32_e32 v3, 30, v0
	v_lshlrev_b32_e32 v4, 29, v0
	;; [unrolled: 1-line block ×4, first 2 shown]
	v_add_co_u32 v2, s15, v2, -1
	s_delay_alu instid0(VALU_DEP_1)
	v_cndmask_b32_e64 v6, 0, 1, s15
	v_not_b32_e32 v38, v3
	v_cmp_gt_i32_e64 s15, 0, v3
	v_not_b32_e32 v3, v4
	v_lshlrev_b32_e32 v36, 26, v0
	v_cmp_ne_u32_e32 vcc_lo, 0, v6
	v_ashrrev_i32_e32 v6, 31, v38
	v_lshlrev_b32_e32 v37, 25, v0
	v_ashrrev_i32_e32 v3, 31, v3
	v_and_b32_e32 v1, 0xff, v0
	v_xor_b32_e32 v2, vcc_lo, v2
	v_cmp_gt_i32_e32 vcc_lo, 0, v4
	v_not_b32_e32 v4, v5
	v_xor_b32_e32 v6, s15, v6
	v_cmp_gt_i32_e64 s15, 0, v5
	v_and_b32_e32 v2, exec_lo, v2
	v_not_b32_e32 v5, v7
	v_ashrrev_i32_e32 v4, 31, v4
	v_xor_b32_e32 v3, vcc_lo, v3
	v_cmp_gt_i32_e32 vcc_lo, 0, v7
	v_and_b32_e32 v2, v2, v6
	v_not_b32_e32 v6, v36
	v_ashrrev_i32_e32 v5, 31, v5
	v_xor_b32_e32 v4, s15, v4
	v_lshlrev_b32_e32 v0, 24, v0
	v_and_b32_e32 v2, v2, v3
	v_cmp_gt_i32_e64 s15, 0, v36
	v_not_b32_e32 v3, v37
	v_ashrrev_i32_e32 v6, 31, v6
	v_xor_b32_e32 v5, vcc_lo, v5
	v_and_b32_e32 v2, v2, v4
	v_cmp_gt_i32_e32 vcc_lo, 0, v37
	v_not_b32_e32 v4, v0
	v_ashrrev_i32_e32 v3, 31, v3
	v_xor_b32_e32 v6, s15, v6
	v_and_b32_e32 v2, v2, v5
	v_lshlrev_b32_e32 v1, 2, v1
	v_cmp_gt_i32_e64 s15, 0, v0
	v_ashrrev_i32_e32 v0, 31, v4
	v_xor_b32_e32 v3, vcc_lo, v3
	v_and_b32_e32 v2, v2, v6
	v_add_lshl_u32 v1, v1, v28, 2
	s_delay_alu instid0(VALU_DEP_4) | instskip(NEXT) | instid1(VALU_DEP_3)
	v_xor_b32_e32 v0, s15, v0
	v_and_b32_e32 v2, v2, v3
	ds_load_b32 v36, v1 offset:16
	v_add_nc_u32_e32 v38, 16, v1
	; wave barrier
	v_and_b32_e32 v0, v2, v0
	s_delay_alu instid0(VALU_DEP_1) | instskip(SKIP_1) | instid1(VALU_DEP_2)
	v_mbcnt_lo_u32_b32 v37, v0, 0
	v_cmp_ne_u32_e64 s15, 0, v0
	v_cmp_eq_u32_e32 vcc_lo, 0, v37
	s_delay_alu instid0(VALU_DEP_2) | instskip(NEXT) | instid1(SALU_CYCLE_1)
	s_and_b32 s22, s15, vcc_lo
	s_and_saveexec_b32 s15, s22
	s_cbranch_execz .LBB108_8
; %bb.7:                                ;   in Loop: Header=BB108_4 Depth=2
	s_waitcnt lgkmcnt(0)
	v_bcnt_u32_b32 v0, v0, v36
	ds_store_b32 v38, v0
.LBB108_8:                              ;   in Loop: Header=BB108_4 Depth=2
	s_or_b32 exec_lo, exec_lo, s15
	v_lshrrev_b64 v[0:1], s16, v[18:19]
	; wave barrier
	s_delay_alu instid0(VALU_DEP_1)
	v_and_b32_e32 v2, 1, v0
	v_lshlrev_b32_e32 v3, 30, v0
	v_lshlrev_b32_e32 v4, 29, v0
	;; [unrolled: 1-line block ×4, first 2 shown]
	v_add_co_u32 v2, s15, v2, -1
	s_delay_alu instid0(VALU_DEP_1)
	v_cndmask_b32_e64 v6, 0, 1, s15
	v_not_b32_e32 v41, v3
	v_cmp_gt_i32_e64 s15, 0, v3
	v_not_b32_e32 v3, v4
	v_lshlrev_b32_e32 v39, 26, v0
	v_cmp_ne_u32_e32 vcc_lo, 0, v6
	v_ashrrev_i32_e32 v6, 31, v41
	v_lshlrev_b32_e32 v40, 25, v0
	v_ashrrev_i32_e32 v3, 31, v3
	v_and_b32_e32 v1, 0xff, v0
	v_xor_b32_e32 v2, vcc_lo, v2
	v_cmp_gt_i32_e32 vcc_lo, 0, v4
	v_not_b32_e32 v4, v5
	v_xor_b32_e32 v6, s15, v6
	v_cmp_gt_i32_e64 s15, 0, v5
	v_and_b32_e32 v2, exec_lo, v2
	v_not_b32_e32 v5, v7
	v_ashrrev_i32_e32 v4, 31, v4
	v_xor_b32_e32 v3, vcc_lo, v3
	v_cmp_gt_i32_e32 vcc_lo, 0, v7
	v_and_b32_e32 v2, v2, v6
	v_not_b32_e32 v6, v39
	v_ashrrev_i32_e32 v5, 31, v5
	v_xor_b32_e32 v4, s15, v4
	v_lshlrev_b32_e32 v0, 24, v0
	v_and_b32_e32 v2, v2, v3
	v_cmp_gt_i32_e64 s15, 0, v39
	v_not_b32_e32 v3, v40
	v_ashrrev_i32_e32 v6, 31, v6
	v_xor_b32_e32 v5, vcc_lo, v5
	v_and_b32_e32 v2, v2, v4
	v_cmp_gt_i32_e32 vcc_lo, 0, v40
	v_not_b32_e32 v4, v0
	v_ashrrev_i32_e32 v3, 31, v3
	v_xor_b32_e32 v6, s15, v6
	v_and_b32_e32 v2, v2, v5
	v_lshlrev_b32_e32 v1, 2, v1
	v_cmp_gt_i32_e64 s15, 0, v0
	v_ashrrev_i32_e32 v0, 31, v4
	v_xor_b32_e32 v3, vcc_lo, v3
	v_and_b32_e32 v2, v2, v6
	v_add_lshl_u32 v1, v1, v28, 2
	s_delay_alu instid0(VALU_DEP_4) | instskip(NEXT) | instid1(VALU_DEP_3)
	v_xor_b32_e32 v0, s15, v0
	v_and_b32_e32 v2, v2, v3
	ds_load_b32 v39, v1 offset:16
	v_add_nc_u32_e32 v41, 16, v1
	; wave barrier
	v_and_b32_e32 v0, v2, v0
	s_delay_alu instid0(VALU_DEP_1) | instskip(SKIP_1) | instid1(VALU_DEP_2)
	v_mbcnt_lo_u32_b32 v40, v0, 0
	v_cmp_ne_u32_e64 s15, 0, v0
	v_cmp_eq_u32_e32 vcc_lo, 0, v40
	s_delay_alu instid0(VALU_DEP_2) | instskip(NEXT) | instid1(SALU_CYCLE_1)
	s_and_b32 s22, s15, vcc_lo
	s_and_saveexec_b32 s15, s22
	s_cbranch_execz .LBB108_10
; %bb.9:                                ;   in Loop: Header=BB108_4 Depth=2
	s_waitcnt lgkmcnt(0)
	v_bcnt_u32_b32 v0, v0, v39
	ds_store_b32 v41, v0
.LBB108_10:                             ;   in Loop: Header=BB108_4 Depth=2
	s_or_b32 exec_lo, exec_lo, s15
	v_lshrrev_b64 v[0:1], s16, v[16:17]
	; wave barrier
	s_delay_alu instid0(VALU_DEP_1)
	v_and_b32_e32 v2, 1, v0
	v_lshlrev_b32_e32 v3, 30, v0
	v_lshlrev_b32_e32 v4, 29, v0
	;; [unrolled: 1-line block ×4, first 2 shown]
	v_add_co_u32 v2, s15, v2, -1
	s_delay_alu instid0(VALU_DEP_1)
	v_cndmask_b32_e64 v6, 0, 1, s15
	v_not_b32_e32 v44, v3
	v_cmp_gt_i32_e64 s15, 0, v3
	v_not_b32_e32 v3, v4
	v_lshlrev_b32_e32 v42, 26, v0
	v_cmp_ne_u32_e32 vcc_lo, 0, v6
	v_ashrrev_i32_e32 v6, 31, v44
	v_lshlrev_b32_e32 v43, 25, v0
	v_ashrrev_i32_e32 v3, 31, v3
	v_and_b32_e32 v1, 0xff, v0
	v_xor_b32_e32 v2, vcc_lo, v2
	v_cmp_gt_i32_e32 vcc_lo, 0, v4
	v_not_b32_e32 v4, v5
	v_xor_b32_e32 v6, s15, v6
	v_cmp_gt_i32_e64 s15, 0, v5
	v_and_b32_e32 v2, exec_lo, v2
	v_not_b32_e32 v5, v7
	v_ashrrev_i32_e32 v4, 31, v4
	v_xor_b32_e32 v3, vcc_lo, v3
	v_cmp_gt_i32_e32 vcc_lo, 0, v7
	v_and_b32_e32 v2, v2, v6
	v_not_b32_e32 v6, v42
	v_ashrrev_i32_e32 v5, 31, v5
	v_xor_b32_e32 v4, s15, v4
	v_lshlrev_b32_e32 v0, 24, v0
	v_and_b32_e32 v2, v2, v3
	v_cmp_gt_i32_e64 s15, 0, v42
	v_not_b32_e32 v3, v43
	v_ashrrev_i32_e32 v6, 31, v6
	v_xor_b32_e32 v5, vcc_lo, v5
	v_and_b32_e32 v2, v2, v4
	v_cmp_gt_i32_e32 vcc_lo, 0, v43
	v_not_b32_e32 v4, v0
	v_ashrrev_i32_e32 v3, 31, v3
	v_xor_b32_e32 v6, s15, v6
	v_and_b32_e32 v2, v2, v5
	v_lshlrev_b32_e32 v1, 2, v1
	v_cmp_gt_i32_e64 s15, 0, v0
	v_ashrrev_i32_e32 v0, 31, v4
	v_xor_b32_e32 v3, vcc_lo, v3
	v_and_b32_e32 v2, v2, v6
	v_add_lshl_u32 v1, v1, v28, 2
	s_delay_alu instid0(VALU_DEP_4) | instskip(NEXT) | instid1(VALU_DEP_3)
	v_xor_b32_e32 v0, s15, v0
	v_and_b32_e32 v2, v2, v3
	ds_load_b32 v42, v1 offset:16
	v_add_nc_u32_e32 v44, 16, v1
	; wave barrier
	v_and_b32_e32 v0, v2, v0
	s_delay_alu instid0(VALU_DEP_1) | instskip(SKIP_1) | instid1(VALU_DEP_2)
	v_mbcnt_lo_u32_b32 v43, v0, 0
	v_cmp_ne_u32_e64 s15, 0, v0
	v_cmp_eq_u32_e32 vcc_lo, 0, v43
	s_delay_alu instid0(VALU_DEP_2) | instskip(NEXT) | instid1(SALU_CYCLE_1)
	s_and_b32 s22, s15, vcc_lo
	s_and_saveexec_b32 s15, s22
	s_cbranch_execz .LBB108_12
; %bb.11:                               ;   in Loop: Header=BB108_4 Depth=2
	s_waitcnt lgkmcnt(0)
	v_bcnt_u32_b32 v0, v0, v42
	ds_store_b32 v44, v0
.LBB108_12:                             ;   in Loop: Header=BB108_4 Depth=2
	s_or_b32 exec_lo, exec_lo, s15
	; wave barrier
	s_waitcnt lgkmcnt(0)
	s_barrier
	buffer_gl0_inv
	ds_load_2addr_b64 v[4:7], v23 offset0:2 offset1:3
	ds_load_2addr_b64 v[0:3], v27 offset0:2 offset1:3
	s_waitcnt lgkmcnt(1)
	v_add_nc_u32_e32 v45, v5, v4
	s_delay_alu instid0(VALU_DEP_1) | instskip(SKIP_1) | instid1(VALU_DEP_1)
	v_add3_u32 v45, v45, v6, v7
	s_waitcnt lgkmcnt(0)
	v_add3_u32 v45, v45, v0, v1
	s_delay_alu instid0(VALU_DEP_1) | instskip(NEXT) | instid1(VALU_DEP_1)
	v_add3_u32 v3, v45, v2, v3
	v_mov_b32_dpp v45, v3 row_shr:1 row_mask:0xf bank_mask:0xf
	s_delay_alu instid0(VALU_DEP_1) | instskip(NEXT) | instid1(VALU_DEP_1)
	v_cndmask_b32_e64 v45, v45, 0, s4
	v_add_nc_u32_e32 v3, v45, v3
	s_delay_alu instid0(VALU_DEP_1) | instskip(NEXT) | instid1(VALU_DEP_1)
	v_mov_b32_dpp v45, v3 row_shr:2 row_mask:0xf bank_mask:0xf
	v_cndmask_b32_e64 v45, 0, v45, s5
	s_delay_alu instid0(VALU_DEP_1) | instskip(NEXT) | instid1(VALU_DEP_1)
	v_add_nc_u32_e32 v3, v3, v45
	v_mov_b32_dpp v45, v3 row_shr:4 row_mask:0xf bank_mask:0xf
	s_delay_alu instid0(VALU_DEP_1) | instskip(NEXT) | instid1(VALU_DEP_1)
	v_cndmask_b32_e64 v45, 0, v45, s6
	v_add_nc_u32_e32 v3, v3, v45
	s_delay_alu instid0(VALU_DEP_1) | instskip(NEXT) | instid1(VALU_DEP_1)
	v_mov_b32_dpp v45, v3 row_shr:8 row_mask:0xf bank_mask:0xf
	v_cndmask_b32_e64 v45, 0, v45, s7
	s_delay_alu instid0(VALU_DEP_1) | instskip(SKIP_3) | instid1(VALU_DEP_1)
	v_add_nc_u32_e32 v3, v3, v45
	ds_swizzle_b32 v45, v3 offset:swizzle(BROADCAST,32,15)
	s_waitcnt lgkmcnt(0)
	v_cndmask_b32_e64 v45, v45, 0, s8
	v_add_nc_u32_e32 v3, v3, v45
	s_and_saveexec_b32 s15, s9
	s_cbranch_execz .LBB108_14
; %bb.13:                               ;   in Loop: Header=BB108_4 Depth=2
	ds_store_b32 v30, v3
.LBB108_14:                             ;   in Loop: Header=BB108_4 Depth=2
	s_or_b32 exec_lo, exec_lo, s15
	s_waitcnt lgkmcnt(0)
	s_barrier
	buffer_gl0_inv
	s_and_saveexec_b32 s15, s10
	s_cbranch_execz .LBB108_16
; %bb.15:                               ;   in Loop: Header=BB108_4 Depth=2
	ds_load_b32 v45, v31
	s_waitcnt lgkmcnt(0)
	v_mov_b32_dpp v46, v45 row_shr:1 row_mask:0xf bank_mask:0xf
	s_delay_alu instid0(VALU_DEP_1) | instskip(NEXT) | instid1(VALU_DEP_1)
	v_cndmask_b32_e64 v46, v46, 0, s3
	v_add_nc_u32_e32 v45, v46, v45
	s_delay_alu instid0(VALU_DEP_1) | instskip(NEXT) | instid1(VALU_DEP_1)
	v_mov_b32_dpp v46, v45 row_shr:2 row_mask:0xf bank_mask:0xf
	v_cndmask_b32_e64 v46, 0, v46, s14
	s_delay_alu instid0(VALU_DEP_1)
	v_add_nc_u32_e32 v45, v45, v46
	ds_store_b32 v31, v45
.LBB108_16:                             ;   in Loop: Header=BB108_4 Depth=2
	s_or_b32 exec_lo, exec_lo, s15
	v_mov_b32_e32 v45, 0
	s_waitcnt lgkmcnt(0)
	s_barrier
	buffer_gl0_inv
	s_and_saveexec_b32 s15, s11
	s_cbranch_execz .LBB108_18
; %bb.17:                               ;   in Loop: Header=BB108_4 Depth=2
	ds_load_b32 v45, v32
.LBB108_18:                             ;   in Loop: Header=BB108_4 Depth=2
	s_or_b32 exec_lo, exec_lo, s15
	s_waitcnt lgkmcnt(0)
	v_add_nc_u32_e32 v3, v45, v3
	s_cmp_gt_u32 s16, 55
	ds_bpermute_b32 v3, v29, v3
	s_waitcnt lgkmcnt(0)
	v_cndmask_b32_e64 v3, v3, v45, s12
	s_delay_alu instid0(VALU_DEP_1) | instskip(NEXT) | instid1(VALU_DEP_1)
	v_cndmask_b32_e64 v3, v3, 0, s13
	v_add_nc_u32_e32 v4, v3, v4
	s_delay_alu instid0(VALU_DEP_1) | instskip(NEXT) | instid1(VALU_DEP_1)
	v_add_nc_u32_e32 v5, v4, v5
	v_add_nc_u32_e32 v6, v5, v6
	s_delay_alu instid0(VALU_DEP_1) | instskip(NEXT) | instid1(VALU_DEP_1)
	v_add_nc_u32_e32 v45, v6, v7
	;; [unrolled: 3-line block ×3, first 2 shown]
	v_add_nc_u32_e32 v1, v0, v2
	ds_store_2addr_b64 v23, v[3:4], v[5:6] offset0:2 offset1:3
	ds_store_2addr_b64 v27, v[45:46], v[0:1] offset0:2 offset1:3
	s_waitcnt lgkmcnt(0)
	s_barrier
	buffer_gl0_inv
	ds_load_b32 v0, v35
	ds_load_b32 v1, v38
	;; [unrolled: 1-line block ×4, first 2 shown]
	s_waitcnt lgkmcnt(3)
	v_add_nc_u32_e32 v38, v0, v8
	s_waitcnt lgkmcnt(2)
	v_add3_u32 v36, v37, v36, v1
	s_waitcnt lgkmcnt(1)
	v_add3_u32 v35, v40, v39, v2
	;; [unrolled: 2-line block ×3, first 2 shown]
	s_cbranch_scc0 .LBB108_3
; %bb.19:                               ;   in Loop: Header=BB108_2 Depth=1
                                        ; implicit-def: $vgpr6_vgpr7
                                        ; implicit-def: $vgpr2_vgpr3
                                        ; implicit-def: $sgpr16_sgpr17
	s_branch .LBB108_1
.LBB108_20:
	v_lshlrev_b32_e32 v0, 3, v9
	s_add_u32 s0, s18, s20
	s_addc_u32 s1, s19, s21
	s_clause 0x3
	global_store_b64 v0, v[5:6], s[0:1]
	global_store_b64 v0, v[7:8], s[0:1] offset:1024
	global_store_b64 v0, v[1:2], s[0:1] offset:2048
	;; [unrolled: 1-line block ×3, first 2 shown]
	s_nop 0
	s_sendmsg sendmsg(MSG_DEALLOC_VGPRS)
	s_endpgm
	.section	.rodata,"a",@progbits
	.p2align	6, 0x0
	.amdhsa_kernel _Z16sort_keys_kernelI22helper_blocked_blockedxLj128ELj4ELj10EEvPKT0_PS1_
		.amdhsa_group_segment_fixed_size 4112
		.amdhsa_private_segment_fixed_size 0
		.amdhsa_kernarg_size 272
		.amdhsa_user_sgpr_count 15
		.amdhsa_user_sgpr_dispatch_ptr 0
		.amdhsa_user_sgpr_queue_ptr 0
		.amdhsa_user_sgpr_kernarg_segment_ptr 1
		.amdhsa_user_sgpr_dispatch_id 0
		.amdhsa_user_sgpr_private_segment_size 0
		.amdhsa_wavefront_size32 1
		.amdhsa_uses_dynamic_stack 0
		.amdhsa_enable_private_segment 0
		.amdhsa_system_sgpr_workgroup_id_x 1
		.amdhsa_system_sgpr_workgroup_id_y 0
		.amdhsa_system_sgpr_workgroup_id_z 0
		.amdhsa_system_sgpr_workgroup_info 0
		.amdhsa_system_vgpr_workitem_id 2
		.amdhsa_next_free_vgpr 49
		.amdhsa_next_free_sgpr 24
		.amdhsa_reserve_vcc 1
		.amdhsa_float_round_mode_32 0
		.amdhsa_float_round_mode_16_64 0
		.amdhsa_float_denorm_mode_32 3
		.amdhsa_float_denorm_mode_16_64 3
		.amdhsa_dx10_clamp 1
		.amdhsa_ieee_mode 1
		.amdhsa_fp16_overflow 0
		.amdhsa_workgroup_processor_mode 1
		.amdhsa_memory_ordered 1
		.amdhsa_forward_progress 0
		.amdhsa_shared_vgpr_count 0
		.amdhsa_exception_fp_ieee_invalid_op 0
		.amdhsa_exception_fp_denorm_src 0
		.amdhsa_exception_fp_ieee_div_zero 0
		.amdhsa_exception_fp_ieee_overflow 0
		.amdhsa_exception_fp_ieee_underflow 0
		.amdhsa_exception_fp_ieee_inexact 0
		.amdhsa_exception_int_div_zero 0
	.end_amdhsa_kernel
	.section	.text._Z16sort_keys_kernelI22helper_blocked_blockedxLj128ELj4ELj10EEvPKT0_PS1_,"axG",@progbits,_Z16sort_keys_kernelI22helper_blocked_blockedxLj128ELj4ELj10EEvPKT0_PS1_,comdat
.Lfunc_end108:
	.size	_Z16sort_keys_kernelI22helper_blocked_blockedxLj128ELj4ELj10EEvPKT0_PS1_, .Lfunc_end108-_Z16sort_keys_kernelI22helper_blocked_blockedxLj128ELj4ELj10EEvPKT0_PS1_
                                        ; -- End function
	.section	.AMDGPU.csdata,"",@progbits
; Kernel info:
; codeLenInByte = 3256
; NumSgprs: 26
; NumVgprs: 49
; ScratchSize: 0
; MemoryBound: 0
; FloatMode: 240
; IeeeMode: 1
; LDSByteSize: 4112 bytes/workgroup (compile time only)
; SGPRBlocks: 3
; VGPRBlocks: 6
; NumSGPRsForWavesPerEU: 26
; NumVGPRsForWavesPerEU: 49
; Occupancy: 16
; WaveLimiterHint : 1
; COMPUTE_PGM_RSRC2:SCRATCH_EN: 0
; COMPUTE_PGM_RSRC2:USER_SGPR: 15
; COMPUTE_PGM_RSRC2:TRAP_HANDLER: 0
; COMPUTE_PGM_RSRC2:TGID_X_EN: 1
; COMPUTE_PGM_RSRC2:TGID_Y_EN: 0
; COMPUTE_PGM_RSRC2:TGID_Z_EN: 0
; COMPUTE_PGM_RSRC2:TIDIG_COMP_CNT: 2
	.section	.text._Z17sort_pairs_kernelI22helper_blocked_blockedxLj128ELj4ELj10EEvPKT0_PS1_,"axG",@progbits,_Z17sort_pairs_kernelI22helper_blocked_blockedxLj128ELj4ELj10EEvPKT0_PS1_,comdat
	.protected	_Z17sort_pairs_kernelI22helper_blocked_blockedxLj128ELj4ELj10EEvPKT0_PS1_ ; -- Begin function _Z17sort_pairs_kernelI22helper_blocked_blockedxLj128ELj4ELj10EEvPKT0_PS1_
	.globl	_Z17sort_pairs_kernelI22helper_blocked_blockedxLj128ELj4ELj10EEvPKT0_PS1_
	.p2align	8
	.type	_Z17sort_pairs_kernelI22helper_blocked_blockedxLj128ELj4ELj10EEvPKT0_PS1_,@function
_Z17sort_pairs_kernelI22helper_blocked_blockedxLj128ELj4ELj10EEvPKT0_PS1_: ; @_Z17sort_pairs_kernelI22helper_blocked_blockedxLj128ELj4ELj10EEvPKT0_PS1_
; %bb.0:
	s_clause 0x1
	s_load_b128 s[16:19], s[0:1], 0x0
	s_load_b32 s14, s[0:1], 0x1c
	s_mov_b32 s23, 0
	s_lshl_b32 s22, s15, 9
	v_mbcnt_lo_u32_b32 v10, -1, 0
	s_lshl_b64 s[20:21], s[22:23], 3
	s_mov_b32 s22, s23
	s_delay_alu instid0(SALU_CYCLE_1) | instskip(SKIP_3) | instid1(VALU_DEP_4)
	v_dual_mov_b32 v19, s22 :: v_dual_and_b32 v18, 0x3ff, v0
	v_mov_b32_e32 v20, s23
	v_add_nc_u32_e32 v14, -1, v10
	v_and_b32_e32 v13, 16, v10
	v_lshlrev_b32_e32 v1, 3, v18
	v_bfe_u32 v11, v0, 10, 10
	v_bfe_u32 v0, v0, 20, 10
	v_cmp_gt_i32_e32 vcc_lo, 0, v14
	v_lshlrev_b32_e32 v41, 5, v18
	v_cmp_eq_u32_e64 s9, 0, v13
	v_lshlrev_b32_e32 v15, 2, v18
	v_mul_u32_u24_e32 v16, 28, v18
	s_waitcnt lgkmcnt(0)
	s_add_u32 s0, s16, s20
	s_addc_u32 s1, s17, s21
	s_lshr_b32 s15, s14, 16
	s_clause 0x3
	global_load_b64 v[6:7], v1, s[0:1]
	global_load_b64 v[8:9], v1, s[0:1] offset:1024
	global_load_b64 v[2:3], v1, s[0:1] offset:2048
	;; [unrolled: 1-line block ×3, first 2 shown]
	v_cndmask_b32_e32 v13, v14, v10, vcc_lo
	v_lshrrev_b32_e32 v14, 3, v18
	s_mov_b32 s16, s23
	s_mov_b32 s17, s23
	s_delay_alu instid0(SALU_CYCLE_1)
	v_dual_mov_b32 v22, s17 :: v_dual_and_b32 v1, 3, v10
	v_mad_u32_u24 v11, v0, s15, v11
	v_mad_i32_i24 v44, 0xffffffe4, v18, v41
	v_dual_mov_b32 v21, s16 :: v_dual_and_b32 v12, 15, v10
	s_and_b32 s14, s14, 0xffff
	v_and_b32_e32 v43, 12, v14
	v_cmp_eq_u32_e64 s1, 3, v1
	v_cmp_eq_u32_e64 s2, 2, v1
	;; [unrolled: 1-line block ×4, first 2 shown]
	v_cmp_lt_u32_e64 s13, 1, v1
	v_mad_u64_u32 v[0:1], null, v11, s14, v[18:19]
	v_and_or_b32 v1, 0x180, v15, v10
	v_add_nc_u32_e32 v48, v44, v16
	v_cmp_eq_u32_e64 s5, 0, v12
	v_cmp_lt_u32_e64 s6, 1, v12
	v_cmp_lt_u32_e64 s7, 3, v12
	;; [unrolled: 1-line block ×3, first 2 shown]
	v_or_b32_e32 v12, 31, v18
	v_and_b32_e32 v37, 28, v10
	v_cmp_eq_u32_e64 s0, 0, v10
	v_cmp_gt_u32_e64 s10, 4, v18
	v_cmp_lt_u32_e64 s11, 31, v18
	v_cmp_eq_u32_e64 s14, v12, v18
	v_or_b32_e32 v38, 32, v37
	v_or_b32_e32 v39, 64, v37
	;; [unrolled: 1-line block ×3, first 2 shown]
	v_cmp_eq_u32_e64 s12, 0, v18
	v_or_b32_e32 v42, 16, v41
	v_add_nc_u32_e32 v46, -4, v43
	v_lshlrev_b32_e32 v45, 2, v13
	v_lshlrev_b32_e32 v47, 3, v1
	v_lshrrev_b32_e32 v49, 5, v0
	s_waitcnt vmcnt(3)
	v_add_co_u32 v14, vcc_lo, v6, 1
	v_add_co_ci_u32_e32 v15, vcc_lo, 0, v7, vcc_lo
	s_waitcnt vmcnt(2)
	v_add_co_u32 v16, vcc_lo, v8, 1
	v_add_co_ci_u32_e32 v17, vcc_lo, 0, v9, vcc_lo
	;; [unrolled: 3-line block ×4, first 2 shown]
	s_branch .LBB109_2
.LBB109_1:                              ;   in Loop: Header=BB109_2 Depth=1
	v_lshlrev_b32_e32 v0, 3, v54
	v_lshlrev_b32_e32 v1, 3, v53
	;; [unrolled: 1-line block ×4, first 2 shown]
	s_barrier
	buffer_gl0_inv
	ds_store_b64 v0, v[16:17]
	ds_store_b64 v1, v[35:36]
	;; [unrolled: 1-line block ×4, first 2 shown]
	s_waitcnt lgkmcnt(0)
	s_barrier
	buffer_gl0_inv
	ds_load_2addr_b64 v[6:9], v48 offset1:1
	ds_load_2addr_b64 v[2:5], v48 offset0:2 offset1:3
	s_waitcnt lgkmcnt(0)
	s_barrier
	buffer_gl0_inv
	ds_store_b64 v0, v[25:26]
	ds_store_b64 v1, v[23:24]
	ds_store_b64 v10, v[29:30]
	ds_store_b64 v11, v[27:28]
	s_waitcnt lgkmcnt(0)
	s_barrier
	buffer_gl0_inv
	ds_load_2addr_b64 v[14:17], v48 offset1:1
	ds_load_2addr_b64 v[10:13], v48 offset0:2 offset1:3
	s_add_i32 s23, s23, 1
	s_delay_alu instid0(SALU_CYCLE_1)
	s_cmp_lg_u32 s23, 10
	v_xor_b32_e32 v7, 0x80000000, v7
	v_xor_b32_e32 v9, 0x80000000, v9
	;; [unrolled: 1-line block ×4, first 2 shown]
	s_cbranch_scc0 .LBB109_20
.LBB109_2:                              ; =>This Loop Header: Depth=1
                                        ;     Child Loop BB109_4 Depth 2
	v_xor_b32_e32 v7, 0x80000000, v7
	v_xor_b32_e32 v9, 0x80000000, v9
	ds_bpermute_b32 v0, v37, v6
	ds_bpermute_b32 v1, v37, v8
	v_xor_b32_e32 v3, 0x80000000, v3
	ds_bpermute_b32 v23, v37, v7
	ds_bpermute_b32 v24, v37, v9
	;; [unrolled: 1-line block ×6, first 2 shown]
	v_xor_b32_e32 v29, 0x80000000, v5
	ds_bpermute_b32 v5, v38, v6
	ds_bpermute_b32 v30, v38, v8
	ds_bpermute_b32 v31, v37, v4
	ds_bpermute_b32 v32, v38, v3
	ds_bpermute_b32 v33, v37, v29
	ds_bpermute_b32 v36, v39, v6
	ds_bpermute_b32 v50, v39, v8
	ds_bpermute_b32 v34, v38, v2
	ds_bpermute_b32 v6, v40, v6
	ds_bpermute_b32 v8, v40, v8
	ds_bpermute_b32 v35, v38, v4
	s_waitcnt lgkmcnt(17)
	v_cndmask_b32_e64 v0, v0, v1, s3
	ds_bpermute_b32 v51, v39, v2
	ds_bpermute_b32 v52, v39, v4
	s_waitcnt lgkmcnt(17)
	v_cndmask_b32_e64 v1, v23, v24, s3
	ds_bpermute_b32 v23, v39, v7
	ds_bpermute_b32 v24, v39, v9
	s_waitcnt lgkmcnt(18)
	v_cndmask_b32_e64 v0, v0, v25, s2
	s_waitcnt lgkmcnt(15)
	v_cndmask_b32_e64 v25, v27, v28, s3
	v_cndmask_b32_e64 v1, v1, v26, s2
	ds_bpermute_b32 v53, v38, v29
	s_waitcnt lgkmcnt(14)
	v_cndmask_b32_e64 v5, v5, v30, s3
	s_waitcnt lgkmcnt(13)
	v_cndmask_b32_e64 v0, v0, v31, s1
	;; [unrolled: 2-line block ×4, first 2 shown]
	ds_bpermute_b32 v7, v40, v7
	ds_bpermute_b32 v9, v40, v9
	;; [unrolled: 1-line block ×7, first 2 shown]
	s_waitcnt lgkmcnt(16)
	v_cndmask_b32_e64 v2, v36, v50, s3
	ds_bpermute_b32 v36, v40, v4
	ds_bpermute_b32 v26, v39, v3
	;; [unrolled: 1-line block ×3, first 2 shown]
	s_waitcnt lgkmcnt(11)
	v_cndmask_b32_e64 v4, v23, v24, s3
	ds_bpermute_b32 v23, v38, v14
	ds_bpermute_b32 v24, v38, v16
	;; [unrolled: 1-line block ×5, first 2 shown]
	v_cndmask_b32_e64 v3, v5, v34, s2
	v_cndmask_b32_e64 v6, v6, v8, s3
	;; [unrolled: 1-line block ×3, first 2 shown]
	ds_bpermute_b32 v34, v39, v17
	s_waitcnt lgkmcnt(14)
	v_cndmask_b32_e64 v7, v7, v9, s3
	v_cndmask_b32_e64 v2, v3, v35, s1
	;; [unrolled: 1-line block ×3, first 2 shown]
	s_waitcnt lgkmcnt(13)
	v_cndmask_b32_e64 v6, v6, v28, s2
	s_waitcnt lgkmcnt(10)
	v_cndmask_b32_e64 v8, v30, v32, s3
	;; [unrolled: 2-line block ×3, first 2 shown]
	ds_bpermute_b32 v25, v40, v29
	ds_bpermute_b32 v28, v38, v15
	;; [unrolled: 1-line block ×6, first 2 shown]
	s_waitcnt lgkmcnt(10)
	v_cndmask_b32_e64 v23, v23, v24, s3
	ds_bpermute_b32 v24, v38, v10
	ds_bpermute_b32 v14, v40, v14
	;; [unrolled: 1-line block ×5, first 2 shown]
	v_cndmask_b32_e64 v26, v4, v26, s2
	v_cndmask_b32_e64 v6, v6, v36, s1
	;; [unrolled: 1-line block ×3, first 2 shown]
	ds_bpermute_b32 v30, v38, v11
	ds_bpermute_b32 v36, v39, v11
	;; [unrolled: 1-line block ×5, first 2 shown]
	v_cndmask_b32_e64 v4, v5, v52, s1
	s_waitcnt lgkmcnt(19)
	v_cndmask_b32_e64 v5, v26, v27, s1
	s_waitcnt lgkmcnt(18)
	;; [unrolled: 2-line block ×3, first 2 shown]
	v_cndmask_b32_e64 v9, v9, v55, s2
	ds_bpermute_b32 v26, v37, v12
	ds_bpermute_b32 v27, v37, v13
	ds_bpermute_b32 v35, v38, v13
	ds_bpermute_b32 v52, v38, v12
	ds_bpermute_b32 v53, v39, v13
	ds_bpermute_b32 v54, v39, v12
	ds_bpermute_b32 v55, v40, v13
	ds_bpermute_b32 v56, v40, v12
	s_waitcnt lgkmcnt(21)
	v_cndmask_b32_e64 v11, v28, v29, s3
	s_waitcnt lgkmcnt(17)
	v_cndmask_b32_e64 v12, v23, v24, s2
	v_cndmask_b32_e64 v13, v32, v34, s3
	;; [unrolled: 1-line block ×3, first 2 shown]
	s_waitcnt lgkmcnt(14)
	v_cndmask_b32_e64 v15, v15, v17, s3
	s_waitcnt lgkmcnt(13)
	v_cndmask_b32_e64 v14, v14, v16, s3
	;; [unrolled: 2-line block ×7, first 2 shown]
	v_cndmask_b32_e64 v7, v7, v25, s1
	s_waitcnt lgkmcnt(7)
	v_cndmask_b32_e64 v8, v8, v26, s1
	s_waitcnt lgkmcnt(6)
	;; [unrolled: 2-line block ×8, first 2 shown]
	v_cndmask_b32_e64 v14, v14, v56, s1
	s_mov_b64 s[16:17], 0
	s_barrier
	s_branch .LBB109_4
.LBB109_3:                              ;   in Loop: Header=BB109_4 Depth=2
	v_lshlrev_b32_e32 v8, 3, v54
	v_lshlrev_b32_e32 v9, 3, v53
	v_lshlrev_b32_e32 v10, 3, v52
	v_lshlrev_b32_e32 v11, 3, v50
	s_barrier
	buffer_gl0_inv
	ds_store_b64 v8, v[16:17]
	ds_store_b64 v9, v[35:36]
	;; [unrolled: 1-line block ×4, first 2 shown]
	s_waitcnt lgkmcnt(0)
	s_barrier
	buffer_gl0_inv
	ds_load_2addr_b64 v[0:3], v47 offset1:32
	ds_load_2addr_b64 v[4:7], v47 offset0:64 offset1:96
	s_waitcnt lgkmcnt(0)
	s_barrier
	buffer_gl0_inv
	ds_store_b64 v8, v[25:26]
	ds_store_b64 v9, v[23:24]
	;; [unrolled: 1-line block ×4, first 2 shown]
	s_waitcnt lgkmcnt(0)
	s_barrier
	buffer_gl0_inv
	ds_load_2addr_b64 v[8:11], v47 offset1:32
	ds_load_2addr_b64 v[12:15], v47 offset0:64 offset1:96
	s_add_u32 s16, s16, 8
	s_addc_u32 s17, s17, 0
	s_waitcnt lgkmcnt(0)
	s_barrier
	s_cbranch_execz .LBB109_1
.LBB109_4:                              ;   Parent Loop BB109_2 Depth=1
                                        ; =>  This Inner Loop Header: Depth=2
	v_dual_mov_b32 v17, v1 :: v_dual_mov_b32 v16, v0
	buffer_gl0_inv
	ds_store_2addr_b64 v41, v[19:20], v[21:22] offset0:2 offset1:3
	ds_store_2addr_b64 v42, v[19:20], v[21:22] offset0:2 offset1:3
	s_waitcnt lgkmcnt(0)
	s_barrier
	v_lshrrev_b64 v[50:51], s16, v[16:17]
	buffer_gl0_inv
	; wave barrier
	v_mov_b32_e32 v32, v7
	v_mov_b32_e32 v34, v5
	v_dual_mov_b32 v31, v6 :: v_dual_and_b32 v0, 1, v50
	v_lshlrev_b32_e32 v1, 30, v50
	v_lshlrev_b32_e32 v23, 29, v50
	v_dual_mov_b32 v33, v4 :: v_dual_lshlrev_b32 v24, 28, v50
	s_delay_alu instid0(VALU_DEP_4) | instskip(NEXT) | instid1(VALU_DEP_1)
	v_add_co_u32 v0, s15, v0, -1
	v_cndmask_b32_e64 v25, 0, 1, s15
	v_not_b32_e32 v29, v1
	v_cmp_gt_i32_e64 s15, 0, v1
	v_not_b32_e32 v1, v23
	v_lshlrev_b32_e32 v26, 27, v50
	v_cmp_ne_u32_e32 vcc_lo, 0, v25
	v_ashrrev_i32_e32 v29, 31, v29
	v_dual_mov_b32 v36, v3 :: v_dual_lshlrev_b32 v27, 26, v50
	v_ashrrev_i32_e32 v1, 31, v1
	v_xor_b32_e32 v0, vcc_lo, v0
	v_cmp_gt_i32_e32 vcc_lo, 0, v23
	v_not_b32_e32 v23, v24
	v_xor_b32_e32 v29, s15, v29
	v_cmp_gt_i32_e64 s15, 0, v24
	v_and_b32_e32 v0, exec_lo, v0
	v_xor_b32_e32 v1, vcc_lo, v1
	v_ashrrev_i32_e32 v23, 31, v23
	v_mov_b32_e32 v35, v2
	v_not_b32_e32 v24, v26
	v_and_b32_e32 v0, v0, v29
	v_cmp_gt_i32_e32 vcc_lo, 0, v26
	v_not_b32_e32 v26, v27
	v_xor_b32_e32 v23, s15, v23
	v_ashrrev_i32_e32 v24, 31, v24
	v_and_b32_e32 v0, v0, v1
	v_cmp_gt_i32_e64 s15, 0, v27
	v_ashrrev_i32_e32 v26, 31, v26
	v_lshlrev_b32_e32 v25, 24, v50
	v_xor_b32_e32 v24, vcc_lo, v24
	v_and_b32_e32 v0, v0, v23
	v_lshlrev_b32_e32 v28, 25, v50
	v_xor_b32_e32 v26, s15, v26
	v_not_b32_e32 v23, v25
	v_cmp_gt_i32_e64 s15, 0, v25
	v_and_b32_e32 v0, v0, v24
	v_dual_mov_b32 v30, v13 :: v_dual_mov_b32 v29, v12
	s_delay_alu instid0(VALU_DEP_4) | instskip(NEXT) | instid1(VALU_DEP_3)
	v_ashrrev_i32_e32 v23, 31, v23
	v_and_b32_e32 v0, v0, v26
	v_dual_mov_b32 v26, v9 :: v_dual_mov_b32 v25, v8
	v_not_b32_e32 v1, v28
	v_cmp_gt_i32_e32 vcc_lo, 0, v28
	v_xor_b32_e32 v6, s15, v23
	v_mov_b32_e32 v24, v11
	v_mov_b32_e32 v28, v15
	v_ashrrev_i32_e32 v1, 31, v1
	v_mov_b32_e32 v23, v10
	v_mov_b32_e32 v27, v14
	s_delay_alu instid0(VALU_DEP_3) | instskip(NEXT) | instid1(VALU_DEP_1)
	v_xor_b32_e32 v1, vcc_lo, v1
	v_and_b32_e32 v0, v0, v1
	v_and_b32_e32 v1, 0xff, v50
	s_delay_alu instid0(VALU_DEP_2) | instskip(NEXT) | instid1(VALU_DEP_2)
	v_and_b32_e32 v0, v0, v6
	v_lshl_add_u32 v1, v1, 2, v49
	s_delay_alu instid0(VALU_DEP_2) | instskip(SKIP_1) | instid1(VALU_DEP_3)
	v_mbcnt_lo_u32_b32 v8, v0, 0
	v_cmp_ne_u32_e64 s15, 0, v0
	v_lshl_add_u32 v9, v1, 2, 16
	s_delay_alu instid0(VALU_DEP_3) | instskip(NEXT) | instid1(VALU_DEP_3)
	v_cmp_eq_u32_e32 vcc_lo, 0, v8
	s_and_b32 s22, s15, vcc_lo
	s_delay_alu instid0(SALU_CYCLE_1)
	s_and_saveexec_b32 s15, s22
	s_cbranch_execz .LBB109_6
; %bb.5:                                ;   in Loop: Header=BB109_4 Depth=2
	v_bcnt_u32_b32 v0, v0, 0
	ds_store_b32 v9, v0
.LBB109_6:                              ;   in Loop: Header=BB109_4 Depth=2
	s_or_b32 exec_lo, exec_lo, s15
	v_lshrrev_b64 v[0:1], s16, v[35:36]
	; wave barrier
	s_delay_alu instid0(VALU_DEP_1)
	v_and_b32_e32 v2, 1, v0
	v_lshlrev_b32_e32 v3, 30, v0
	v_lshlrev_b32_e32 v4, 29, v0
	;; [unrolled: 1-line block ×4, first 2 shown]
	v_add_co_u32 v2, s15, v2, -1
	s_delay_alu instid0(VALU_DEP_1)
	v_cndmask_b32_e64 v6, 0, 1, s15
	v_not_b32_e32 v12, v3
	v_cmp_gt_i32_e64 s15, 0, v3
	v_not_b32_e32 v3, v4
	v_lshlrev_b32_e32 v10, 26, v0
	v_cmp_ne_u32_e32 vcc_lo, 0, v6
	v_ashrrev_i32_e32 v6, 31, v12
	v_lshlrev_b32_e32 v11, 25, v0
	v_ashrrev_i32_e32 v3, 31, v3
	v_and_b32_e32 v1, 0xff, v0
	v_xor_b32_e32 v2, vcc_lo, v2
	v_cmp_gt_i32_e32 vcc_lo, 0, v4
	v_not_b32_e32 v4, v5
	v_xor_b32_e32 v6, s15, v6
	v_cmp_gt_i32_e64 s15, 0, v5
	v_and_b32_e32 v2, exec_lo, v2
	v_not_b32_e32 v5, v7
	v_ashrrev_i32_e32 v4, 31, v4
	v_xor_b32_e32 v3, vcc_lo, v3
	v_cmp_gt_i32_e32 vcc_lo, 0, v7
	v_and_b32_e32 v2, v2, v6
	v_not_b32_e32 v6, v10
	v_ashrrev_i32_e32 v5, 31, v5
	v_xor_b32_e32 v4, s15, v4
	v_lshlrev_b32_e32 v0, 24, v0
	v_and_b32_e32 v2, v2, v3
	v_cmp_gt_i32_e64 s15, 0, v10
	v_not_b32_e32 v3, v11
	v_ashrrev_i32_e32 v6, 31, v6
	v_xor_b32_e32 v5, vcc_lo, v5
	v_and_b32_e32 v2, v2, v4
	v_cmp_gt_i32_e32 vcc_lo, 0, v11
	v_not_b32_e32 v4, v0
	v_ashrrev_i32_e32 v3, 31, v3
	v_xor_b32_e32 v6, s15, v6
	v_and_b32_e32 v2, v2, v5
	v_lshlrev_b32_e32 v1, 2, v1
	v_cmp_gt_i32_e64 s15, 0, v0
	v_ashrrev_i32_e32 v0, 31, v4
	v_xor_b32_e32 v3, vcc_lo, v3
	v_and_b32_e32 v2, v2, v6
	v_add_lshl_u32 v1, v1, v49, 2
	s_delay_alu instid0(VALU_DEP_4) | instskip(NEXT) | instid1(VALU_DEP_3)
	v_xor_b32_e32 v0, s15, v0
	v_and_b32_e32 v2, v2, v3
	ds_load_b32 v10, v1 offset:16
	v_add_nc_u32_e32 v12, 16, v1
	; wave barrier
	v_and_b32_e32 v0, v2, v0
	s_delay_alu instid0(VALU_DEP_1) | instskip(SKIP_1) | instid1(VALU_DEP_2)
	v_mbcnt_lo_u32_b32 v11, v0, 0
	v_cmp_ne_u32_e64 s15, 0, v0
	v_cmp_eq_u32_e32 vcc_lo, 0, v11
	s_delay_alu instid0(VALU_DEP_2) | instskip(NEXT) | instid1(SALU_CYCLE_1)
	s_and_b32 s22, s15, vcc_lo
	s_and_saveexec_b32 s15, s22
	s_cbranch_execz .LBB109_8
; %bb.7:                                ;   in Loop: Header=BB109_4 Depth=2
	s_waitcnt lgkmcnt(0)
	v_bcnt_u32_b32 v0, v0, v10
	ds_store_b32 v12, v0
.LBB109_8:                              ;   in Loop: Header=BB109_4 Depth=2
	s_or_b32 exec_lo, exec_lo, s15
	v_lshrrev_b64 v[0:1], s16, v[33:34]
	; wave barrier
	s_delay_alu instid0(VALU_DEP_1)
	v_and_b32_e32 v2, 1, v0
	v_lshlrev_b32_e32 v3, 30, v0
	v_lshlrev_b32_e32 v4, 29, v0
	;; [unrolled: 1-line block ×4, first 2 shown]
	v_add_co_u32 v2, s15, v2, -1
	s_delay_alu instid0(VALU_DEP_1)
	v_cndmask_b32_e64 v6, 0, 1, s15
	v_not_b32_e32 v15, v3
	v_cmp_gt_i32_e64 s15, 0, v3
	v_not_b32_e32 v3, v4
	v_lshlrev_b32_e32 v13, 26, v0
	v_cmp_ne_u32_e32 vcc_lo, 0, v6
	v_ashrrev_i32_e32 v6, 31, v15
	v_lshlrev_b32_e32 v14, 25, v0
	v_ashrrev_i32_e32 v3, 31, v3
	v_and_b32_e32 v1, 0xff, v0
	v_xor_b32_e32 v2, vcc_lo, v2
	v_cmp_gt_i32_e32 vcc_lo, 0, v4
	v_not_b32_e32 v4, v5
	v_xor_b32_e32 v6, s15, v6
	v_cmp_gt_i32_e64 s15, 0, v5
	v_and_b32_e32 v2, exec_lo, v2
	v_not_b32_e32 v5, v7
	v_ashrrev_i32_e32 v4, 31, v4
	v_xor_b32_e32 v3, vcc_lo, v3
	v_cmp_gt_i32_e32 vcc_lo, 0, v7
	v_and_b32_e32 v2, v2, v6
	v_not_b32_e32 v6, v13
	v_ashrrev_i32_e32 v5, 31, v5
	v_xor_b32_e32 v4, s15, v4
	v_lshlrev_b32_e32 v0, 24, v0
	v_and_b32_e32 v2, v2, v3
	v_cmp_gt_i32_e64 s15, 0, v13
	v_not_b32_e32 v3, v14
	v_ashrrev_i32_e32 v6, 31, v6
	v_xor_b32_e32 v5, vcc_lo, v5
	v_and_b32_e32 v2, v2, v4
	v_cmp_gt_i32_e32 vcc_lo, 0, v14
	v_not_b32_e32 v4, v0
	v_ashrrev_i32_e32 v3, 31, v3
	v_xor_b32_e32 v6, s15, v6
	v_and_b32_e32 v2, v2, v5
	v_lshlrev_b32_e32 v1, 2, v1
	v_cmp_gt_i32_e64 s15, 0, v0
	v_ashrrev_i32_e32 v0, 31, v4
	v_xor_b32_e32 v3, vcc_lo, v3
	v_and_b32_e32 v2, v2, v6
	v_add_lshl_u32 v1, v1, v49, 2
	s_delay_alu instid0(VALU_DEP_4) | instskip(NEXT) | instid1(VALU_DEP_3)
	v_xor_b32_e32 v0, s15, v0
	v_and_b32_e32 v2, v2, v3
	ds_load_b32 v13, v1 offset:16
	v_add_nc_u32_e32 v15, 16, v1
	; wave barrier
	v_and_b32_e32 v0, v2, v0
	s_delay_alu instid0(VALU_DEP_1) | instskip(SKIP_1) | instid1(VALU_DEP_2)
	v_mbcnt_lo_u32_b32 v14, v0, 0
	v_cmp_ne_u32_e64 s15, 0, v0
	v_cmp_eq_u32_e32 vcc_lo, 0, v14
	s_delay_alu instid0(VALU_DEP_2) | instskip(NEXT) | instid1(SALU_CYCLE_1)
	s_and_b32 s22, s15, vcc_lo
	s_and_saveexec_b32 s15, s22
	s_cbranch_execz .LBB109_10
; %bb.9:                                ;   in Loop: Header=BB109_4 Depth=2
	s_waitcnt lgkmcnt(0)
	v_bcnt_u32_b32 v0, v0, v13
	ds_store_b32 v15, v0
.LBB109_10:                             ;   in Loop: Header=BB109_4 Depth=2
	s_or_b32 exec_lo, exec_lo, s15
	v_lshrrev_b64 v[0:1], s16, v[31:32]
	; wave barrier
	s_delay_alu instid0(VALU_DEP_1)
	v_and_b32_e32 v2, 1, v0
	v_lshlrev_b32_e32 v3, 30, v0
	v_lshlrev_b32_e32 v4, 29, v0
	;; [unrolled: 1-line block ×4, first 2 shown]
	v_add_co_u32 v2, s15, v2, -1
	s_delay_alu instid0(VALU_DEP_1)
	v_cndmask_b32_e64 v6, 0, 1, s15
	v_not_b32_e32 v52, v3
	v_cmp_gt_i32_e64 s15, 0, v3
	v_not_b32_e32 v3, v4
	v_lshlrev_b32_e32 v50, 26, v0
	v_cmp_ne_u32_e32 vcc_lo, 0, v6
	v_ashrrev_i32_e32 v6, 31, v52
	v_lshlrev_b32_e32 v51, 25, v0
	v_ashrrev_i32_e32 v3, 31, v3
	v_and_b32_e32 v1, 0xff, v0
	v_xor_b32_e32 v2, vcc_lo, v2
	v_cmp_gt_i32_e32 vcc_lo, 0, v4
	v_not_b32_e32 v4, v5
	v_xor_b32_e32 v6, s15, v6
	v_cmp_gt_i32_e64 s15, 0, v5
	v_and_b32_e32 v2, exec_lo, v2
	v_not_b32_e32 v5, v7
	v_ashrrev_i32_e32 v4, 31, v4
	v_xor_b32_e32 v3, vcc_lo, v3
	v_cmp_gt_i32_e32 vcc_lo, 0, v7
	v_and_b32_e32 v2, v2, v6
	v_not_b32_e32 v6, v50
	v_ashrrev_i32_e32 v5, 31, v5
	v_xor_b32_e32 v4, s15, v4
	v_lshlrev_b32_e32 v0, 24, v0
	v_and_b32_e32 v2, v2, v3
	v_cmp_gt_i32_e64 s15, 0, v50
	v_not_b32_e32 v3, v51
	v_ashrrev_i32_e32 v6, 31, v6
	v_xor_b32_e32 v5, vcc_lo, v5
	v_and_b32_e32 v2, v2, v4
	v_cmp_gt_i32_e32 vcc_lo, 0, v51
	v_not_b32_e32 v4, v0
	v_ashrrev_i32_e32 v3, 31, v3
	v_xor_b32_e32 v6, s15, v6
	v_and_b32_e32 v2, v2, v5
	v_lshlrev_b32_e32 v1, 2, v1
	v_cmp_gt_i32_e64 s15, 0, v0
	v_ashrrev_i32_e32 v0, 31, v4
	v_xor_b32_e32 v3, vcc_lo, v3
	v_and_b32_e32 v2, v2, v6
	v_add_lshl_u32 v1, v1, v49, 2
	s_delay_alu instid0(VALU_DEP_4) | instskip(NEXT) | instid1(VALU_DEP_3)
	v_xor_b32_e32 v0, s15, v0
	v_and_b32_e32 v2, v2, v3
	ds_load_b32 v50, v1 offset:16
	v_add_nc_u32_e32 v52, 16, v1
	; wave barrier
	v_and_b32_e32 v0, v2, v0
	s_delay_alu instid0(VALU_DEP_1) | instskip(SKIP_1) | instid1(VALU_DEP_2)
	v_mbcnt_lo_u32_b32 v51, v0, 0
	v_cmp_ne_u32_e64 s15, 0, v0
	v_cmp_eq_u32_e32 vcc_lo, 0, v51
	s_delay_alu instid0(VALU_DEP_2) | instskip(NEXT) | instid1(SALU_CYCLE_1)
	s_and_b32 s22, s15, vcc_lo
	s_and_saveexec_b32 s15, s22
	s_cbranch_execz .LBB109_12
; %bb.11:                               ;   in Loop: Header=BB109_4 Depth=2
	s_waitcnt lgkmcnt(0)
	v_bcnt_u32_b32 v0, v0, v50
	ds_store_b32 v52, v0
.LBB109_12:                             ;   in Loop: Header=BB109_4 Depth=2
	s_or_b32 exec_lo, exec_lo, s15
	; wave barrier
	s_waitcnt lgkmcnt(0)
	s_barrier
	buffer_gl0_inv
	ds_load_2addr_b64 v[4:7], v41 offset0:2 offset1:3
	ds_load_2addr_b64 v[0:3], v42 offset0:2 offset1:3
	s_waitcnt lgkmcnt(1)
	v_add_nc_u32_e32 v53, v5, v4
	s_delay_alu instid0(VALU_DEP_1) | instskip(SKIP_1) | instid1(VALU_DEP_1)
	v_add3_u32 v53, v53, v6, v7
	s_waitcnt lgkmcnt(0)
	v_add3_u32 v53, v53, v0, v1
	s_delay_alu instid0(VALU_DEP_1) | instskip(NEXT) | instid1(VALU_DEP_1)
	v_add3_u32 v3, v53, v2, v3
	v_mov_b32_dpp v53, v3 row_shr:1 row_mask:0xf bank_mask:0xf
	s_delay_alu instid0(VALU_DEP_1) | instskip(NEXT) | instid1(VALU_DEP_1)
	v_cndmask_b32_e64 v53, v53, 0, s5
	v_add_nc_u32_e32 v3, v53, v3
	s_delay_alu instid0(VALU_DEP_1) | instskip(NEXT) | instid1(VALU_DEP_1)
	v_mov_b32_dpp v53, v3 row_shr:2 row_mask:0xf bank_mask:0xf
	v_cndmask_b32_e64 v53, 0, v53, s6
	s_delay_alu instid0(VALU_DEP_1) | instskip(NEXT) | instid1(VALU_DEP_1)
	v_add_nc_u32_e32 v3, v3, v53
	v_mov_b32_dpp v53, v3 row_shr:4 row_mask:0xf bank_mask:0xf
	s_delay_alu instid0(VALU_DEP_1) | instskip(NEXT) | instid1(VALU_DEP_1)
	v_cndmask_b32_e64 v53, 0, v53, s7
	v_add_nc_u32_e32 v3, v3, v53
	s_delay_alu instid0(VALU_DEP_1) | instskip(NEXT) | instid1(VALU_DEP_1)
	v_mov_b32_dpp v53, v3 row_shr:8 row_mask:0xf bank_mask:0xf
	v_cndmask_b32_e64 v53, 0, v53, s8
	s_delay_alu instid0(VALU_DEP_1) | instskip(SKIP_3) | instid1(VALU_DEP_1)
	v_add_nc_u32_e32 v3, v3, v53
	ds_swizzle_b32 v53, v3 offset:swizzle(BROADCAST,32,15)
	s_waitcnt lgkmcnt(0)
	v_cndmask_b32_e64 v53, v53, 0, s9
	v_add_nc_u32_e32 v3, v3, v53
	s_and_saveexec_b32 s15, s14
	s_cbranch_execz .LBB109_14
; %bb.13:                               ;   in Loop: Header=BB109_4 Depth=2
	ds_store_b32 v43, v3
.LBB109_14:                             ;   in Loop: Header=BB109_4 Depth=2
	s_or_b32 exec_lo, exec_lo, s15
	s_waitcnt lgkmcnt(0)
	s_barrier
	buffer_gl0_inv
	s_and_saveexec_b32 s15, s10
	s_cbranch_execz .LBB109_16
; %bb.15:                               ;   in Loop: Header=BB109_4 Depth=2
	ds_load_b32 v53, v44
	s_waitcnt lgkmcnt(0)
	v_mov_b32_dpp v54, v53 row_shr:1 row_mask:0xf bank_mask:0xf
	s_delay_alu instid0(VALU_DEP_1) | instskip(NEXT) | instid1(VALU_DEP_1)
	v_cndmask_b32_e64 v54, v54, 0, s4
	v_add_nc_u32_e32 v53, v54, v53
	s_delay_alu instid0(VALU_DEP_1) | instskip(NEXT) | instid1(VALU_DEP_1)
	v_mov_b32_dpp v54, v53 row_shr:2 row_mask:0xf bank_mask:0xf
	v_cndmask_b32_e64 v54, 0, v54, s13
	s_delay_alu instid0(VALU_DEP_1)
	v_add_nc_u32_e32 v53, v53, v54
	ds_store_b32 v44, v53
.LBB109_16:                             ;   in Loop: Header=BB109_4 Depth=2
	s_or_b32 exec_lo, exec_lo, s15
	v_mov_b32_e32 v53, 0
	s_waitcnt lgkmcnt(0)
	s_barrier
	buffer_gl0_inv
	s_and_saveexec_b32 s15, s11
	s_cbranch_execz .LBB109_18
; %bb.17:                               ;   in Loop: Header=BB109_4 Depth=2
	ds_load_b32 v53, v46
.LBB109_18:                             ;   in Loop: Header=BB109_4 Depth=2
	s_or_b32 exec_lo, exec_lo, s15
	s_waitcnt lgkmcnt(0)
	v_add_nc_u32_e32 v3, v53, v3
	s_cmp_gt_u32 s16, 55
	ds_bpermute_b32 v3, v45, v3
	s_waitcnt lgkmcnt(0)
	v_cndmask_b32_e64 v3, v3, v53, s0
	s_delay_alu instid0(VALU_DEP_1) | instskip(NEXT) | instid1(VALU_DEP_1)
	v_cndmask_b32_e64 v3, v3, 0, s12
	v_add_nc_u32_e32 v4, v3, v4
	s_delay_alu instid0(VALU_DEP_1) | instskip(NEXT) | instid1(VALU_DEP_1)
	v_add_nc_u32_e32 v5, v4, v5
	v_add_nc_u32_e32 v6, v5, v6
	s_delay_alu instid0(VALU_DEP_1) | instskip(NEXT) | instid1(VALU_DEP_1)
	v_add_nc_u32_e32 v53, v6, v7
	;; [unrolled: 3-line block ×3, first 2 shown]
	v_add_nc_u32_e32 v1, v0, v2
	ds_store_2addr_b64 v41, v[3:4], v[5:6] offset0:2 offset1:3
	ds_store_2addr_b64 v42, v[53:54], v[0:1] offset0:2 offset1:3
	s_waitcnt lgkmcnt(0)
	s_barrier
	buffer_gl0_inv
	ds_load_b32 v0, v9
	ds_load_b32 v1, v12
	;; [unrolled: 1-line block ×4, first 2 shown]
	s_waitcnt lgkmcnt(3)
	v_add_nc_u32_e32 v54, v0, v8
	s_waitcnt lgkmcnt(2)
	v_add3_u32 v53, v11, v10, v1
	s_waitcnt lgkmcnt(1)
	v_add3_u32 v52, v14, v13, v2
	;; [unrolled: 2-line block ×3, first 2 shown]
	s_cbranch_scc0 .LBB109_3
; %bb.19:                               ;   in Loop: Header=BB109_2 Depth=1
                                        ; implicit-def: $vgpr6_vgpr7
                                        ; implicit-def: $vgpr2_vgpr3
                                        ; implicit-def: $vgpr8_vgpr9
                                        ; implicit-def: $vgpr12_vgpr13
                                        ; implicit-def: $sgpr16_sgpr17
	s_branch .LBB109_1
.LBB109_20:
	s_waitcnt lgkmcnt(1)
	v_add_co_u32 v0, vcc_lo, v14, v6
	v_add_co_ci_u32_e32 v1, vcc_lo, v15, v7, vcc_lo
	v_add_co_u32 v6, vcc_lo, v16, v8
	v_add_co_ci_u32_e32 v7, vcc_lo, v17, v9, vcc_lo
	s_waitcnt lgkmcnt(0)
	v_add_co_u32 v2, vcc_lo, v10, v2
	v_add_co_ci_u32_e32 v3, vcc_lo, v11, v3, vcc_lo
	v_lshlrev_b32_e32 v8, 3, v18
	v_add_co_u32 v4, vcc_lo, v12, v4
	s_add_u32 s0, s18, s20
	v_add_co_ci_u32_e32 v5, vcc_lo, v13, v5, vcc_lo
	s_addc_u32 s1, s19, s21
	s_clause 0x3
	global_store_b64 v8, v[0:1], s[0:1]
	global_store_b64 v8, v[6:7], s[0:1] offset:1024
	global_store_b64 v8, v[2:3], s[0:1] offset:2048
	;; [unrolled: 1-line block ×3, first 2 shown]
	s_nop 0
	s_sendmsg sendmsg(MSG_DEALLOC_VGPRS)
	s_endpgm
	.section	.rodata,"a",@progbits
	.p2align	6, 0x0
	.amdhsa_kernel _Z17sort_pairs_kernelI22helper_blocked_blockedxLj128ELj4ELj10EEvPKT0_PS1_
		.amdhsa_group_segment_fixed_size 4112
		.amdhsa_private_segment_fixed_size 0
		.amdhsa_kernarg_size 272
		.amdhsa_user_sgpr_count 15
		.amdhsa_user_sgpr_dispatch_ptr 0
		.amdhsa_user_sgpr_queue_ptr 0
		.amdhsa_user_sgpr_kernarg_segment_ptr 1
		.amdhsa_user_sgpr_dispatch_id 0
		.amdhsa_user_sgpr_private_segment_size 0
		.amdhsa_wavefront_size32 1
		.amdhsa_uses_dynamic_stack 0
		.amdhsa_enable_private_segment 0
		.amdhsa_system_sgpr_workgroup_id_x 1
		.amdhsa_system_sgpr_workgroup_id_y 0
		.amdhsa_system_sgpr_workgroup_id_z 0
		.amdhsa_system_sgpr_workgroup_info 0
		.amdhsa_system_vgpr_workitem_id 2
		.amdhsa_next_free_vgpr 57
		.amdhsa_next_free_sgpr 24
		.amdhsa_reserve_vcc 1
		.amdhsa_float_round_mode_32 0
		.amdhsa_float_round_mode_16_64 0
		.amdhsa_float_denorm_mode_32 3
		.amdhsa_float_denorm_mode_16_64 3
		.amdhsa_dx10_clamp 1
		.amdhsa_ieee_mode 1
		.amdhsa_fp16_overflow 0
		.amdhsa_workgroup_processor_mode 1
		.amdhsa_memory_ordered 1
		.amdhsa_forward_progress 0
		.amdhsa_shared_vgpr_count 0
		.amdhsa_exception_fp_ieee_invalid_op 0
		.amdhsa_exception_fp_denorm_src 0
		.amdhsa_exception_fp_ieee_div_zero 0
		.amdhsa_exception_fp_ieee_overflow 0
		.amdhsa_exception_fp_ieee_underflow 0
		.amdhsa_exception_fp_ieee_inexact 0
		.amdhsa_exception_int_div_zero 0
	.end_amdhsa_kernel
	.section	.text._Z17sort_pairs_kernelI22helper_blocked_blockedxLj128ELj4ELj10EEvPKT0_PS1_,"axG",@progbits,_Z17sort_pairs_kernelI22helper_blocked_blockedxLj128ELj4ELj10EEvPKT0_PS1_,comdat
.Lfunc_end109:
	.size	_Z17sort_pairs_kernelI22helper_blocked_blockedxLj128ELj4ELj10EEvPKT0_PS1_, .Lfunc_end109-_Z17sort_pairs_kernelI22helper_blocked_blockedxLj128ELj4ELj10EEvPKT0_PS1_
                                        ; -- End function
	.section	.AMDGPU.csdata,"",@progbits
; Kernel info:
; codeLenInByte = 4084
; NumSgprs: 26
; NumVgprs: 57
; ScratchSize: 0
; MemoryBound: 0
; FloatMode: 240
; IeeeMode: 1
; LDSByteSize: 4112 bytes/workgroup (compile time only)
; SGPRBlocks: 3
; VGPRBlocks: 7
; NumSGPRsForWavesPerEU: 26
; NumVGPRsForWavesPerEU: 57
; Occupancy: 16
; WaveLimiterHint : 1
; COMPUTE_PGM_RSRC2:SCRATCH_EN: 0
; COMPUTE_PGM_RSRC2:USER_SGPR: 15
; COMPUTE_PGM_RSRC2:TRAP_HANDLER: 0
; COMPUTE_PGM_RSRC2:TGID_X_EN: 1
; COMPUTE_PGM_RSRC2:TGID_Y_EN: 0
; COMPUTE_PGM_RSRC2:TGID_Z_EN: 0
; COMPUTE_PGM_RSRC2:TIDIG_COMP_CNT: 2
	.section	.text._Z16sort_keys_kernelI22helper_blocked_blockedxLj128ELj8ELj10EEvPKT0_PS1_,"axG",@progbits,_Z16sort_keys_kernelI22helper_blocked_blockedxLj128ELj8ELj10EEvPKT0_PS1_,comdat
	.protected	_Z16sort_keys_kernelI22helper_blocked_blockedxLj128ELj8ELj10EEvPKT0_PS1_ ; -- Begin function _Z16sort_keys_kernelI22helper_blocked_blockedxLj128ELj8ELj10EEvPKT0_PS1_
	.globl	_Z16sort_keys_kernelI22helper_blocked_blockedxLj128ELj8ELj10EEvPKT0_PS1_
	.p2align	8
	.type	_Z16sort_keys_kernelI22helper_blocked_blockedxLj128ELj8ELj10EEvPKT0_PS1_,@function
_Z16sort_keys_kernelI22helper_blocked_blockedxLj128ELj8ELj10EEvPKT0_PS1_: ; @_Z16sort_keys_kernelI22helper_blocked_blockedxLj128ELj8ELj10EEvPKT0_PS1_
; %bb.0:
	s_clause 0x1
	s_load_b128 s[16:19], s[0:1], 0x0
	s_load_b32 s2, s[0:1], 0x1c
	v_mbcnt_lo_u32_b32 v21, -1, 0
	v_and_b32_e32 v17, 0x3ff, v0
	s_mov_b32 s21, 0
	s_lshl_b32 s20, s15, 10
	v_bfe_u32 v18, v0, 10, 10
	s_lshl_b64 s[14:15], s[20:21], 3
	v_lshlrev_b32_e32 v20, 3, v17
	v_bfe_u32 v0, v0, 20, 10
	v_cmp_eq_u32_e64 s8, 0, v21
	s_mov_b32 s20, s21
	s_mov_b32 s13, s21
	s_waitcnt lgkmcnt(0)
	s_add_u32 s0, s16, s14
	s_addc_u32 s1, s17, s15
	v_add_co_u32 v1, s3, s0, v20
	s_delay_alu instid0(VALU_DEP_1) | instskip(SKIP_1) | instid1(VALU_DEP_2)
	v_add_co_ci_u32_e64 v2, null, s1, 0, s3
	s_mov_b32 s16, s21
	v_add_co_u32 v3, vcc_lo, 0x1000, v1
	s_delay_alu instid0(VALU_DEP_2)
	v_add_co_ci_u32_e32 v4, vcc_lo, 0, v2, vcc_lo
	s_clause 0x7
	global_load_b64 v[13:14], v20, s[0:1]
	global_load_b64 v[15:16], v20, s[0:1] offset:1024
	global_load_b64 v[9:10], v20, s[0:1] offset:2048
	;; [unrolled: 1-line block ×3, first 2 shown]
	global_load_b64 v[5:6], v[3:4], off
	global_load_b64 v[7:8], v[3:4], off offset:1024
	global_load_b64 v[1:2], v[3:4], off offset:2048
	global_load_b64 v[3:4], v[3:4], off offset:3072
	s_lshr_b32 s0, s2, 16
	s_mov_b32 s17, s21
	v_mad_u32_u24 v0, v0, s0, v18
	s_and_b32 s0, s2, 0xffff
	s_delay_alu instid0(VALU_DEP_1) | instid1(SALU_CYCLE_1)
	v_mad_u64_u32 v[18:19], null, v0, s0, v[17:18]
	v_and_or_b32 v0, 0x300, v20, v21
	v_and_b32_e32 v19, 15, v21
	s_delay_alu instid0(VALU_DEP_2) | instskip(NEXT) | instid1(VALU_DEP_4)
	v_lshlrev_b32_e32 v36, 3, v0
	v_lshrrev_b32_e32 v38, 5, v18
	v_add_nc_u32_e32 v18, -1, v21
	v_and_b32_e32 v0, 16, v21
	v_cmp_eq_u32_e64 s0, 0, v19
	v_cmp_lt_u32_e64 s1, 1, v19
	v_cmp_lt_u32_e64 s2, 3, v19
	v_cmp_gt_i32_e32 vcc_lo, 0, v18
	v_cmp_eq_u32_e64 s4, 0, v0
	v_cmp_lt_u32_e64 s3, 7, v19
	v_cndmask_b32_e32 v0, v18, v21, vcc_lo
	v_and_b32_e32 v22, 0x60, v17
	v_lshlrev_b32_e32 v34, 5, v17
	v_lshrrev_b32_e32 v18, 3, v17
	v_cmp_gt_u32_e64 s6, 4, v17
	v_lshlrev_b32_e32 v39, 2, v0
	v_or_b32_e32 v23, v21, v22
	v_or_b32_e32 v20, 31, v22
	v_and_b32_e32 v0, 3, v21
	v_and_b32_e32 v40, 12, v18
	v_mad_i32_i24 v41, 0xffffffe4, v17, v34
	v_mul_u32_u24_e32 v18, 60, v17
	v_lshlrev_b32_e32 v35, 6, v23
	v_or_b32_e32 v37, 16, v34
	v_cmp_eq_u32_e64 s5, v20, v17
	v_cmp_lt_u32_e64 s7, 31, v17
	v_cmp_eq_u32_e64 s9, 0, v17
	v_cmp_eq_u32_e64 s10, 0, v0
	v_cmp_lt_u32_e64 s11, 1, v0
	v_add_nc_u32_e32 v42, -4, v40
	v_add_nc_u32_e32 v43, v41, v18
	s_branch .LBB110_2
.LBB110_1:                              ;   in Loop: Header=BB110_2 Depth=1
	v_lshlrev_b32_e32 v0, 3, v57
	v_lshlrev_b32_e32 v1, 3, v54
	;; [unrolled: 1-line block ×3, first 2 shown]
	s_barrier
	buffer_gl0_inv
	ds_store_b64 v0, v[18:19]
	ds_store_b64 v1, v[32:33]
	;; [unrolled: 1-line block ×3, first 2 shown]
	v_lshlrev_b32_e32 v0, 3, v48
	v_lshlrev_b32_e32 v1, 3, v46
	v_lshlrev_b32_e32 v2, 3, v45
	v_lshlrev_b32_e32 v3, 3, v44
	v_lshlrev_b32_e32 v4, 3, v16
	ds_store_b64 v0, v[28:29]
	ds_store_b64 v1, v[26:27]
	;; [unrolled: 1-line block ×5, first 2 shown]
	s_waitcnt lgkmcnt(0)
	s_barrier
	buffer_gl0_inv
	ds_load_2addr_b64 v[13:16], v43 offset1:1
	ds_load_2addr_b64 v[9:12], v43 offset0:2 offset1:3
	ds_load_2addr_b64 v[5:8], v43 offset0:4 offset1:5
	;; [unrolled: 1-line block ×3, first 2 shown]
	s_add_i32 s13, s13, 1
	s_delay_alu instid0(SALU_CYCLE_1)
	s_cmp_eq_u32 s13, 10
	s_waitcnt lgkmcnt(3)
	v_xor_b32_e32 v14, 0x80000000, v14
	v_xor_b32_e32 v16, 0x80000000, v16
	s_waitcnt lgkmcnt(2)
	v_xor_b32_e32 v10, 0x80000000, v10
	v_xor_b32_e32 v12, 0x80000000, v12
	;; [unrolled: 3-line block ×4, first 2 shown]
	s_cbranch_scc1 .LBB110_28
.LBB110_2:                              ; =>This Loop Header: Depth=1
                                        ;     Child Loop BB110_4 Depth 2
	s_waitcnt vmcnt(7)
	v_xor_b32_e32 v14, 0x80000000, v14
	s_waitcnt vmcnt(6)
	v_xor_b32_e32 v16, 0x80000000, v16
	;; [unrolled: 2-line block ×8, first 2 shown]
	ds_store_2addr_b64 v35, v[13:14], v[15:16] offset1:1
	ds_store_2addr_b64 v35, v[9:10], v[11:12] offset0:2 offset1:3
	ds_store_2addr_b64 v35, v[5:6], v[7:8] offset0:4 offset1:5
	;; [unrolled: 1-line block ×3, first 2 shown]
	; wave barrier
	ds_load_2addr_b64 v[0:3], v36 offset1:32
	ds_load_2addr_b64 v[4:7], v36 offset0:64 offset1:96
	ds_load_2addr_b64 v[8:11], v36 offset0:128 offset1:160
	;; [unrolled: 1-line block ×3, first 2 shown]
	s_mov_b64 s[22:23], 0
	s_waitcnt lgkmcnt(0)
	s_barrier
	buffer_gl0_inv
	; wave barrier
	s_barrier
	s_branch .LBB110_4
.LBB110_3:                              ;   in Loop: Header=BB110_4 Depth=2
	v_lshlrev_b32_e32 v0, 3, v57
	v_lshlrev_b32_e32 v1, 3, v54
	;; [unrolled: 1-line block ×3, first 2 shown]
	s_barrier
	buffer_gl0_inv
	ds_store_b64 v0, v[18:19]
	ds_store_b64 v1, v[32:33]
	;; [unrolled: 1-line block ×3, first 2 shown]
	v_lshlrev_b32_e32 v0, 3, v48
	v_lshlrev_b32_e32 v1, 3, v46
	v_lshlrev_b32_e32 v2, 3, v45
	v_lshlrev_b32_e32 v3, 3, v44
	v_lshlrev_b32_e32 v4, 3, v16
	ds_store_b64 v0, v[28:29]
	ds_store_b64 v1, v[26:27]
	;; [unrolled: 1-line block ×5, first 2 shown]
	s_waitcnt lgkmcnt(0)
	s_barrier
	buffer_gl0_inv
	ds_load_2addr_b64 v[0:3], v36 offset1:32
	ds_load_2addr_b64 v[4:7], v36 offset0:64 offset1:96
	ds_load_2addr_b64 v[8:11], v36 offset0:128 offset1:160
	ds_load_2addr_b64 v[12:15], v36 offset0:192 offset1:224
	s_add_u32 s22, s22, 8
	s_addc_u32 s23, s23, 0
	s_waitcnt lgkmcnt(0)
	s_barrier
	s_cbranch_execz .LBB110_1
.LBB110_4:                              ;   Parent Loop BB110_2 Depth=1
                                        ; =>  This Inner Loop Header: Depth=2
	v_dual_mov_b32 v19, v1 :: v_dual_mov_b32 v18, v0
	buffer_gl0_inv
	v_mov_b32_e32 v27, v9
	v_dual_mov_b32 v29, v7 :: v_dual_mov_b32 v28, v6
	v_lshrrev_b64 v[44:45], s22, v[18:19]
	v_mov_b32_e32 v6, s16
	v_dual_mov_b32 v26, v8 :: v_dual_mov_b32 v31, v5
	v_mov_b32_e32 v30, v4
	v_mov_b32_e32 v4, s20
	v_and_b32_e32 v0, 1, v44
	v_lshlrev_b32_e32 v1, 30, v44
	v_lshlrev_b32_e32 v16, 29, v44
	;; [unrolled: 1-line block ×4, first 2 shown]
	v_add_co_u32 v0, s12, v0, -1
	s_delay_alu instid0(VALU_DEP_1)
	v_cndmask_b32_e64 v21, 0, 1, s12
	v_not_b32_e32 v25, v1
	v_cmp_gt_i32_e64 s12, 0, v1
	v_not_b32_e32 v1, v16
	v_lshlrev_b32_e32 v23, 26, v44
	v_cmp_ne_u32_e32 vcc_lo, 0, v21
	v_ashrrev_i32_e32 v25, 31, v25
	v_lshlrev_b32_e32 v24, 25, v44
	v_ashrrev_i32_e32 v1, 31, v1
	v_lshlrev_b32_e32 v21, 24, v44
	v_xor_b32_e32 v0, vcc_lo, v0
	v_cmp_gt_i32_e32 vcc_lo, 0, v16
	v_not_b32_e32 v16, v20
	v_xor_b32_e32 v25, s12, v25
	v_cmp_gt_i32_e64 s12, 0, v20
	v_and_b32_e32 v0, exec_lo, v0
	v_not_b32_e32 v20, v22
	v_ashrrev_i32_e32 v16, 31, v16
	v_xor_b32_e32 v1, vcc_lo, v1
	v_cmp_gt_i32_e32 vcc_lo, 0, v22
	v_dual_mov_b32 v5, s21 :: v_dual_and_b32 v0, v0, v25
	v_not_b32_e32 v22, v23
	v_ashrrev_i32_e32 v20, 31, v20
	v_xor_b32_e32 v16, s12, v16
	s_delay_alu instid0(VALU_DEP_4)
	v_dual_mov_b32 v7, s17 :: v_dual_and_b32 v0, v0, v1
	v_cmp_gt_i32_e64 s12, 0, v23
	v_not_b32_e32 v1, v24
	v_ashrrev_i32_e32 v22, 31, v22
	v_xor_b32_e32 v20, vcc_lo, v20
	v_dual_mov_b32 v33, v3 :: v_dual_and_b32 v0, v0, v16
	v_cmp_gt_i32_e32 vcc_lo, 0, v24
	v_mov_b32_e32 v25, v11
	v_ashrrev_i32_e32 v1, 31, v1
	v_xor_b32_e32 v22, s12, v22
	v_and_b32_e32 v0, v0, v20
	v_mov_b32_e32 v24, v10
	v_not_b32_e32 v16, v21
	v_cmp_gt_i32_e64 s12, 0, v21
	v_xor_b32_e32 v1, vcc_lo, v1
	v_dual_mov_b32 v21, v15 :: v_dual_and_b32 v0, v0, v22
	s_delay_alu instid0(VALU_DEP_4) | instskip(SKIP_1) | instid1(VALU_DEP_3)
	v_ashrrev_i32_e32 v16, 31, v16
	v_dual_mov_b32 v23, v13 :: v_dual_mov_b32 v20, v14
	v_and_b32_e32 v0, v0, v1
	v_and_b32_e32 v1, 0xff, v44
	s_delay_alu instid0(VALU_DEP_4)
	v_xor_b32_e32 v10, s12, v16
	v_mov_b32_e32 v22, v12
	v_mov_b32_e32 v32, v2
	ds_store_2addr_b64 v34, v[4:5], v[6:7] offset0:2 offset1:3
	ds_store_2addr_b64 v37, v[4:5], v[6:7] offset0:2 offset1:3
	v_lshl_add_u32 v1, v1, 2, v38
	v_and_b32_e32 v0, v0, v10
	s_waitcnt lgkmcnt(0)
	s_barrier
	buffer_gl0_inv
	v_lshl_add_u32 v9, v1, 2, 16
	v_mbcnt_lo_u32_b32 v8, v0, 0
	v_cmp_ne_u32_e64 s12, 0, v0
	; wave barrier
	s_delay_alu instid0(VALU_DEP_2) | instskip(NEXT) | instid1(VALU_DEP_2)
	v_cmp_eq_u32_e32 vcc_lo, 0, v8
	s_and_b32 s24, s12, vcc_lo
	s_delay_alu instid0(SALU_CYCLE_1)
	s_and_saveexec_b32 s12, s24
	s_cbranch_execz .LBB110_6
; %bb.5:                                ;   in Loop: Header=BB110_4 Depth=2
	v_bcnt_u32_b32 v0, v0, 0
	ds_store_b32 v9, v0
.LBB110_6:                              ;   in Loop: Header=BB110_4 Depth=2
	s_or_b32 exec_lo, exec_lo, s12
	v_lshrrev_b64 v[0:1], s22, v[32:33]
	; wave barrier
	s_delay_alu instid0(VALU_DEP_1)
	v_and_b32_e32 v2, 1, v0
	v_lshlrev_b32_e32 v3, 30, v0
	v_lshlrev_b32_e32 v4, 29, v0
	;; [unrolled: 1-line block ×4, first 2 shown]
	v_add_co_u32 v2, s12, v2, -1
	s_delay_alu instid0(VALU_DEP_1)
	v_cndmask_b32_e64 v6, 0, 1, s12
	v_not_b32_e32 v12, v3
	v_cmp_gt_i32_e64 s12, 0, v3
	v_not_b32_e32 v3, v4
	v_lshlrev_b32_e32 v10, 26, v0
	v_cmp_ne_u32_e32 vcc_lo, 0, v6
	v_ashrrev_i32_e32 v6, 31, v12
	v_lshlrev_b32_e32 v11, 25, v0
	v_ashrrev_i32_e32 v3, 31, v3
	v_and_b32_e32 v1, 0xff, v0
	v_xor_b32_e32 v2, vcc_lo, v2
	v_cmp_gt_i32_e32 vcc_lo, 0, v4
	v_not_b32_e32 v4, v5
	v_xor_b32_e32 v6, s12, v6
	v_cmp_gt_i32_e64 s12, 0, v5
	v_and_b32_e32 v2, exec_lo, v2
	v_not_b32_e32 v5, v7
	v_ashrrev_i32_e32 v4, 31, v4
	v_xor_b32_e32 v3, vcc_lo, v3
	v_cmp_gt_i32_e32 vcc_lo, 0, v7
	v_and_b32_e32 v2, v2, v6
	v_not_b32_e32 v6, v10
	v_ashrrev_i32_e32 v5, 31, v5
	v_xor_b32_e32 v4, s12, v4
	v_lshlrev_b32_e32 v0, 24, v0
	v_and_b32_e32 v2, v2, v3
	v_cmp_gt_i32_e64 s12, 0, v10
	v_not_b32_e32 v3, v11
	v_ashrrev_i32_e32 v6, 31, v6
	v_xor_b32_e32 v5, vcc_lo, v5
	v_and_b32_e32 v2, v2, v4
	v_cmp_gt_i32_e32 vcc_lo, 0, v11
	v_not_b32_e32 v4, v0
	v_ashrrev_i32_e32 v3, 31, v3
	v_xor_b32_e32 v6, s12, v6
	v_and_b32_e32 v2, v2, v5
	v_lshlrev_b32_e32 v1, 2, v1
	v_cmp_gt_i32_e64 s12, 0, v0
	v_ashrrev_i32_e32 v0, 31, v4
	v_xor_b32_e32 v3, vcc_lo, v3
	v_and_b32_e32 v2, v2, v6
	v_add_lshl_u32 v1, v1, v38, 2
	s_delay_alu instid0(VALU_DEP_4) | instskip(NEXT) | instid1(VALU_DEP_3)
	v_xor_b32_e32 v0, s12, v0
	v_and_b32_e32 v2, v2, v3
	ds_load_b32 v10, v1 offset:16
	v_add_nc_u32_e32 v12, 16, v1
	; wave barrier
	v_and_b32_e32 v0, v2, v0
	s_delay_alu instid0(VALU_DEP_1) | instskip(SKIP_1) | instid1(VALU_DEP_2)
	v_mbcnt_lo_u32_b32 v11, v0, 0
	v_cmp_ne_u32_e64 s12, 0, v0
	v_cmp_eq_u32_e32 vcc_lo, 0, v11
	s_delay_alu instid0(VALU_DEP_2) | instskip(NEXT) | instid1(SALU_CYCLE_1)
	s_and_b32 s24, s12, vcc_lo
	s_and_saveexec_b32 s12, s24
	s_cbranch_execz .LBB110_8
; %bb.7:                                ;   in Loop: Header=BB110_4 Depth=2
	s_waitcnt lgkmcnt(0)
	v_bcnt_u32_b32 v0, v0, v10
	ds_store_b32 v12, v0
.LBB110_8:                              ;   in Loop: Header=BB110_4 Depth=2
	s_or_b32 exec_lo, exec_lo, s12
	v_lshrrev_b64 v[0:1], s22, v[30:31]
	; wave barrier
	s_delay_alu instid0(VALU_DEP_1)
	v_and_b32_e32 v2, 1, v0
	v_lshlrev_b32_e32 v3, 30, v0
	v_lshlrev_b32_e32 v4, 29, v0
	v_lshlrev_b32_e32 v5, 28, v0
	v_lshlrev_b32_e32 v7, 27, v0
	v_add_co_u32 v2, s12, v2, -1
	s_delay_alu instid0(VALU_DEP_1)
	v_cndmask_b32_e64 v6, 0, 1, s12
	v_not_b32_e32 v15, v3
	v_cmp_gt_i32_e64 s12, 0, v3
	v_not_b32_e32 v3, v4
	v_lshlrev_b32_e32 v13, 26, v0
	v_cmp_ne_u32_e32 vcc_lo, 0, v6
	v_ashrrev_i32_e32 v6, 31, v15
	v_lshlrev_b32_e32 v14, 25, v0
	v_ashrrev_i32_e32 v3, 31, v3
	v_and_b32_e32 v1, 0xff, v0
	v_xor_b32_e32 v2, vcc_lo, v2
	v_cmp_gt_i32_e32 vcc_lo, 0, v4
	v_not_b32_e32 v4, v5
	v_xor_b32_e32 v6, s12, v6
	v_cmp_gt_i32_e64 s12, 0, v5
	v_and_b32_e32 v2, exec_lo, v2
	v_not_b32_e32 v5, v7
	v_ashrrev_i32_e32 v4, 31, v4
	v_xor_b32_e32 v3, vcc_lo, v3
	v_cmp_gt_i32_e32 vcc_lo, 0, v7
	v_and_b32_e32 v2, v2, v6
	v_not_b32_e32 v6, v13
	v_ashrrev_i32_e32 v5, 31, v5
	v_xor_b32_e32 v4, s12, v4
	v_lshlrev_b32_e32 v0, 24, v0
	v_and_b32_e32 v2, v2, v3
	v_cmp_gt_i32_e64 s12, 0, v13
	v_not_b32_e32 v3, v14
	v_ashrrev_i32_e32 v6, 31, v6
	v_xor_b32_e32 v5, vcc_lo, v5
	v_and_b32_e32 v2, v2, v4
	v_cmp_gt_i32_e32 vcc_lo, 0, v14
	v_not_b32_e32 v4, v0
	v_ashrrev_i32_e32 v3, 31, v3
	v_xor_b32_e32 v6, s12, v6
	v_and_b32_e32 v2, v2, v5
	v_lshlrev_b32_e32 v1, 2, v1
	v_cmp_gt_i32_e64 s12, 0, v0
	v_ashrrev_i32_e32 v0, 31, v4
	v_xor_b32_e32 v3, vcc_lo, v3
	v_and_b32_e32 v2, v2, v6
	v_add_lshl_u32 v1, v1, v38, 2
	s_delay_alu instid0(VALU_DEP_4) | instskip(NEXT) | instid1(VALU_DEP_3)
	v_xor_b32_e32 v0, s12, v0
	v_and_b32_e32 v2, v2, v3
	ds_load_b32 v13, v1 offset:16
	v_add_nc_u32_e32 v15, 16, v1
	; wave barrier
	v_and_b32_e32 v0, v2, v0
	s_delay_alu instid0(VALU_DEP_1) | instskip(SKIP_1) | instid1(VALU_DEP_2)
	v_mbcnt_lo_u32_b32 v14, v0, 0
	v_cmp_ne_u32_e64 s12, 0, v0
	v_cmp_eq_u32_e32 vcc_lo, 0, v14
	s_delay_alu instid0(VALU_DEP_2) | instskip(NEXT) | instid1(SALU_CYCLE_1)
	s_and_b32 s24, s12, vcc_lo
	s_and_saveexec_b32 s12, s24
	s_cbranch_execz .LBB110_10
; %bb.9:                                ;   in Loop: Header=BB110_4 Depth=2
	s_waitcnt lgkmcnt(0)
	v_bcnt_u32_b32 v0, v0, v13
	ds_store_b32 v15, v0
.LBB110_10:                             ;   in Loop: Header=BB110_4 Depth=2
	s_or_b32 exec_lo, exec_lo, s12
	v_lshrrev_b64 v[0:1], s22, v[28:29]
	; wave barrier
	s_delay_alu instid0(VALU_DEP_1)
	v_and_b32_e32 v2, 1, v0
	v_lshlrev_b32_e32 v3, 30, v0
	v_lshlrev_b32_e32 v4, 29, v0
	;; [unrolled: 1-line block ×4, first 2 shown]
	v_add_co_u32 v2, s12, v2, -1
	s_delay_alu instid0(VALU_DEP_1)
	v_cndmask_b32_e64 v6, 0, 1, s12
	v_not_b32_e32 v45, v3
	v_cmp_gt_i32_e64 s12, 0, v3
	v_not_b32_e32 v3, v4
	v_lshlrev_b32_e32 v16, 26, v0
	v_cmp_ne_u32_e32 vcc_lo, 0, v6
	v_ashrrev_i32_e32 v6, 31, v45
	v_lshlrev_b32_e32 v44, 25, v0
	v_ashrrev_i32_e32 v3, 31, v3
	v_and_b32_e32 v1, 0xff, v0
	v_xor_b32_e32 v2, vcc_lo, v2
	v_cmp_gt_i32_e32 vcc_lo, 0, v4
	v_not_b32_e32 v4, v5
	v_xor_b32_e32 v6, s12, v6
	v_cmp_gt_i32_e64 s12, 0, v5
	v_and_b32_e32 v2, exec_lo, v2
	v_not_b32_e32 v5, v7
	v_ashrrev_i32_e32 v4, 31, v4
	v_xor_b32_e32 v3, vcc_lo, v3
	v_cmp_gt_i32_e32 vcc_lo, 0, v7
	v_and_b32_e32 v2, v2, v6
	v_not_b32_e32 v6, v16
	v_ashrrev_i32_e32 v5, 31, v5
	v_xor_b32_e32 v4, s12, v4
	v_lshlrev_b32_e32 v0, 24, v0
	v_and_b32_e32 v2, v2, v3
	v_cmp_gt_i32_e64 s12, 0, v16
	v_not_b32_e32 v3, v44
	v_ashrrev_i32_e32 v6, 31, v6
	v_xor_b32_e32 v5, vcc_lo, v5
	v_and_b32_e32 v2, v2, v4
	v_cmp_gt_i32_e32 vcc_lo, 0, v44
	v_not_b32_e32 v4, v0
	v_ashrrev_i32_e32 v3, 31, v3
	v_xor_b32_e32 v6, s12, v6
	v_and_b32_e32 v2, v2, v5
	v_lshlrev_b32_e32 v1, 2, v1
	v_cmp_gt_i32_e64 s12, 0, v0
	v_ashrrev_i32_e32 v0, 31, v4
	v_xor_b32_e32 v3, vcc_lo, v3
	v_and_b32_e32 v2, v2, v6
	v_add_lshl_u32 v1, v1, v38, 2
	s_delay_alu instid0(VALU_DEP_4) | instskip(NEXT) | instid1(VALU_DEP_3)
	v_xor_b32_e32 v0, s12, v0
	v_and_b32_e32 v2, v2, v3
	ds_load_b32 v16, v1 offset:16
	v_add_nc_u32_e32 v45, 16, v1
	; wave barrier
	v_and_b32_e32 v0, v2, v0
	s_delay_alu instid0(VALU_DEP_1) | instskip(SKIP_1) | instid1(VALU_DEP_2)
	v_mbcnt_lo_u32_b32 v44, v0, 0
	v_cmp_ne_u32_e64 s12, 0, v0
	v_cmp_eq_u32_e32 vcc_lo, 0, v44
	s_delay_alu instid0(VALU_DEP_2) | instskip(NEXT) | instid1(SALU_CYCLE_1)
	s_and_b32 s24, s12, vcc_lo
	s_and_saveexec_b32 s12, s24
	s_cbranch_execz .LBB110_12
; %bb.11:                               ;   in Loop: Header=BB110_4 Depth=2
	s_waitcnt lgkmcnt(0)
	v_bcnt_u32_b32 v0, v0, v16
	ds_store_b32 v45, v0
.LBB110_12:                             ;   in Loop: Header=BB110_4 Depth=2
	s_or_b32 exec_lo, exec_lo, s12
	v_lshrrev_b64 v[0:1], s22, v[26:27]
	; wave barrier
	s_delay_alu instid0(VALU_DEP_1)
	v_and_b32_e32 v2, 1, v0
	v_lshlrev_b32_e32 v3, 30, v0
	v_lshlrev_b32_e32 v4, 29, v0
	;; [unrolled: 1-line block ×4, first 2 shown]
	v_add_co_u32 v2, s12, v2, -1
	s_delay_alu instid0(VALU_DEP_1)
	v_cndmask_b32_e64 v6, 0, 1, s12
	v_not_b32_e32 v48, v3
	v_cmp_gt_i32_e64 s12, 0, v3
	v_not_b32_e32 v3, v4
	v_lshlrev_b32_e32 v46, 26, v0
	v_cmp_ne_u32_e32 vcc_lo, 0, v6
	v_ashrrev_i32_e32 v6, 31, v48
	v_lshlrev_b32_e32 v47, 25, v0
	v_ashrrev_i32_e32 v3, 31, v3
	v_and_b32_e32 v1, 0xff, v0
	v_xor_b32_e32 v2, vcc_lo, v2
	v_cmp_gt_i32_e32 vcc_lo, 0, v4
	v_not_b32_e32 v4, v5
	v_xor_b32_e32 v6, s12, v6
	v_cmp_gt_i32_e64 s12, 0, v5
	v_and_b32_e32 v2, exec_lo, v2
	v_not_b32_e32 v5, v7
	v_ashrrev_i32_e32 v4, 31, v4
	v_xor_b32_e32 v3, vcc_lo, v3
	v_cmp_gt_i32_e32 vcc_lo, 0, v7
	v_and_b32_e32 v2, v2, v6
	v_not_b32_e32 v6, v46
	v_ashrrev_i32_e32 v5, 31, v5
	v_xor_b32_e32 v4, s12, v4
	v_lshlrev_b32_e32 v0, 24, v0
	v_and_b32_e32 v2, v2, v3
	v_cmp_gt_i32_e64 s12, 0, v46
	v_not_b32_e32 v3, v47
	v_ashrrev_i32_e32 v6, 31, v6
	v_xor_b32_e32 v5, vcc_lo, v5
	v_and_b32_e32 v2, v2, v4
	v_cmp_gt_i32_e32 vcc_lo, 0, v47
	v_not_b32_e32 v4, v0
	v_ashrrev_i32_e32 v3, 31, v3
	v_xor_b32_e32 v6, s12, v6
	v_and_b32_e32 v2, v2, v5
	v_lshlrev_b32_e32 v1, 2, v1
	v_cmp_gt_i32_e64 s12, 0, v0
	v_ashrrev_i32_e32 v0, 31, v4
	v_xor_b32_e32 v3, vcc_lo, v3
	v_and_b32_e32 v2, v2, v6
	v_add_lshl_u32 v1, v1, v38, 2
	s_delay_alu instid0(VALU_DEP_4) | instskip(NEXT) | instid1(VALU_DEP_3)
	v_xor_b32_e32 v0, s12, v0
	v_and_b32_e32 v2, v2, v3
	ds_load_b32 v46, v1 offset:16
	v_add_nc_u32_e32 v48, 16, v1
	; wave barrier
	v_and_b32_e32 v0, v2, v0
	s_delay_alu instid0(VALU_DEP_1) | instskip(SKIP_1) | instid1(VALU_DEP_2)
	v_mbcnt_lo_u32_b32 v47, v0, 0
	v_cmp_ne_u32_e64 s12, 0, v0
	v_cmp_eq_u32_e32 vcc_lo, 0, v47
	s_delay_alu instid0(VALU_DEP_2) | instskip(NEXT) | instid1(SALU_CYCLE_1)
	s_and_b32 s24, s12, vcc_lo
	s_and_saveexec_b32 s12, s24
	s_cbranch_execz .LBB110_14
; %bb.13:                               ;   in Loop: Header=BB110_4 Depth=2
	s_waitcnt lgkmcnt(0)
	v_bcnt_u32_b32 v0, v0, v46
	ds_store_b32 v48, v0
.LBB110_14:                             ;   in Loop: Header=BB110_4 Depth=2
	s_or_b32 exec_lo, exec_lo, s12
	v_lshrrev_b64 v[0:1], s22, v[24:25]
	; wave barrier
	s_delay_alu instid0(VALU_DEP_1)
	v_and_b32_e32 v2, 1, v0
	v_lshlrev_b32_e32 v3, 30, v0
	v_lshlrev_b32_e32 v4, 29, v0
	;; [unrolled: 1-line block ×4, first 2 shown]
	v_add_co_u32 v2, s12, v2, -1
	s_delay_alu instid0(VALU_DEP_1)
	v_cndmask_b32_e64 v6, 0, 1, s12
	v_not_b32_e32 v51, v3
	v_cmp_gt_i32_e64 s12, 0, v3
	v_not_b32_e32 v3, v4
	v_lshlrev_b32_e32 v49, 26, v0
	v_cmp_ne_u32_e32 vcc_lo, 0, v6
	v_ashrrev_i32_e32 v6, 31, v51
	v_lshlrev_b32_e32 v50, 25, v0
	v_ashrrev_i32_e32 v3, 31, v3
	v_and_b32_e32 v1, 0xff, v0
	v_xor_b32_e32 v2, vcc_lo, v2
	v_cmp_gt_i32_e32 vcc_lo, 0, v4
	v_not_b32_e32 v4, v5
	v_xor_b32_e32 v6, s12, v6
	v_cmp_gt_i32_e64 s12, 0, v5
	v_and_b32_e32 v2, exec_lo, v2
	v_not_b32_e32 v5, v7
	v_ashrrev_i32_e32 v4, 31, v4
	v_xor_b32_e32 v3, vcc_lo, v3
	v_cmp_gt_i32_e32 vcc_lo, 0, v7
	v_and_b32_e32 v2, v2, v6
	v_not_b32_e32 v6, v49
	v_ashrrev_i32_e32 v5, 31, v5
	v_xor_b32_e32 v4, s12, v4
	v_lshlrev_b32_e32 v0, 24, v0
	v_and_b32_e32 v2, v2, v3
	v_cmp_gt_i32_e64 s12, 0, v49
	v_not_b32_e32 v3, v50
	v_ashrrev_i32_e32 v6, 31, v6
	v_xor_b32_e32 v5, vcc_lo, v5
	v_and_b32_e32 v2, v2, v4
	v_cmp_gt_i32_e32 vcc_lo, 0, v50
	v_not_b32_e32 v4, v0
	v_ashrrev_i32_e32 v3, 31, v3
	v_xor_b32_e32 v6, s12, v6
	v_and_b32_e32 v2, v2, v5
	v_lshlrev_b32_e32 v1, 2, v1
	v_cmp_gt_i32_e64 s12, 0, v0
	v_ashrrev_i32_e32 v0, 31, v4
	v_xor_b32_e32 v3, vcc_lo, v3
	v_and_b32_e32 v2, v2, v6
	v_add_lshl_u32 v1, v1, v38, 2
	s_delay_alu instid0(VALU_DEP_4) | instskip(NEXT) | instid1(VALU_DEP_3)
	v_xor_b32_e32 v0, s12, v0
	v_and_b32_e32 v2, v2, v3
	ds_load_b32 v49, v1 offset:16
	v_add_nc_u32_e32 v51, 16, v1
	; wave barrier
	v_and_b32_e32 v0, v2, v0
	s_delay_alu instid0(VALU_DEP_1) | instskip(SKIP_1) | instid1(VALU_DEP_2)
	v_mbcnt_lo_u32_b32 v50, v0, 0
	v_cmp_ne_u32_e64 s12, 0, v0
	v_cmp_eq_u32_e32 vcc_lo, 0, v50
	s_delay_alu instid0(VALU_DEP_2) | instskip(NEXT) | instid1(SALU_CYCLE_1)
	s_and_b32 s24, s12, vcc_lo
	s_and_saveexec_b32 s12, s24
	s_cbranch_execz .LBB110_16
; %bb.15:                               ;   in Loop: Header=BB110_4 Depth=2
	s_waitcnt lgkmcnt(0)
	v_bcnt_u32_b32 v0, v0, v49
	ds_store_b32 v51, v0
.LBB110_16:                             ;   in Loop: Header=BB110_4 Depth=2
	s_or_b32 exec_lo, exec_lo, s12
	v_lshrrev_b64 v[0:1], s22, v[22:23]
	; wave barrier
	s_delay_alu instid0(VALU_DEP_1)
	v_and_b32_e32 v2, 1, v0
	v_lshlrev_b32_e32 v3, 30, v0
	v_lshlrev_b32_e32 v4, 29, v0
	v_lshlrev_b32_e32 v5, 28, v0
	v_lshlrev_b32_e32 v7, 27, v0
	v_add_co_u32 v2, s12, v2, -1
	s_delay_alu instid0(VALU_DEP_1)
	v_cndmask_b32_e64 v6, 0, 1, s12
	v_not_b32_e32 v54, v3
	v_cmp_gt_i32_e64 s12, 0, v3
	v_not_b32_e32 v3, v4
	v_lshlrev_b32_e32 v52, 26, v0
	v_cmp_ne_u32_e32 vcc_lo, 0, v6
	v_ashrrev_i32_e32 v6, 31, v54
	v_lshlrev_b32_e32 v53, 25, v0
	v_ashrrev_i32_e32 v3, 31, v3
	v_and_b32_e32 v1, 0xff, v0
	v_xor_b32_e32 v2, vcc_lo, v2
	v_cmp_gt_i32_e32 vcc_lo, 0, v4
	v_not_b32_e32 v4, v5
	v_xor_b32_e32 v6, s12, v6
	v_cmp_gt_i32_e64 s12, 0, v5
	v_and_b32_e32 v2, exec_lo, v2
	v_not_b32_e32 v5, v7
	v_ashrrev_i32_e32 v4, 31, v4
	v_xor_b32_e32 v3, vcc_lo, v3
	v_cmp_gt_i32_e32 vcc_lo, 0, v7
	v_and_b32_e32 v2, v2, v6
	v_not_b32_e32 v6, v52
	v_ashrrev_i32_e32 v5, 31, v5
	v_xor_b32_e32 v4, s12, v4
	v_lshlrev_b32_e32 v0, 24, v0
	v_and_b32_e32 v2, v2, v3
	v_cmp_gt_i32_e64 s12, 0, v52
	v_not_b32_e32 v3, v53
	v_ashrrev_i32_e32 v6, 31, v6
	v_xor_b32_e32 v5, vcc_lo, v5
	v_and_b32_e32 v2, v2, v4
	v_cmp_gt_i32_e32 vcc_lo, 0, v53
	v_not_b32_e32 v4, v0
	v_ashrrev_i32_e32 v3, 31, v3
	v_xor_b32_e32 v6, s12, v6
	v_and_b32_e32 v2, v2, v5
	v_lshlrev_b32_e32 v1, 2, v1
	v_cmp_gt_i32_e64 s12, 0, v0
	v_ashrrev_i32_e32 v0, 31, v4
	v_xor_b32_e32 v3, vcc_lo, v3
	v_and_b32_e32 v2, v2, v6
	v_add_lshl_u32 v1, v1, v38, 2
	s_delay_alu instid0(VALU_DEP_4) | instskip(NEXT) | instid1(VALU_DEP_3)
	v_xor_b32_e32 v0, s12, v0
	v_and_b32_e32 v2, v2, v3
	ds_load_b32 v52, v1 offset:16
	v_add_nc_u32_e32 v54, 16, v1
	; wave barrier
	v_and_b32_e32 v0, v2, v0
	s_delay_alu instid0(VALU_DEP_1) | instskip(SKIP_1) | instid1(VALU_DEP_2)
	v_mbcnt_lo_u32_b32 v53, v0, 0
	v_cmp_ne_u32_e64 s12, 0, v0
	v_cmp_eq_u32_e32 vcc_lo, 0, v53
	s_delay_alu instid0(VALU_DEP_2) | instskip(NEXT) | instid1(SALU_CYCLE_1)
	s_and_b32 s24, s12, vcc_lo
	s_and_saveexec_b32 s12, s24
	s_cbranch_execz .LBB110_18
; %bb.17:                               ;   in Loop: Header=BB110_4 Depth=2
	s_waitcnt lgkmcnt(0)
	v_bcnt_u32_b32 v0, v0, v52
	ds_store_b32 v54, v0
.LBB110_18:                             ;   in Loop: Header=BB110_4 Depth=2
	s_or_b32 exec_lo, exec_lo, s12
	v_lshrrev_b64 v[0:1], s22, v[20:21]
	; wave barrier
	s_delay_alu instid0(VALU_DEP_1)
	v_and_b32_e32 v2, 1, v0
	v_lshlrev_b32_e32 v3, 30, v0
	v_lshlrev_b32_e32 v4, 29, v0
	;; [unrolled: 1-line block ×4, first 2 shown]
	v_add_co_u32 v2, s12, v2, -1
	s_delay_alu instid0(VALU_DEP_1)
	v_cndmask_b32_e64 v6, 0, 1, s12
	v_not_b32_e32 v57, v3
	v_cmp_gt_i32_e64 s12, 0, v3
	v_not_b32_e32 v3, v4
	v_lshlrev_b32_e32 v55, 26, v0
	v_cmp_ne_u32_e32 vcc_lo, 0, v6
	v_ashrrev_i32_e32 v6, 31, v57
	v_lshlrev_b32_e32 v56, 25, v0
	v_ashrrev_i32_e32 v3, 31, v3
	v_and_b32_e32 v1, 0xff, v0
	v_xor_b32_e32 v2, vcc_lo, v2
	v_cmp_gt_i32_e32 vcc_lo, 0, v4
	v_not_b32_e32 v4, v5
	v_xor_b32_e32 v6, s12, v6
	v_cmp_gt_i32_e64 s12, 0, v5
	v_and_b32_e32 v2, exec_lo, v2
	v_not_b32_e32 v5, v7
	v_ashrrev_i32_e32 v4, 31, v4
	v_xor_b32_e32 v3, vcc_lo, v3
	v_cmp_gt_i32_e32 vcc_lo, 0, v7
	v_and_b32_e32 v2, v2, v6
	v_not_b32_e32 v6, v55
	v_ashrrev_i32_e32 v5, 31, v5
	v_xor_b32_e32 v4, s12, v4
	v_lshlrev_b32_e32 v0, 24, v0
	v_and_b32_e32 v2, v2, v3
	v_cmp_gt_i32_e64 s12, 0, v55
	v_not_b32_e32 v3, v56
	v_ashrrev_i32_e32 v6, 31, v6
	v_xor_b32_e32 v5, vcc_lo, v5
	v_and_b32_e32 v2, v2, v4
	v_cmp_gt_i32_e32 vcc_lo, 0, v56
	v_not_b32_e32 v4, v0
	v_ashrrev_i32_e32 v3, 31, v3
	v_xor_b32_e32 v6, s12, v6
	v_and_b32_e32 v2, v2, v5
	v_lshlrev_b32_e32 v1, 2, v1
	v_cmp_gt_i32_e64 s12, 0, v0
	v_ashrrev_i32_e32 v0, 31, v4
	v_xor_b32_e32 v3, vcc_lo, v3
	v_and_b32_e32 v2, v2, v6
	v_add_lshl_u32 v1, v1, v38, 2
	s_delay_alu instid0(VALU_DEP_4) | instskip(NEXT) | instid1(VALU_DEP_3)
	v_xor_b32_e32 v0, s12, v0
	v_and_b32_e32 v2, v2, v3
	ds_load_b32 v55, v1 offset:16
	v_add_nc_u32_e32 v57, 16, v1
	; wave barrier
	v_and_b32_e32 v0, v2, v0
	s_delay_alu instid0(VALU_DEP_1) | instskip(SKIP_1) | instid1(VALU_DEP_2)
	v_mbcnt_lo_u32_b32 v56, v0, 0
	v_cmp_ne_u32_e64 s12, 0, v0
	v_cmp_eq_u32_e32 vcc_lo, 0, v56
	s_delay_alu instid0(VALU_DEP_2) | instskip(NEXT) | instid1(SALU_CYCLE_1)
	s_and_b32 s24, s12, vcc_lo
	s_and_saveexec_b32 s12, s24
	s_cbranch_execz .LBB110_20
; %bb.19:                               ;   in Loop: Header=BB110_4 Depth=2
	s_waitcnt lgkmcnt(0)
	v_bcnt_u32_b32 v0, v0, v55
	ds_store_b32 v57, v0
.LBB110_20:                             ;   in Loop: Header=BB110_4 Depth=2
	s_or_b32 exec_lo, exec_lo, s12
	; wave barrier
	s_waitcnt lgkmcnt(0)
	s_barrier
	buffer_gl0_inv
	ds_load_2addr_b64 v[4:7], v34 offset0:2 offset1:3
	ds_load_2addr_b64 v[0:3], v37 offset0:2 offset1:3
	s_waitcnt lgkmcnt(1)
	v_add_nc_u32_e32 v58, v5, v4
	s_delay_alu instid0(VALU_DEP_1) | instskip(SKIP_1) | instid1(VALU_DEP_1)
	v_add3_u32 v58, v58, v6, v7
	s_waitcnt lgkmcnt(0)
	v_add3_u32 v58, v58, v0, v1
	s_delay_alu instid0(VALU_DEP_1) | instskip(NEXT) | instid1(VALU_DEP_1)
	v_add3_u32 v3, v58, v2, v3
	v_mov_b32_dpp v58, v3 row_shr:1 row_mask:0xf bank_mask:0xf
	s_delay_alu instid0(VALU_DEP_1) | instskip(NEXT) | instid1(VALU_DEP_1)
	v_cndmask_b32_e64 v58, v58, 0, s0
	v_add_nc_u32_e32 v3, v58, v3
	s_delay_alu instid0(VALU_DEP_1) | instskip(NEXT) | instid1(VALU_DEP_1)
	v_mov_b32_dpp v58, v3 row_shr:2 row_mask:0xf bank_mask:0xf
	v_cndmask_b32_e64 v58, 0, v58, s1
	s_delay_alu instid0(VALU_DEP_1) | instskip(NEXT) | instid1(VALU_DEP_1)
	v_add_nc_u32_e32 v3, v3, v58
	v_mov_b32_dpp v58, v3 row_shr:4 row_mask:0xf bank_mask:0xf
	s_delay_alu instid0(VALU_DEP_1) | instskip(NEXT) | instid1(VALU_DEP_1)
	v_cndmask_b32_e64 v58, 0, v58, s2
	v_add_nc_u32_e32 v3, v3, v58
	s_delay_alu instid0(VALU_DEP_1) | instskip(NEXT) | instid1(VALU_DEP_1)
	v_mov_b32_dpp v58, v3 row_shr:8 row_mask:0xf bank_mask:0xf
	v_cndmask_b32_e64 v58, 0, v58, s3
	s_delay_alu instid0(VALU_DEP_1) | instskip(SKIP_3) | instid1(VALU_DEP_1)
	v_add_nc_u32_e32 v3, v3, v58
	ds_swizzle_b32 v58, v3 offset:swizzle(BROADCAST,32,15)
	s_waitcnt lgkmcnt(0)
	v_cndmask_b32_e64 v58, v58, 0, s4
	v_add_nc_u32_e32 v3, v3, v58
	s_and_saveexec_b32 s12, s5
	s_cbranch_execz .LBB110_22
; %bb.21:                               ;   in Loop: Header=BB110_4 Depth=2
	ds_store_b32 v40, v3
.LBB110_22:                             ;   in Loop: Header=BB110_4 Depth=2
	s_or_b32 exec_lo, exec_lo, s12
	s_waitcnt lgkmcnt(0)
	s_barrier
	buffer_gl0_inv
	s_and_saveexec_b32 s12, s6
	s_cbranch_execz .LBB110_24
; %bb.23:                               ;   in Loop: Header=BB110_4 Depth=2
	ds_load_b32 v58, v41
	s_waitcnt lgkmcnt(0)
	v_mov_b32_dpp v59, v58 row_shr:1 row_mask:0xf bank_mask:0xf
	s_delay_alu instid0(VALU_DEP_1) | instskip(NEXT) | instid1(VALU_DEP_1)
	v_cndmask_b32_e64 v59, v59, 0, s10
	v_add_nc_u32_e32 v58, v59, v58
	s_delay_alu instid0(VALU_DEP_1) | instskip(NEXT) | instid1(VALU_DEP_1)
	v_mov_b32_dpp v59, v58 row_shr:2 row_mask:0xf bank_mask:0xf
	v_cndmask_b32_e64 v59, 0, v59, s11
	s_delay_alu instid0(VALU_DEP_1)
	v_add_nc_u32_e32 v58, v58, v59
	ds_store_b32 v41, v58
.LBB110_24:                             ;   in Loop: Header=BB110_4 Depth=2
	s_or_b32 exec_lo, exec_lo, s12
	v_mov_b32_e32 v58, 0
	s_waitcnt lgkmcnt(0)
	s_barrier
	buffer_gl0_inv
	s_and_saveexec_b32 s12, s7
	s_cbranch_execz .LBB110_26
; %bb.25:                               ;   in Loop: Header=BB110_4 Depth=2
	ds_load_b32 v58, v42
.LBB110_26:                             ;   in Loop: Header=BB110_4 Depth=2
	s_or_b32 exec_lo, exec_lo, s12
	s_waitcnt lgkmcnt(0)
	v_add_nc_u32_e32 v3, v58, v3
	s_cmp_gt_u32 s22, 55
	ds_bpermute_b32 v3, v39, v3
	s_waitcnt lgkmcnt(0)
	v_cndmask_b32_e64 v3, v3, v58, s8
	s_delay_alu instid0(VALU_DEP_1) | instskip(NEXT) | instid1(VALU_DEP_1)
	v_cndmask_b32_e64 v3, v3, 0, s9
	v_add_nc_u32_e32 v4, v3, v4
	s_delay_alu instid0(VALU_DEP_1) | instskip(NEXT) | instid1(VALU_DEP_1)
	v_add_nc_u32_e32 v5, v4, v5
	v_add_nc_u32_e32 v6, v5, v6
	s_delay_alu instid0(VALU_DEP_1) | instskip(NEXT) | instid1(VALU_DEP_1)
	v_add_nc_u32_e32 v58, v6, v7
	;; [unrolled: 3-line block ×3, first 2 shown]
	v_add_nc_u32_e32 v1, v0, v2
	ds_store_2addr_b64 v34, v[3:4], v[5:6] offset0:2 offset1:3
	ds_store_2addr_b64 v37, v[58:59], v[0:1] offset0:2 offset1:3
	s_waitcnt lgkmcnt(0)
	s_barrier
	buffer_gl0_inv
	ds_load_b32 v0, v9
	ds_load_b32 v1, v12
	;; [unrolled: 1-line block ×8, first 2 shown]
	s_waitcnt lgkmcnt(7)
	v_add_nc_u32_e32 v57, v0, v8
	s_waitcnt lgkmcnt(6)
	v_add3_u32 v54, v11, v10, v1
	s_waitcnt lgkmcnt(5)
	v_add3_u32 v51, v14, v13, v2
	;; [unrolled: 2-line block ×7, first 2 shown]
	s_cbranch_scc0 .LBB110_3
; %bb.27:                               ;   in Loop: Header=BB110_2 Depth=1
                                        ; implicit-def: $vgpr14_vgpr15
                                        ; implicit-def: $vgpr10_vgpr11
                                        ; implicit-def: $vgpr6_vgpr7
                                        ; implicit-def: $vgpr2_vgpr3
                                        ; implicit-def: $sgpr22_sgpr23
	s_branch .LBB110_1
.LBB110_28:
	v_lshlrev_b32_e32 v0, 3, v17
	s_add_u32 s0, s18, s14
	s_addc_u32 s1, s19, s15
	s_delay_alu instid0(VALU_DEP_1) | instskip(NEXT) | instid1(VALU_DEP_1)
	v_add_co_u32 v17, s2, s0, v0
	v_add_co_ci_u32_e64 v18, null, s1, 0, s2
	s_delay_alu instid0(VALU_DEP_2) | instskip(NEXT) | instid1(VALU_DEP_2)
	v_add_co_u32 v17, vcc_lo, 0x1000, v17
	v_add_co_ci_u32_e32 v18, vcc_lo, 0, v18, vcc_lo
	s_clause 0x7
	global_store_b64 v0, v[13:14], s[0:1]
	global_store_b64 v0, v[15:16], s[0:1] offset:1024
	global_store_b64 v0, v[9:10], s[0:1] offset:2048
	;; [unrolled: 1-line block ×3, first 2 shown]
	global_store_b64 v[17:18], v[5:6], off
	global_store_b64 v[17:18], v[7:8], off offset:1024
	global_store_b64 v[17:18], v[1:2], off offset:2048
	;; [unrolled: 1-line block ×3, first 2 shown]
	s_nop 0
	s_sendmsg sendmsg(MSG_DEALLOC_VGPRS)
	s_endpgm
	.section	.rodata,"a",@progbits
	.p2align	6, 0x0
	.amdhsa_kernel _Z16sort_keys_kernelI22helper_blocked_blockedxLj128ELj8ELj10EEvPKT0_PS1_
		.amdhsa_group_segment_fixed_size 8192
		.amdhsa_private_segment_fixed_size 0
		.amdhsa_kernarg_size 272
		.amdhsa_user_sgpr_count 15
		.amdhsa_user_sgpr_dispatch_ptr 0
		.amdhsa_user_sgpr_queue_ptr 0
		.amdhsa_user_sgpr_kernarg_segment_ptr 1
		.amdhsa_user_sgpr_dispatch_id 0
		.amdhsa_user_sgpr_private_segment_size 0
		.amdhsa_wavefront_size32 1
		.amdhsa_uses_dynamic_stack 0
		.amdhsa_enable_private_segment 0
		.amdhsa_system_sgpr_workgroup_id_x 1
		.amdhsa_system_sgpr_workgroup_id_y 0
		.amdhsa_system_sgpr_workgroup_id_z 0
		.amdhsa_system_sgpr_workgroup_info 0
		.amdhsa_system_vgpr_workitem_id 2
		.amdhsa_next_free_vgpr 60
		.amdhsa_next_free_sgpr 25
		.amdhsa_reserve_vcc 1
		.amdhsa_float_round_mode_32 0
		.amdhsa_float_round_mode_16_64 0
		.amdhsa_float_denorm_mode_32 3
		.amdhsa_float_denorm_mode_16_64 3
		.amdhsa_dx10_clamp 1
		.amdhsa_ieee_mode 1
		.amdhsa_fp16_overflow 0
		.amdhsa_workgroup_processor_mode 1
		.amdhsa_memory_ordered 1
		.amdhsa_forward_progress 0
		.amdhsa_shared_vgpr_count 0
		.amdhsa_exception_fp_ieee_invalid_op 0
		.amdhsa_exception_fp_denorm_src 0
		.amdhsa_exception_fp_ieee_div_zero 0
		.amdhsa_exception_fp_ieee_overflow 0
		.amdhsa_exception_fp_ieee_underflow 0
		.amdhsa_exception_fp_ieee_inexact 0
		.amdhsa_exception_int_div_zero 0
	.end_amdhsa_kernel
	.section	.text._Z16sort_keys_kernelI22helper_blocked_blockedxLj128ELj8ELj10EEvPKT0_PS1_,"axG",@progbits,_Z16sort_keys_kernelI22helper_blocked_blockedxLj128ELj8ELj10EEvPKT0_PS1_,comdat
.Lfunc_end110:
	.size	_Z16sort_keys_kernelI22helper_blocked_blockedxLj128ELj8ELj10EEvPKT0_PS1_, .Lfunc_end110-_Z16sort_keys_kernelI22helper_blocked_blockedxLj128ELj8ELj10EEvPKT0_PS1_
                                        ; -- End function
	.section	.AMDGPU.csdata,"",@progbits
; Kernel info:
; codeLenInByte = 4608
; NumSgprs: 27
; NumVgprs: 60
; ScratchSize: 0
; MemoryBound: 0
; FloatMode: 240
; IeeeMode: 1
; LDSByteSize: 8192 bytes/workgroup (compile time only)
; SGPRBlocks: 3
; VGPRBlocks: 7
; NumSGPRsForWavesPerEU: 27
; NumVGPRsForWavesPerEU: 60
; Occupancy: 16
; WaveLimiterHint : 1
; COMPUTE_PGM_RSRC2:SCRATCH_EN: 0
; COMPUTE_PGM_RSRC2:USER_SGPR: 15
; COMPUTE_PGM_RSRC2:TRAP_HANDLER: 0
; COMPUTE_PGM_RSRC2:TGID_X_EN: 1
; COMPUTE_PGM_RSRC2:TGID_Y_EN: 0
; COMPUTE_PGM_RSRC2:TGID_Z_EN: 0
; COMPUTE_PGM_RSRC2:TIDIG_COMP_CNT: 2
	.section	.text._Z17sort_pairs_kernelI22helper_blocked_blockedxLj128ELj8ELj10EEvPKT0_PS1_,"axG",@progbits,_Z17sort_pairs_kernelI22helper_blocked_blockedxLj128ELj8ELj10EEvPKT0_PS1_,comdat
	.protected	_Z17sort_pairs_kernelI22helper_blocked_blockedxLj128ELj8ELj10EEvPKT0_PS1_ ; -- Begin function _Z17sort_pairs_kernelI22helper_blocked_blockedxLj128ELj8ELj10EEvPKT0_PS1_
	.globl	_Z17sort_pairs_kernelI22helper_blocked_blockedxLj128ELj8ELj10EEvPKT0_PS1_
	.p2align	8
	.type	_Z17sort_pairs_kernelI22helper_blocked_blockedxLj128ELj8ELj10EEvPKT0_PS1_,@function
_Z17sort_pairs_kernelI22helper_blocked_blockedxLj128ELj8ELj10EEvPKT0_PS1_: ; @_Z17sort_pairs_kernelI22helper_blocked_blockedxLj128ELj8ELj10EEvPKT0_PS1_
; %bb.0:
	s_clause 0x1
	s_load_b128 s[16:19], s[0:1], 0x0
	s_load_b32 s11, s[0:1], 0x1c
	v_mbcnt_lo_u32_b32 v18, -1, 0
	s_mov_b32 s21, 0
	s_lshl_b32 s20, s15, 10
	v_bfe_u32 v19, v0, 10, 10
	s_lshl_b64 s[14:15], s[20:21], 3
	v_add_nc_u32_e32 v22, -1, v18
	v_and_b32_e32 v49, 0x3ff, v0
	v_and_b32_e32 v20, 15, v18
	;; [unrolled: 1-line block ×4, first 2 shown]
	v_bfe_u32 v0, v0, 20, 10
	v_lshlrev_b32_e32 v17, 3, v49
	v_cmp_lt_u32_e64 s3, 3, v20
	v_cmp_lt_u32_e64 s4, 7, v20
	v_cmp_eq_u32_e64 s5, 0, v21
	v_cmp_eq_u32_e64 s9, 0, v23
	v_cmp_lt_u32_e64 s10, 1, v23
	v_and_or_b32 v23, 0x300, v17, v18
	s_waitcnt lgkmcnt(0)
	s_add_u32 s0, s16, s14
	s_addc_u32 s1, s17, s15
	v_add_co_u32 v1, s2, s0, v17
	s_clause 0x1
	global_load_b64 v[13:14], v17, s[0:1]
	global_load_b64 v[15:16], v17, s[0:1] offset:1024
	v_add_co_ci_u32_e64 v2, null, s1, 0, s2
	global_load_b64 v[9:10], v17, s[0:1] offset:2048
	v_add_co_u32 v3, vcc_lo, 0x1000, v1
	v_add_co_ci_u32_e32 v4, vcc_lo, 0, v2, vcc_lo
	v_cmp_gt_i32_e32 vcc_lo, 0, v22
	s_clause 0x4
	global_load_b64 v[11:12], v17, s[0:1] offset:3072
	global_load_b64 v[5:6], v[3:4], off
	global_load_b64 v[7:8], v[3:4], off offset:1024
	global_load_b64 v[1:2], v[3:4], off offset:2048
	;; [unrolled: 1-line block ×3, first 2 shown]
	v_cmp_eq_u32_e64 s1, 0, v20
	v_cmp_lt_u32_e64 s2, 1, v20
	v_cndmask_b32_e32 v20, v22, v18, vcc_lo
	v_and_b32_e32 v24, 0x60, v49
	v_lshrrev_b32_e32 v21, 3, v49
	s_lshr_b32 s12, s11, 16
	v_lshlrev_b32_e32 v72, 3, v23
	v_mad_u32_u24 v0, v0, s12, v19
	v_or_b32_e32 v22, v18, v24
	v_and_b32_e32 v69, 12, v21
	v_or_b32_e32 v19, 31, v24
	s_and_b32 s11, s11, 0xffff
	v_cmp_eq_u32_e64 s0, 0, v18
	v_lshlrev_b32_e32 v71, 6, v22
	v_mad_u64_u32 v[17:18], null, v0, s11, v[49:50]
	v_lshlrev_b32_e32 v66, 5, v49
	v_mul_u32_u24_e32 v33, 60, v49
	v_cmp_eq_u32_e64 s11, v19, v49
	v_cmp_gt_u32_e64 s6, 4, v49
	v_cmp_lt_u32_e64 s7, 31, v49
	v_mad_i32_i24 v70, 0xffffffe4, v49, v66
	v_lshrrev_b32_e32 v74, 5, v17
	v_cmp_eq_u32_e64 s8, 0, v49
	v_or_b32_e32 v67, 16, v66
	v_lshlrev_b32_e32 v68, 2, v20
	v_add_nc_u32_e32 v73, -4, v69
	v_add_nc_u32_e32 v75, v70, v33
	s_mov_b32 s20, s21
	s_mov_b32 s16, s21
	;; [unrolled: 1-line block ×4, first 2 shown]
	s_waitcnt vmcnt(7)
	v_add_co_u32 v21, vcc_lo, v13, 1
	v_add_co_ci_u32_e32 v22, vcc_lo, 0, v14, vcc_lo
	s_waitcnt vmcnt(6)
	v_add_co_u32 v23, vcc_lo, v15, 1
	v_add_co_ci_u32_e32 v24, vcc_lo, 0, v16, vcc_lo
	;; [unrolled: 3-line block ×8, first 2 shown]
	s_branch .LBB111_2
.LBB111_1:                              ;   in Loop: Header=BB111_2 Depth=1
	v_lshlrev_b32_e32 v0, 3, v82
	v_lshlrev_b32_e32 v33, 3, v81
	;; [unrolled: 1-line block ×3, first 2 shown]
	s_barrier
	buffer_gl0_inv
	ds_store_b64 v0, v[20:21]
	ds_store_b64 v33, v[30:31]
	ds_store_b64 v34, v[28:29]
	v_lshlrev_b32_e32 v20, 3, v79
	v_lshlrev_b32_e32 v21, 3, v78
	;; [unrolled: 1-line block ×5, first 2 shown]
	ds_store_b64 v20, v[26:27]
	ds_store_b64 v21, v[24:25]
	;; [unrolled: 1-line block ×5, first 2 shown]
	s_waitcnt lgkmcnt(0)
	s_barrier
	buffer_gl0_inv
	ds_load_2addr_b64 v[13:16], v75 offset1:1
	ds_load_2addr_b64 v[9:12], v75 offset0:2 offset1:3
	ds_load_2addr_b64 v[5:8], v75 offset0:4 offset1:5
	;; [unrolled: 1-line block ×3, first 2 shown]
	s_waitcnt lgkmcnt(0)
	s_barrier
	buffer_gl0_inv
	ds_store_b64 v0, v[64:65]
	ds_store_b64 v33, v[62:63]
	;; [unrolled: 1-line block ×8, first 2 shown]
	s_waitcnt lgkmcnt(0)
	s_barrier
	buffer_gl0_inv
	ds_load_2addr_b64 v[21:24], v75 offset1:1
	ds_load_2addr_b64 v[25:28], v75 offset0:2 offset1:3
	ds_load_2addr_b64 v[29:32], v75 offset0:4 offset1:5
	;; [unrolled: 1-line block ×3, first 2 shown]
	s_add_i32 s13, s13, 1
	s_delay_alu instid0(SALU_CYCLE_1)
	s_cmp_eq_u32 s13, 10
	v_xor_b32_e32 v14, 0x80000000, v14
	v_xor_b32_e32 v16, 0x80000000, v16
	;; [unrolled: 1-line block ×8, first 2 shown]
	s_cbranch_scc1 .LBB111_28
.LBB111_2:                              ; =>This Loop Header: Depth=1
                                        ;     Child Loop BB111_4 Depth 2
	v_xor_b32_e32 v14, 0x80000000, v14
	v_xor_b32_e32 v16, 0x80000000, v16
	;; [unrolled: 1-line block ×8, first 2 shown]
	ds_store_2addr_b64 v71, v[13:14], v[15:16] offset1:1
	ds_store_2addr_b64 v71, v[9:10], v[11:12] offset0:2 offset1:3
	ds_store_2addr_b64 v71, v[5:6], v[7:8] offset0:4 offset1:5
	;; [unrolled: 1-line block ×3, first 2 shown]
	; wave barrier
	ds_load_2addr_b64 v[33:36], v72 offset1:32
	ds_load_2addr_b64 v[37:40], v72 offset0:64 offset1:96
	ds_load_2addr_b64 v[41:44], v72 offset0:128 offset1:160
	;; [unrolled: 1-line block ×3, first 2 shown]
	; wave barrier
	s_waitcnt lgkmcnt(11)
	ds_store_2addr_b64 v71, v[21:22], v[23:24] offset1:1
	s_waitcnt lgkmcnt(11)
	ds_store_2addr_b64 v71, v[25:26], v[27:28] offset0:2 offset1:3
	s_waitcnt lgkmcnt(11)
	ds_store_2addr_b64 v71, v[29:30], v[31:32] offset0:4 offset1:5
	s_waitcnt lgkmcnt(11)
	ds_store_2addr_b64 v71, v[17:18], v[19:20] offset0:6 offset1:7
	; wave barrier
	ds_load_2addr_b64 v[0:3], v72 offset1:32
	ds_load_2addr_b64 v[4:7], v72 offset0:64 offset1:96
	ds_load_2addr_b64 v[8:11], v72 offset0:128 offset1:160
	;; [unrolled: 1-line block ×3, first 2 shown]
	s_mov_b64 s[22:23], 0
	s_waitcnt lgkmcnt(0)
	s_barrier
	s_branch .LBB111_4
.LBB111_3:                              ;   in Loop: Header=BB111_4 Depth=2
	v_lshlrev_b32_e32 v0, 3, v82
	v_lshlrev_b32_e32 v3, 3, v79
	;; [unrolled: 1-line block ×8, first 2 shown]
	s_barrier
	buffer_gl0_inv
	ds_store_b64 v0, v[20:21]
	ds_store_b64 v1, v[30:31]
	ds_store_b64 v2, v[28:29]
	ds_store_b64 v3, v[26:27]
	ds_store_b64 v4, v[24:25]
	ds_store_b64 v5, v[22:23]
	ds_store_b64 v6, v[18:19]
	ds_store_b64 v7, v[16:17]
	s_waitcnt lgkmcnt(0)
	s_barrier
	buffer_gl0_inv
	ds_load_2addr_b64 v[33:36], v72 offset1:32
	ds_load_2addr_b64 v[37:40], v72 offset0:64 offset1:96
	ds_load_2addr_b64 v[41:44], v72 offset0:128 offset1:160
	;; [unrolled: 1-line block ×3, first 2 shown]
	s_waitcnt lgkmcnt(0)
	s_barrier
	buffer_gl0_inv
	ds_store_b64 v0, v[64:65]
	ds_store_b64 v1, v[62:63]
	ds_store_b64 v2, v[60:61]
	ds_store_b64 v3, v[58:59]
	ds_store_b64 v4, v[56:57]
	ds_store_b64 v5, v[54:55]
	ds_store_b64 v6, v[52:53]
	ds_store_b64 v7, v[50:51]
	s_waitcnt lgkmcnt(0)
	s_barrier
	buffer_gl0_inv
	ds_load_2addr_b64 v[0:3], v72 offset1:32
	ds_load_2addr_b64 v[4:7], v72 offset0:64 offset1:96
	ds_load_2addr_b64 v[8:11], v72 offset0:128 offset1:160
	;; [unrolled: 1-line block ×3, first 2 shown]
	s_add_u32 s22, s22, 8
	s_addc_u32 s23, s23, 0
	s_waitcnt lgkmcnt(0)
	s_barrier
	s_cbranch_execz .LBB111_1
.LBB111_4:                              ;   Parent Loop BB111_2 Depth=1
                                        ; =>  This Inner Loop Header: Depth=2
	v_dual_mov_b32 v20, v33 :: v_dual_mov_b32 v21, v34
	v_dual_mov_b32 v28, v37 :: v_dual_mov_b32 v29, v38
	;; [unrolled: 1-line block ×3, first 2 shown]
	s_delay_alu instid0(VALU_DEP_3) | instskip(SKIP_3) | instid1(VALU_DEP_4)
	v_lshrrev_b64 v[32:33], s22, v[20:21]
	v_dual_mov_b32 v30, v35 :: v_dual_mov_b32 v31, v36
	v_mov_b32_e32 v59, v7
	v_dual_mov_b32 v26, v39 :: v_dual_mov_b32 v27, v40
	v_and_b32_e32 v33, 1, v32
	v_dual_mov_b32 v51, v15 :: v_dual_lshlrev_b32 v34, 30, v32
	v_dual_mov_b32 v50, v14 :: v_dual_lshlrev_b32 v35, 29, v32
	s_delay_alu instid0(VALU_DEP_3) | instskip(NEXT) | instid1(VALU_DEP_1)
	v_add_co_u32 v33, s12, v33, -1
	v_cndmask_b32_e64 v37, 0, 1, s12
	s_delay_alu instid0(VALU_DEP_4) | instskip(SKIP_2) | instid1(VALU_DEP_4)
	v_not_b32_e32 v41, v34
	v_dual_mov_b32 v53, v13 :: v_dual_lshlrev_b32 v36, 28, v32
	v_cmp_gt_i32_e64 s12, 0, v34
	v_cmp_ne_u32_e32 vcc_lo, 0, v37
	s_delay_alu instid0(VALU_DEP_4)
	v_ashrrev_i32_e32 v41, 31, v41
	v_mov_b32_e32 v52, v12
	v_not_b32_e32 v34, v35
	v_dual_mov_b32 v55, v11 :: v_dual_lshlrev_b32 v38, 27, v32
	v_xor_b32_e32 v33, vcc_lo, v33
	v_cmp_gt_i32_e32 vcc_lo, 0, v35
	v_not_b32_e32 v35, v36
	v_ashrrev_i32_e32 v34, 31, v34
	v_xor_b32_e32 v41, s12, v41
	v_dual_mov_b32 v58, v6 :: v_dual_and_b32 v33, exec_lo, v33
	v_dual_mov_b32 v54, v10 :: v_dual_lshlrev_b32 v39, 26, v32
	v_cmp_gt_i32_e64 s12, 0, v36
	v_not_b32_e32 v36, v38
	v_ashrrev_i32_e32 v35, 31, v35
	v_xor_b32_e32 v34, vcc_lo, v34
	v_and_b32_e32 v33, v33, v41
	v_dual_mov_b32 v61, v5 :: v_dual_lshlrev_b32 v40, 25, v32
	v_mov_b32_e32 v57, v9
	v_cmp_gt_i32_e32 vcc_lo, 0, v38
	v_not_b32_e32 v38, v39
	v_ashrrev_i32_e32 v36, 31, v36
	v_xor_b32_e32 v35, s12, v35
	v_dual_mov_b32 v60, v4 :: v_dual_and_b32 v33, v33, v34
	v_dual_mov_b32 v63, v3 :: v_dual_mov_b32 v62, v2
	v_dual_mov_b32 v56, v8 :: v_dual_lshlrev_b32 v37, 24, v32
	v_cmp_gt_i32_e64 s12, 0, v39
	v_not_b32_e32 v34, v40
	v_ashrrev_i32_e32 v38, 31, v38
	v_xor_b32_e32 v36, vcc_lo, v36
	v_and_b32_e32 v33, v33, v35
	v_dual_mov_b32 v3, s20 :: v_dual_mov_b32 v4, s21
	v_cmp_gt_i32_e32 vcc_lo, 0, v40
	v_not_b32_e32 v35, v37
	v_ashrrev_i32_e32 v34, 31, v34
	v_xor_b32_e32 v38, s12, v38
	v_and_b32_e32 v33, v33, v36
	v_dual_mov_b32 v5, s16 :: v_dual_mov_b32 v6, s17
	v_cmp_gt_i32_e64 s12, 0, v37
	v_ashrrev_i32_e32 v14, 31, v35
	v_xor_b32_e32 v15, vcc_lo, v34
	v_and_b32_e32 v33, v33, v38
	v_dual_mov_b32 v65, v1 :: v_dual_mov_b32 v64, v0
	s_delay_alu instid0(VALU_DEP_4) | instskip(SKIP_1) | instid1(VALU_DEP_4)
	v_xor_b32_e32 v8, s12, v14
	v_and_b32_e32 v0, 0xff, v32
	v_dual_mov_b32 v16, v47 :: v_dual_and_b32 v9, v33, v15
	v_dual_mov_b32 v17, v48 :: v_dual_mov_b32 v18, v45
	s_delay_alu instid0(VALU_DEP_2) | instskip(NEXT) | instid1(VALU_DEP_4)
	v_dual_mov_b32 v19, v46 :: v_dual_and_b32 v2, v9, v8
	v_lshl_add_u32 v0, v0, 2, v74
	v_dual_mov_b32 v22, v43 :: v_dual_mov_b32 v23, v44
	buffer_gl0_inv
	v_mbcnt_lo_u32_b32 v8, v2, 0
	v_cmp_ne_u32_e64 s12, 0, v2
	v_lshl_add_u32 v9, v0, 2, 16
	ds_store_2addr_b64 v66, v[3:4], v[5:6] offset0:2 offset1:3
	ds_store_2addr_b64 v67, v[3:4], v[5:6] offset0:2 offset1:3
	s_waitcnt lgkmcnt(0)
	v_cmp_eq_u32_e32 vcc_lo, 0, v8
	s_barrier
	buffer_gl0_inv
	; wave barrier
	s_and_b32 s24, s12, vcc_lo
	s_delay_alu instid0(SALU_CYCLE_1)
	s_and_saveexec_b32 s12, s24
	s_cbranch_execz .LBB111_6
; %bb.5:                                ;   in Loop: Header=BB111_4 Depth=2
	v_bcnt_u32_b32 v0, v2, 0
	ds_store_b32 v9, v0
.LBB111_6:                              ;   in Loop: Header=BB111_4 Depth=2
	s_or_b32 exec_lo, exec_lo, s12
	v_lshrrev_b64 v[0:1], s22, v[30:31]
	; wave barrier
	s_delay_alu instid0(VALU_DEP_1)
	v_and_b32_e32 v2, 1, v0
	v_lshlrev_b32_e32 v3, 30, v0
	v_lshlrev_b32_e32 v4, 29, v0
	v_lshlrev_b32_e32 v5, 28, v0
	v_lshlrev_b32_e32 v7, 27, v0
	v_add_co_u32 v2, s12, v2, -1
	s_delay_alu instid0(VALU_DEP_1)
	v_cndmask_b32_e64 v6, 0, 1, s12
	v_not_b32_e32 v12, v3
	v_cmp_gt_i32_e64 s12, 0, v3
	v_not_b32_e32 v3, v4
	v_lshlrev_b32_e32 v10, 26, v0
	v_cmp_ne_u32_e32 vcc_lo, 0, v6
	v_ashrrev_i32_e32 v6, 31, v12
	v_lshlrev_b32_e32 v11, 25, v0
	v_ashrrev_i32_e32 v3, 31, v3
	v_and_b32_e32 v1, 0xff, v0
	v_xor_b32_e32 v2, vcc_lo, v2
	v_cmp_gt_i32_e32 vcc_lo, 0, v4
	v_not_b32_e32 v4, v5
	v_xor_b32_e32 v6, s12, v6
	v_cmp_gt_i32_e64 s12, 0, v5
	v_and_b32_e32 v2, exec_lo, v2
	v_not_b32_e32 v5, v7
	v_ashrrev_i32_e32 v4, 31, v4
	v_xor_b32_e32 v3, vcc_lo, v3
	v_cmp_gt_i32_e32 vcc_lo, 0, v7
	v_and_b32_e32 v2, v2, v6
	v_not_b32_e32 v6, v10
	v_ashrrev_i32_e32 v5, 31, v5
	v_xor_b32_e32 v4, s12, v4
	v_lshlrev_b32_e32 v0, 24, v0
	v_and_b32_e32 v2, v2, v3
	v_cmp_gt_i32_e64 s12, 0, v10
	v_not_b32_e32 v3, v11
	v_ashrrev_i32_e32 v6, 31, v6
	v_xor_b32_e32 v5, vcc_lo, v5
	v_and_b32_e32 v2, v2, v4
	v_cmp_gt_i32_e32 vcc_lo, 0, v11
	v_not_b32_e32 v4, v0
	v_ashrrev_i32_e32 v3, 31, v3
	v_xor_b32_e32 v6, s12, v6
	v_and_b32_e32 v2, v2, v5
	v_lshlrev_b32_e32 v1, 2, v1
	v_cmp_gt_i32_e64 s12, 0, v0
	v_ashrrev_i32_e32 v0, 31, v4
	v_xor_b32_e32 v3, vcc_lo, v3
	v_and_b32_e32 v2, v2, v6
	v_add_lshl_u32 v1, v1, v74, 2
	s_delay_alu instid0(VALU_DEP_4) | instskip(NEXT) | instid1(VALU_DEP_3)
	v_xor_b32_e32 v0, s12, v0
	v_and_b32_e32 v2, v2, v3
	ds_load_b32 v10, v1 offset:16
	v_add_nc_u32_e32 v12, 16, v1
	; wave barrier
	v_and_b32_e32 v0, v2, v0
	s_delay_alu instid0(VALU_DEP_1) | instskip(SKIP_1) | instid1(VALU_DEP_2)
	v_mbcnt_lo_u32_b32 v11, v0, 0
	v_cmp_ne_u32_e64 s12, 0, v0
	v_cmp_eq_u32_e32 vcc_lo, 0, v11
	s_delay_alu instid0(VALU_DEP_2) | instskip(NEXT) | instid1(SALU_CYCLE_1)
	s_and_b32 s24, s12, vcc_lo
	s_and_saveexec_b32 s12, s24
	s_cbranch_execz .LBB111_8
; %bb.7:                                ;   in Loop: Header=BB111_4 Depth=2
	s_waitcnt lgkmcnt(0)
	v_bcnt_u32_b32 v0, v0, v10
	ds_store_b32 v12, v0
.LBB111_8:                              ;   in Loop: Header=BB111_4 Depth=2
	s_or_b32 exec_lo, exec_lo, s12
	v_lshrrev_b64 v[0:1], s22, v[28:29]
	; wave barrier
	s_delay_alu instid0(VALU_DEP_1)
	v_and_b32_e32 v2, 1, v0
	v_lshlrev_b32_e32 v3, 30, v0
	v_lshlrev_b32_e32 v4, 29, v0
	;; [unrolled: 1-line block ×4, first 2 shown]
	v_add_co_u32 v2, s12, v2, -1
	s_delay_alu instid0(VALU_DEP_1)
	v_cndmask_b32_e64 v6, 0, 1, s12
	v_not_b32_e32 v15, v3
	v_cmp_gt_i32_e64 s12, 0, v3
	v_not_b32_e32 v3, v4
	v_lshlrev_b32_e32 v13, 26, v0
	v_cmp_ne_u32_e32 vcc_lo, 0, v6
	v_ashrrev_i32_e32 v6, 31, v15
	v_lshlrev_b32_e32 v14, 25, v0
	v_ashrrev_i32_e32 v3, 31, v3
	v_and_b32_e32 v1, 0xff, v0
	v_xor_b32_e32 v2, vcc_lo, v2
	v_cmp_gt_i32_e32 vcc_lo, 0, v4
	v_not_b32_e32 v4, v5
	v_xor_b32_e32 v6, s12, v6
	v_cmp_gt_i32_e64 s12, 0, v5
	v_and_b32_e32 v2, exec_lo, v2
	v_not_b32_e32 v5, v7
	v_ashrrev_i32_e32 v4, 31, v4
	v_xor_b32_e32 v3, vcc_lo, v3
	v_cmp_gt_i32_e32 vcc_lo, 0, v7
	v_and_b32_e32 v2, v2, v6
	v_not_b32_e32 v6, v13
	v_ashrrev_i32_e32 v5, 31, v5
	v_xor_b32_e32 v4, s12, v4
	v_lshlrev_b32_e32 v0, 24, v0
	v_and_b32_e32 v2, v2, v3
	v_cmp_gt_i32_e64 s12, 0, v13
	v_not_b32_e32 v3, v14
	v_ashrrev_i32_e32 v6, 31, v6
	v_xor_b32_e32 v5, vcc_lo, v5
	v_and_b32_e32 v2, v2, v4
	v_cmp_gt_i32_e32 vcc_lo, 0, v14
	v_not_b32_e32 v4, v0
	v_ashrrev_i32_e32 v3, 31, v3
	v_xor_b32_e32 v6, s12, v6
	v_and_b32_e32 v2, v2, v5
	v_lshlrev_b32_e32 v1, 2, v1
	v_cmp_gt_i32_e64 s12, 0, v0
	v_ashrrev_i32_e32 v0, 31, v4
	v_xor_b32_e32 v3, vcc_lo, v3
	v_and_b32_e32 v2, v2, v6
	v_add_lshl_u32 v1, v1, v74, 2
	s_delay_alu instid0(VALU_DEP_4) | instskip(NEXT) | instid1(VALU_DEP_3)
	v_xor_b32_e32 v0, s12, v0
	v_and_b32_e32 v2, v2, v3
	ds_load_b32 v13, v1 offset:16
	v_add_nc_u32_e32 v15, 16, v1
	; wave barrier
	v_and_b32_e32 v0, v2, v0
	s_delay_alu instid0(VALU_DEP_1) | instskip(SKIP_1) | instid1(VALU_DEP_2)
	v_mbcnt_lo_u32_b32 v14, v0, 0
	v_cmp_ne_u32_e64 s12, 0, v0
	v_cmp_eq_u32_e32 vcc_lo, 0, v14
	s_delay_alu instid0(VALU_DEP_2) | instskip(NEXT) | instid1(SALU_CYCLE_1)
	s_and_b32 s24, s12, vcc_lo
	s_and_saveexec_b32 s12, s24
	s_cbranch_execz .LBB111_10
; %bb.9:                                ;   in Loop: Header=BB111_4 Depth=2
	s_waitcnt lgkmcnt(0)
	v_bcnt_u32_b32 v0, v0, v13
	ds_store_b32 v15, v0
.LBB111_10:                             ;   in Loop: Header=BB111_4 Depth=2
	s_or_b32 exec_lo, exec_lo, s12
	v_lshrrev_b64 v[0:1], s22, v[26:27]
	; wave barrier
	s_delay_alu instid0(VALU_DEP_1)
	v_and_b32_e32 v2, 1, v0
	v_lshlrev_b32_e32 v3, 30, v0
	v_lshlrev_b32_e32 v4, 29, v0
	;; [unrolled: 1-line block ×4, first 2 shown]
	v_add_co_u32 v2, s12, v2, -1
	s_delay_alu instid0(VALU_DEP_1)
	v_cndmask_b32_e64 v6, 0, 1, s12
	v_not_b32_e32 v34, v3
	v_cmp_gt_i32_e64 s12, 0, v3
	v_not_b32_e32 v3, v4
	v_lshlrev_b32_e32 v32, 26, v0
	v_cmp_ne_u32_e32 vcc_lo, 0, v6
	v_ashrrev_i32_e32 v6, 31, v34
	v_lshlrev_b32_e32 v33, 25, v0
	v_ashrrev_i32_e32 v3, 31, v3
	v_and_b32_e32 v1, 0xff, v0
	v_xor_b32_e32 v2, vcc_lo, v2
	v_cmp_gt_i32_e32 vcc_lo, 0, v4
	v_not_b32_e32 v4, v5
	v_xor_b32_e32 v6, s12, v6
	v_cmp_gt_i32_e64 s12, 0, v5
	v_and_b32_e32 v2, exec_lo, v2
	v_not_b32_e32 v5, v7
	v_ashrrev_i32_e32 v4, 31, v4
	v_xor_b32_e32 v3, vcc_lo, v3
	v_cmp_gt_i32_e32 vcc_lo, 0, v7
	v_and_b32_e32 v2, v2, v6
	v_not_b32_e32 v6, v32
	v_ashrrev_i32_e32 v5, 31, v5
	v_xor_b32_e32 v4, s12, v4
	v_lshlrev_b32_e32 v0, 24, v0
	v_and_b32_e32 v2, v2, v3
	v_cmp_gt_i32_e64 s12, 0, v32
	v_not_b32_e32 v3, v33
	v_ashrrev_i32_e32 v6, 31, v6
	v_xor_b32_e32 v5, vcc_lo, v5
	v_and_b32_e32 v2, v2, v4
	v_cmp_gt_i32_e32 vcc_lo, 0, v33
	v_not_b32_e32 v4, v0
	v_ashrrev_i32_e32 v3, 31, v3
	v_xor_b32_e32 v6, s12, v6
	v_and_b32_e32 v2, v2, v5
	v_lshlrev_b32_e32 v1, 2, v1
	v_cmp_gt_i32_e64 s12, 0, v0
	v_ashrrev_i32_e32 v0, 31, v4
	v_xor_b32_e32 v3, vcc_lo, v3
	v_and_b32_e32 v2, v2, v6
	v_add_lshl_u32 v1, v1, v74, 2
	s_delay_alu instid0(VALU_DEP_4) | instskip(NEXT) | instid1(VALU_DEP_3)
	v_xor_b32_e32 v0, s12, v0
	v_and_b32_e32 v2, v2, v3
	ds_load_b32 v32, v1 offset:16
	v_add_nc_u32_e32 v34, 16, v1
	; wave barrier
	v_and_b32_e32 v0, v2, v0
	s_delay_alu instid0(VALU_DEP_1) | instskip(SKIP_1) | instid1(VALU_DEP_2)
	v_mbcnt_lo_u32_b32 v33, v0, 0
	v_cmp_ne_u32_e64 s12, 0, v0
	v_cmp_eq_u32_e32 vcc_lo, 0, v33
	s_delay_alu instid0(VALU_DEP_2) | instskip(NEXT) | instid1(SALU_CYCLE_1)
	s_and_b32 s24, s12, vcc_lo
	s_and_saveexec_b32 s12, s24
	s_cbranch_execz .LBB111_12
; %bb.11:                               ;   in Loop: Header=BB111_4 Depth=2
	s_waitcnt lgkmcnt(0)
	v_bcnt_u32_b32 v0, v0, v32
	ds_store_b32 v34, v0
.LBB111_12:                             ;   in Loop: Header=BB111_4 Depth=2
	s_or_b32 exec_lo, exec_lo, s12
	v_lshrrev_b64 v[0:1], s22, v[24:25]
	; wave barrier
	s_delay_alu instid0(VALU_DEP_1)
	v_and_b32_e32 v2, 1, v0
	v_lshlrev_b32_e32 v3, 30, v0
	v_lshlrev_b32_e32 v4, 29, v0
	;; [unrolled: 1-line block ×4, first 2 shown]
	v_add_co_u32 v2, s12, v2, -1
	s_delay_alu instid0(VALU_DEP_1)
	v_cndmask_b32_e64 v6, 0, 1, s12
	v_not_b32_e32 v37, v3
	v_cmp_gt_i32_e64 s12, 0, v3
	v_not_b32_e32 v3, v4
	v_lshlrev_b32_e32 v35, 26, v0
	v_cmp_ne_u32_e32 vcc_lo, 0, v6
	v_ashrrev_i32_e32 v6, 31, v37
	v_lshlrev_b32_e32 v36, 25, v0
	v_ashrrev_i32_e32 v3, 31, v3
	v_and_b32_e32 v1, 0xff, v0
	v_xor_b32_e32 v2, vcc_lo, v2
	v_cmp_gt_i32_e32 vcc_lo, 0, v4
	v_not_b32_e32 v4, v5
	v_xor_b32_e32 v6, s12, v6
	v_cmp_gt_i32_e64 s12, 0, v5
	v_and_b32_e32 v2, exec_lo, v2
	v_not_b32_e32 v5, v7
	v_ashrrev_i32_e32 v4, 31, v4
	v_xor_b32_e32 v3, vcc_lo, v3
	v_cmp_gt_i32_e32 vcc_lo, 0, v7
	v_and_b32_e32 v2, v2, v6
	v_not_b32_e32 v6, v35
	v_ashrrev_i32_e32 v5, 31, v5
	v_xor_b32_e32 v4, s12, v4
	v_lshlrev_b32_e32 v0, 24, v0
	v_and_b32_e32 v2, v2, v3
	v_cmp_gt_i32_e64 s12, 0, v35
	v_not_b32_e32 v3, v36
	v_ashrrev_i32_e32 v6, 31, v6
	v_xor_b32_e32 v5, vcc_lo, v5
	v_and_b32_e32 v2, v2, v4
	v_cmp_gt_i32_e32 vcc_lo, 0, v36
	v_not_b32_e32 v4, v0
	v_ashrrev_i32_e32 v3, 31, v3
	v_xor_b32_e32 v6, s12, v6
	v_and_b32_e32 v2, v2, v5
	v_lshlrev_b32_e32 v1, 2, v1
	v_cmp_gt_i32_e64 s12, 0, v0
	v_ashrrev_i32_e32 v0, 31, v4
	v_xor_b32_e32 v3, vcc_lo, v3
	v_and_b32_e32 v2, v2, v6
	v_add_lshl_u32 v1, v1, v74, 2
	s_delay_alu instid0(VALU_DEP_4) | instskip(NEXT) | instid1(VALU_DEP_3)
	v_xor_b32_e32 v0, s12, v0
	v_and_b32_e32 v2, v2, v3
	ds_load_b32 v35, v1 offset:16
	v_add_nc_u32_e32 v37, 16, v1
	; wave barrier
	v_and_b32_e32 v0, v2, v0
	s_delay_alu instid0(VALU_DEP_1) | instskip(SKIP_1) | instid1(VALU_DEP_2)
	v_mbcnt_lo_u32_b32 v36, v0, 0
	v_cmp_ne_u32_e64 s12, 0, v0
	v_cmp_eq_u32_e32 vcc_lo, 0, v36
	s_delay_alu instid0(VALU_DEP_2) | instskip(NEXT) | instid1(SALU_CYCLE_1)
	s_and_b32 s24, s12, vcc_lo
	s_and_saveexec_b32 s12, s24
	s_cbranch_execz .LBB111_14
; %bb.13:                               ;   in Loop: Header=BB111_4 Depth=2
	s_waitcnt lgkmcnt(0)
	v_bcnt_u32_b32 v0, v0, v35
	ds_store_b32 v37, v0
.LBB111_14:                             ;   in Loop: Header=BB111_4 Depth=2
	s_or_b32 exec_lo, exec_lo, s12
	v_lshrrev_b64 v[0:1], s22, v[22:23]
	; wave barrier
	s_delay_alu instid0(VALU_DEP_1)
	v_and_b32_e32 v2, 1, v0
	v_lshlrev_b32_e32 v3, 30, v0
	v_lshlrev_b32_e32 v4, 29, v0
	;; [unrolled: 1-line block ×4, first 2 shown]
	v_add_co_u32 v2, s12, v2, -1
	s_delay_alu instid0(VALU_DEP_1)
	v_cndmask_b32_e64 v6, 0, 1, s12
	v_not_b32_e32 v40, v3
	v_cmp_gt_i32_e64 s12, 0, v3
	v_not_b32_e32 v3, v4
	v_lshlrev_b32_e32 v38, 26, v0
	v_cmp_ne_u32_e32 vcc_lo, 0, v6
	v_ashrrev_i32_e32 v6, 31, v40
	v_lshlrev_b32_e32 v39, 25, v0
	v_ashrrev_i32_e32 v3, 31, v3
	v_and_b32_e32 v1, 0xff, v0
	v_xor_b32_e32 v2, vcc_lo, v2
	v_cmp_gt_i32_e32 vcc_lo, 0, v4
	v_not_b32_e32 v4, v5
	v_xor_b32_e32 v6, s12, v6
	v_cmp_gt_i32_e64 s12, 0, v5
	v_and_b32_e32 v2, exec_lo, v2
	v_not_b32_e32 v5, v7
	v_ashrrev_i32_e32 v4, 31, v4
	v_xor_b32_e32 v3, vcc_lo, v3
	v_cmp_gt_i32_e32 vcc_lo, 0, v7
	v_and_b32_e32 v2, v2, v6
	v_not_b32_e32 v6, v38
	v_ashrrev_i32_e32 v5, 31, v5
	v_xor_b32_e32 v4, s12, v4
	v_lshlrev_b32_e32 v0, 24, v0
	v_and_b32_e32 v2, v2, v3
	v_cmp_gt_i32_e64 s12, 0, v38
	v_not_b32_e32 v3, v39
	v_ashrrev_i32_e32 v6, 31, v6
	v_xor_b32_e32 v5, vcc_lo, v5
	v_and_b32_e32 v2, v2, v4
	v_cmp_gt_i32_e32 vcc_lo, 0, v39
	v_not_b32_e32 v4, v0
	v_ashrrev_i32_e32 v3, 31, v3
	v_xor_b32_e32 v6, s12, v6
	v_and_b32_e32 v2, v2, v5
	v_lshlrev_b32_e32 v1, 2, v1
	v_cmp_gt_i32_e64 s12, 0, v0
	v_ashrrev_i32_e32 v0, 31, v4
	v_xor_b32_e32 v3, vcc_lo, v3
	v_and_b32_e32 v2, v2, v6
	v_add_lshl_u32 v1, v1, v74, 2
	s_delay_alu instid0(VALU_DEP_4) | instskip(NEXT) | instid1(VALU_DEP_3)
	v_xor_b32_e32 v0, s12, v0
	v_and_b32_e32 v2, v2, v3
	ds_load_b32 v38, v1 offset:16
	v_add_nc_u32_e32 v40, 16, v1
	; wave barrier
	v_and_b32_e32 v0, v2, v0
	s_delay_alu instid0(VALU_DEP_1) | instskip(SKIP_1) | instid1(VALU_DEP_2)
	v_mbcnt_lo_u32_b32 v39, v0, 0
	v_cmp_ne_u32_e64 s12, 0, v0
	v_cmp_eq_u32_e32 vcc_lo, 0, v39
	s_delay_alu instid0(VALU_DEP_2) | instskip(NEXT) | instid1(SALU_CYCLE_1)
	s_and_b32 s24, s12, vcc_lo
	s_and_saveexec_b32 s12, s24
	s_cbranch_execz .LBB111_16
; %bb.15:                               ;   in Loop: Header=BB111_4 Depth=2
	s_waitcnt lgkmcnt(0)
	v_bcnt_u32_b32 v0, v0, v38
	ds_store_b32 v40, v0
.LBB111_16:                             ;   in Loop: Header=BB111_4 Depth=2
	s_or_b32 exec_lo, exec_lo, s12
	v_lshrrev_b64 v[0:1], s22, v[18:19]
	; wave barrier
	s_delay_alu instid0(VALU_DEP_1)
	v_and_b32_e32 v2, 1, v0
	v_lshlrev_b32_e32 v3, 30, v0
	v_lshlrev_b32_e32 v4, 29, v0
	;; [unrolled: 1-line block ×4, first 2 shown]
	v_add_co_u32 v2, s12, v2, -1
	s_delay_alu instid0(VALU_DEP_1)
	v_cndmask_b32_e64 v6, 0, 1, s12
	v_not_b32_e32 v43, v3
	v_cmp_gt_i32_e64 s12, 0, v3
	v_not_b32_e32 v3, v4
	v_lshlrev_b32_e32 v41, 26, v0
	v_cmp_ne_u32_e32 vcc_lo, 0, v6
	v_ashrrev_i32_e32 v6, 31, v43
	v_lshlrev_b32_e32 v42, 25, v0
	v_ashrrev_i32_e32 v3, 31, v3
	v_and_b32_e32 v1, 0xff, v0
	v_xor_b32_e32 v2, vcc_lo, v2
	v_cmp_gt_i32_e32 vcc_lo, 0, v4
	v_not_b32_e32 v4, v5
	v_xor_b32_e32 v6, s12, v6
	v_cmp_gt_i32_e64 s12, 0, v5
	v_and_b32_e32 v2, exec_lo, v2
	v_not_b32_e32 v5, v7
	v_ashrrev_i32_e32 v4, 31, v4
	v_xor_b32_e32 v3, vcc_lo, v3
	v_cmp_gt_i32_e32 vcc_lo, 0, v7
	v_and_b32_e32 v2, v2, v6
	v_not_b32_e32 v6, v41
	v_ashrrev_i32_e32 v5, 31, v5
	v_xor_b32_e32 v4, s12, v4
	v_lshlrev_b32_e32 v0, 24, v0
	v_and_b32_e32 v2, v2, v3
	v_cmp_gt_i32_e64 s12, 0, v41
	v_not_b32_e32 v3, v42
	v_ashrrev_i32_e32 v6, 31, v6
	v_xor_b32_e32 v5, vcc_lo, v5
	v_and_b32_e32 v2, v2, v4
	v_cmp_gt_i32_e32 vcc_lo, 0, v42
	v_not_b32_e32 v4, v0
	v_ashrrev_i32_e32 v3, 31, v3
	v_xor_b32_e32 v6, s12, v6
	v_and_b32_e32 v2, v2, v5
	v_lshlrev_b32_e32 v1, 2, v1
	v_cmp_gt_i32_e64 s12, 0, v0
	v_ashrrev_i32_e32 v0, 31, v4
	v_xor_b32_e32 v3, vcc_lo, v3
	v_and_b32_e32 v2, v2, v6
	v_add_lshl_u32 v1, v1, v74, 2
	s_delay_alu instid0(VALU_DEP_4) | instskip(NEXT) | instid1(VALU_DEP_3)
	v_xor_b32_e32 v0, s12, v0
	v_and_b32_e32 v2, v2, v3
	ds_load_b32 v41, v1 offset:16
	v_add_nc_u32_e32 v43, 16, v1
	; wave barrier
	v_and_b32_e32 v0, v2, v0
	s_delay_alu instid0(VALU_DEP_1) | instskip(SKIP_1) | instid1(VALU_DEP_2)
	v_mbcnt_lo_u32_b32 v42, v0, 0
	v_cmp_ne_u32_e64 s12, 0, v0
	v_cmp_eq_u32_e32 vcc_lo, 0, v42
	s_delay_alu instid0(VALU_DEP_2) | instskip(NEXT) | instid1(SALU_CYCLE_1)
	s_and_b32 s24, s12, vcc_lo
	s_and_saveexec_b32 s12, s24
	s_cbranch_execz .LBB111_18
; %bb.17:                               ;   in Loop: Header=BB111_4 Depth=2
	s_waitcnt lgkmcnt(0)
	v_bcnt_u32_b32 v0, v0, v41
	ds_store_b32 v43, v0
.LBB111_18:                             ;   in Loop: Header=BB111_4 Depth=2
	s_or_b32 exec_lo, exec_lo, s12
	v_lshrrev_b64 v[0:1], s22, v[16:17]
	; wave barrier
	s_delay_alu instid0(VALU_DEP_1)
	v_and_b32_e32 v2, 1, v0
	v_lshlrev_b32_e32 v3, 30, v0
	v_lshlrev_b32_e32 v4, 29, v0
	;; [unrolled: 1-line block ×4, first 2 shown]
	v_add_co_u32 v2, s12, v2, -1
	s_delay_alu instid0(VALU_DEP_1)
	v_cndmask_b32_e64 v6, 0, 1, s12
	v_not_b32_e32 v46, v3
	v_cmp_gt_i32_e64 s12, 0, v3
	v_not_b32_e32 v3, v4
	v_lshlrev_b32_e32 v44, 26, v0
	v_cmp_ne_u32_e32 vcc_lo, 0, v6
	v_ashrrev_i32_e32 v6, 31, v46
	v_lshlrev_b32_e32 v45, 25, v0
	v_ashrrev_i32_e32 v3, 31, v3
	v_and_b32_e32 v1, 0xff, v0
	v_xor_b32_e32 v2, vcc_lo, v2
	v_cmp_gt_i32_e32 vcc_lo, 0, v4
	v_not_b32_e32 v4, v5
	v_xor_b32_e32 v6, s12, v6
	v_cmp_gt_i32_e64 s12, 0, v5
	v_and_b32_e32 v2, exec_lo, v2
	v_not_b32_e32 v5, v7
	v_ashrrev_i32_e32 v4, 31, v4
	v_xor_b32_e32 v3, vcc_lo, v3
	v_cmp_gt_i32_e32 vcc_lo, 0, v7
	v_and_b32_e32 v2, v2, v6
	v_not_b32_e32 v6, v44
	v_ashrrev_i32_e32 v5, 31, v5
	v_xor_b32_e32 v4, s12, v4
	v_lshlrev_b32_e32 v0, 24, v0
	v_and_b32_e32 v2, v2, v3
	v_cmp_gt_i32_e64 s12, 0, v44
	v_not_b32_e32 v3, v45
	v_ashrrev_i32_e32 v6, 31, v6
	v_xor_b32_e32 v5, vcc_lo, v5
	v_and_b32_e32 v2, v2, v4
	v_cmp_gt_i32_e32 vcc_lo, 0, v45
	v_not_b32_e32 v4, v0
	v_ashrrev_i32_e32 v3, 31, v3
	v_xor_b32_e32 v6, s12, v6
	v_and_b32_e32 v2, v2, v5
	v_lshlrev_b32_e32 v1, 2, v1
	v_cmp_gt_i32_e64 s12, 0, v0
	v_ashrrev_i32_e32 v0, 31, v4
	v_xor_b32_e32 v3, vcc_lo, v3
	v_and_b32_e32 v2, v2, v6
	v_add_lshl_u32 v1, v1, v74, 2
	s_delay_alu instid0(VALU_DEP_4) | instskip(NEXT) | instid1(VALU_DEP_3)
	v_xor_b32_e32 v0, s12, v0
	v_and_b32_e32 v2, v2, v3
	ds_load_b32 v44, v1 offset:16
	v_add_nc_u32_e32 v46, 16, v1
	; wave barrier
	v_and_b32_e32 v0, v2, v0
	s_delay_alu instid0(VALU_DEP_1) | instskip(SKIP_1) | instid1(VALU_DEP_2)
	v_mbcnt_lo_u32_b32 v45, v0, 0
	v_cmp_ne_u32_e64 s12, 0, v0
	v_cmp_eq_u32_e32 vcc_lo, 0, v45
	s_delay_alu instid0(VALU_DEP_2) | instskip(NEXT) | instid1(SALU_CYCLE_1)
	s_and_b32 s24, s12, vcc_lo
	s_and_saveexec_b32 s12, s24
	s_cbranch_execz .LBB111_20
; %bb.19:                               ;   in Loop: Header=BB111_4 Depth=2
	s_waitcnt lgkmcnt(0)
	v_bcnt_u32_b32 v0, v0, v44
	ds_store_b32 v46, v0
.LBB111_20:                             ;   in Loop: Header=BB111_4 Depth=2
	s_or_b32 exec_lo, exec_lo, s12
	; wave barrier
	s_waitcnt lgkmcnt(0)
	s_barrier
	buffer_gl0_inv
	ds_load_2addr_b64 v[4:7], v66 offset0:2 offset1:3
	ds_load_2addr_b64 v[0:3], v67 offset0:2 offset1:3
	s_waitcnt lgkmcnt(1)
	v_add_nc_u32_e32 v47, v5, v4
	s_delay_alu instid0(VALU_DEP_1) | instskip(SKIP_1) | instid1(VALU_DEP_1)
	v_add3_u32 v47, v47, v6, v7
	s_waitcnt lgkmcnt(0)
	v_add3_u32 v47, v47, v0, v1
	s_delay_alu instid0(VALU_DEP_1) | instskip(NEXT) | instid1(VALU_DEP_1)
	v_add3_u32 v3, v47, v2, v3
	v_mov_b32_dpp v47, v3 row_shr:1 row_mask:0xf bank_mask:0xf
	s_delay_alu instid0(VALU_DEP_1) | instskip(NEXT) | instid1(VALU_DEP_1)
	v_cndmask_b32_e64 v47, v47, 0, s1
	v_add_nc_u32_e32 v3, v47, v3
	s_delay_alu instid0(VALU_DEP_1) | instskip(NEXT) | instid1(VALU_DEP_1)
	v_mov_b32_dpp v47, v3 row_shr:2 row_mask:0xf bank_mask:0xf
	v_cndmask_b32_e64 v47, 0, v47, s2
	s_delay_alu instid0(VALU_DEP_1) | instskip(NEXT) | instid1(VALU_DEP_1)
	v_add_nc_u32_e32 v3, v3, v47
	v_mov_b32_dpp v47, v3 row_shr:4 row_mask:0xf bank_mask:0xf
	s_delay_alu instid0(VALU_DEP_1) | instskip(NEXT) | instid1(VALU_DEP_1)
	v_cndmask_b32_e64 v47, 0, v47, s3
	v_add_nc_u32_e32 v3, v3, v47
	s_delay_alu instid0(VALU_DEP_1) | instskip(NEXT) | instid1(VALU_DEP_1)
	v_mov_b32_dpp v47, v3 row_shr:8 row_mask:0xf bank_mask:0xf
	v_cndmask_b32_e64 v47, 0, v47, s4
	s_delay_alu instid0(VALU_DEP_1) | instskip(SKIP_3) | instid1(VALU_DEP_1)
	v_add_nc_u32_e32 v3, v3, v47
	ds_swizzle_b32 v47, v3 offset:swizzle(BROADCAST,32,15)
	s_waitcnt lgkmcnt(0)
	v_cndmask_b32_e64 v47, v47, 0, s5
	v_add_nc_u32_e32 v3, v3, v47
	s_and_saveexec_b32 s12, s11
	s_cbranch_execz .LBB111_22
; %bb.21:                               ;   in Loop: Header=BB111_4 Depth=2
	ds_store_b32 v69, v3
.LBB111_22:                             ;   in Loop: Header=BB111_4 Depth=2
	s_or_b32 exec_lo, exec_lo, s12
	s_waitcnt lgkmcnt(0)
	s_barrier
	buffer_gl0_inv
	s_and_saveexec_b32 s12, s6
	s_cbranch_execz .LBB111_24
; %bb.23:                               ;   in Loop: Header=BB111_4 Depth=2
	ds_load_b32 v47, v70
	s_waitcnt lgkmcnt(0)
	v_mov_b32_dpp v48, v47 row_shr:1 row_mask:0xf bank_mask:0xf
	s_delay_alu instid0(VALU_DEP_1) | instskip(NEXT) | instid1(VALU_DEP_1)
	v_cndmask_b32_e64 v48, v48, 0, s9
	v_add_nc_u32_e32 v47, v48, v47
	s_delay_alu instid0(VALU_DEP_1) | instskip(NEXT) | instid1(VALU_DEP_1)
	v_mov_b32_dpp v48, v47 row_shr:2 row_mask:0xf bank_mask:0xf
	v_cndmask_b32_e64 v48, 0, v48, s10
	s_delay_alu instid0(VALU_DEP_1)
	v_add_nc_u32_e32 v47, v47, v48
	ds_store_b32 v70, v47
.LBB111_24:                             ;   in Loop: Header=BB111_4 Depth=2
	s_or_b32 exec_lo, exec_lo, s12
	v_mov_b32_e32 v47, 0
	s_waitcnt lgkmcnt(0)
	s_barrier
	buffer_gl0_inv
	s_and_saveexec_b32 s12, s7
	s_cbranch_execz .LBB111_26
; %bb.25:                               ;   in Loop: Header=BB111_4 Depth=2
	ds_load_b32 v47, v73
.LBB111_26:                             ;   in Loop: Header=BB111_4 Depth=2
	s_or_b32 exec_lo, exec_lo, s12
	s_waitcnt lgkmcnt(0)
	v_add_nc_u32_e32 v3, v47, v3
	s_cmp_gt_u32 s22, 55
	ds_bpermute_b32 v3, v68, v3
	s_waitcnt lgkmcnt(0)
	v_cndmask_b32_e64 v3, v3, v47, s0
	s_delay_alu instid0(VALU_DEP_1) | instskip(NEXT) | instid1(VALU_DEP_1)
	v_cndmask_b32_e64 v3, v3, 0, s8
	v_add_nc_u32_e32 v4, v3, v4
	s_delay_alu instid0(VALU_DEP_1) | instskip(NEXT) | instid1(VALU_DEP_1)
	v_add_nc_u32_e32 v5, v4, v5
	v_add_nc_u32_e32 v6, v5, v6
	s_delay_alu instid0(VALU_DEP_1) | instskip(NEXT) | instid1(VALU_DEP_1)
	v_add_nc_u32_e32 v47, v6, v7
	;; [unrolled: 3-line block ×3, first 2 shown]
	v_add_nc_u32_e32 v1, v0, v2
	ds_store_2addr_b64 v66, v[3:4], v[5:6] offset0:2 offset1:3
	ds_store_2addr_b64 v67, v[47:48], v[0:1] offset0:2 offset1:3
	s_waitcnt lgkmcnt(0)
	s_barrier
	buffer_gl0_inv
	ds_load_b32 v0, v9
	ds_load_b32 v1, v12
	ds_load_b32 v2, v15
	ds_load_b32 v3, v34
	ds_load_b32 v4, v37
	ds_load_b32 v5, v40
	ds_load_b32 v6, v43
	ds_load_b32 v7, v46
	s_waitcnt lgkmcnt(7)
	v_add_nc_u32_e32 v82, v0, v8
	s_waitcnt lgkmcnt(6)
	v_add3_u32 v81, v11, v10, v1
	s_waitcnt lgkmcnt(5)
	v_add3_u32 v80, v14, v13, v2
	;; [unrolled: 2-line block ×7, first 2 shown]
	s_cbranch_scc0 .LBB111_3
; %bb.27:                               ;   in Loop: Header=BB111_2 Depth=1
                                        ; implicit-def: $vgpr47_vgpr48
                                        ; implicit-def: $vgpr43_vgpr44
                                        ; implicit-def: $vgpr39_vgpr40
                                        ; implicit-def: $vgpr35_vgpr36
                                        ; implicit-def: $vgpr14_vgpr15
                                        ; implicit-def: $vgpr10_vgpr11
                                        ; implicit-def: $vgpr6_vgpr7
                                        ; implicit-def: $vgpr2_vgpr3
                                        ; implicit-def: $sgpr22_sgpr23
	s_branch .LBB111_1
.LBB111_28:
	s_waitcnt lgkmcnt(3)
	v_add_co_u32 v13, vcc_lo, v13, v21
	v_add_co_ci_u32_e32 v14, vcc_lo, v14, v22, vcc_lo
	v_add_co_u32 v15, vcc_lo, v15, v23
	v_add_co_ci_u32_e32 v16, vcc_lo, v16, v24, vcc_lo
	s_waitcnt lgkmcnt(2)
	v_add_co_u32 v9, vcc_lo, v9, v25
	v_add_co_ci_u32_e32 v10, vcc_lo, v10, v26, vcc_lo
	v_add_co_u32 v11, vcc_lo, v11, v27
	v_add_co_ci_u32_e32 v12, vcc_lo, v12, v28, vcc_lo
	s_waitcnt lgkmcnt(1)
	v_add_co_u32 v5, vcc_lo, v5, v29
	v_add_co_ci_u32_e32 v6, vcc_lo, v6, v30, vcc_lo
	v_lshlrev_b32_e32 v21, 3, v49
	v_add_co_u32 v7, vcc_lo, v7, v31
	v_add_co_ci_u32_e32 v8, vcc_lo, v8, v32, vcc_lo
	s_add_u32 s0, s18, s14
	s_waitcnt lgkmcnt(0)
	v_add_co_u32 v0, vcc_lo, v1, v17
	s_addc_u32 s1, s19, s15
	v_add_co_u32 v17, s2, s0, v21
	v_add_co_ci_u32_e32 v1, vcc_lo, v2, v18, vcc_lo
	v_add_co_ci_u32_e64 v18, null, s1, 0, s2
	v_add_co_u32 v2, vcc_lo, v3, v19
	v_add_co_ci_u32_e32 v3, vcc_lo, v4, v20, vcc_lo
	v_add_co_u32 v17, vcc_lo, 0x1000, v17
	s_delay_alu instid0(VALU_DEP_4)
	v_add_co_ci_u32_e32 v18, vcc_lo, 0, v18, vcc_lo
	s_clause 0x7
	global_store_b64 v21, v[13:14], s[0:1]
	global_store_b64 v21, v[15:16], s[0:1] offset:1024
	global_store_b64 v21, v[9:10], s[0:1] offset:2048
	;; [unrolled: 1-line block ×3, first 2 shown]
	global_store_b64 v[17:18], v[5:6], off
	global_store_b64 v[17:18], v[7:8], off offset:1024
	global_store_b64 v[17:18], v[0:1], off offset:2048
	;; [unrolled: 1-line block ×3, first 2 shown]
	s_nop 0
	s_sendmsg sendmsg(MSG_DEALLOC_VGPRS)
	s_endpgm
	.section	.rodata,"a",@progbits
	.p2align	6, 0x0
	.amdhsa_kernel _Z17sort_pairs_kernelI22helper_blocked_blockedxLj128ELj8ELj10EEvPKT0_PS1_
		.amdhsa_group_segment_fixed_size 8192
		.amdhsa_private_segment_fixed_size 0
		.amdhsa_kernarg_size 272
		.amdhsa_user_sgpr_count 15
		.amdhsa_user_sgpr_dispatch_ptr 0
		.amdhsa_user_sgpr_queue_ptr 0
		.amdhsa_user_sgpr_kernarg_segment_ptr 1
		.amdhsa_user_sgpr_dispatch_id 0
		.amdhsa_user_sgpr_private_segment_size 0
		.amdhsa_wavefront_size32 1
		.amdhsa_uses_dynamic_stack 0
		.amdhsa_enable_private_segment 0
		.amdhsa_system_sgpr_workgroup_id_x 1
		.amdhsa_system_sgpr_workgroup_id_y 0
		.amdhsa_system_sgpr_workgroup_id_z 0
		.amdhsa_system_sgpr_workgroup_info 0
		.amdhsa_system_vgpr_workitem_id 2
		.amdhsa_next_free_vgpr 83
		.amdhsa_next_free_sgpr 25
		.amdhsa_reserve_vcc 1
		.amdhsa_float_round_mode_32 0
		.amdhsa_float_round_mode_16_64 0
		.amdhsa_float_denorm_mode_32 3
		.amdhsa_float_denorm_mode_16_64 3
		.amdhsa_dx10_clamp 1
		.amdhsa_ieee_mode 1
		.amdhsa_fp16_overflow 0
		.amdhsa_workgroup_processor_mode 1
		.amdhsa_memory_ordered 1
		.amdhsa_forward_progress 0
		.amdhsa_shared_vgpr_count 0
		.amdhsa_exception_fp_ieee_invalid_op 0
		.amdhsa_exception_fp_denorm_src 0
		.amdhsa_exception_fp_ieee_div_zero 0
		.amdhsa_exception_fp_ieee_overflow 0
		.amdhsa_exception_fp_ieee_underflow 0
		.amdhsa_exception_fp_ieee_inexact 0
		.amdhsa_exception_int_div_zero 0
	.end_amdhsa_kernel
	.section	.text._Z17sort_pairs_kernelI22helper_blocked_blockedxLj128ELj8ELj10EEvPKT0_PS1_,"axG",@progbits,_Z17sort_pairs_kernelI22helper_blocked_blockedxLj128ELj8ELj10EEvPKT0_PS1_,comdat
.Lfunc_end111:
	.size	_Z17sort_pairs_kernelI22helper_blocked_blockedxLj128ELj8ELj10EEvPKT0_PS1_, .Lfunc_end111-_Z17sort_pairs_kernelI22helper_blocked_blockedxLj128ELj8ELj10EEvPKT0_PS1_
                                        ; -- End function
	.section	.AMDGPU.csdata,"",@progbits
; Kernel info:
; codeLenInByte = 5176
; NumSgprs: 27
; NumVgprs: 83
; ScratchSize: 0
; MemoryBound: 0
; FloatMode: 240
; IeeeMode: 1
; LDSByteSize: 8192 bytes/workgroup (compile time only)
; SGPRBlocks: 3
; VGPRBlocks: 10
; NumSGPRsForWavesPerEU: 27
; NumVGPRsForWavesPerEU: 83
; Occupancy: 16
; WaveLimiterHint : 1
; COMPUTE_PGM_RSRC2:SCRATCH_EN: 0
; COMPUTE_PGM_RSRC2:USER_SGPR: 15
; COMPUTE_PGM_RSRC2:TRAP_HANDLER: 0
; COMPUTE_PGM_RSRC2:TGID_X_EN: 1
; COMPUTE_PGM_RSRC2:TGID_Y_EN: 0
; COMPUTE_PGM_RSRC2:TGID_Z_EN: 0
; COMPUTE_PGM_RSRC2:TIDIG_COMP_CNT: 2
	.section	.text._Z16sort_keys_kernelI22helper_blocked_blockedxLj192ELj1ELj10EEvPKT0_PS1_,"axG",@progbits,_Z16sort_keys_kernelI22helper_blocked_blockedxLj192ELj1ELj10EEvPKT0_PS1_,comdat
	.protected	_Z16sort_keys_kernelI22helper_blocked_blockedxLj192ELj1ELj10EEvPKT0_PS1_ ; -- Begin function _Z16sort_keys_kernelI22helper_blocked_blockedxLj192ELj1ELj10EEvPKT0_PS1_
	.globl	_Z16sort_keys_kernelI22helper_blocked_blockedxLj192ELj1ELj10EEvPKT0_PS1_
	.p2align	8
	.type	_Z16sort_keys_kernelI22helper_blocked_blockedxLj192ELj1ELj10EEvPKT0_PS1_,@function
_Z16sort_keys_kernelI22helper_blocked_blockedxLj192ELj1ELj10EEvPKT0_PS1_: ; @_Z16sort_keys_kernelI22helper_blocked_blockedxLj192ELj1ELj10EEvPKT0_PS1_
; %bb.0:
	s_clause 0x1
	s_load_b128 s[16:19], s[0:1], 0x0
	s_load_b32 s12, s[0:1], 0x1c
	v_and_b32_e32 v8, 0x3ff, v0
	s_mov_b32 s21, 0
	s_mul_i32 s20, s15, 0xc0
	v_mbcnt_lo_u32_b32 v5, -1, 0
	s_lshl_b64 s[14:15], s[20:21], 3
	v_lshlrev_b32_e32 v1, 3, v8
	s_mov_b32 s20, s21
	v_bfe_u32 v3, v0, 10, 10
	v_and_b32_e32 v6, 16, v5
	v_add_nc_u32_e32 v7, -1, v5
	v_bfe_u32 v0, v0, 20, 10
	v_dual_mov_b32 v11, s20 :: v_dual_and_b32 v4, 15, v5
	v_mov_b32_e32 v12, s21
	v_cmp_eq_u32_e64 s5, 0, v6
	v_cmp_gt_i32_e32 vcc_lo, 0, v7
	s_delay_alu instid0(VALU_DEP_4)
	v_cmp_lt_u32_e64 s2, 1, v4
	v_cmp_lt_u32_e64 s3, 3, v4
	s_waitcnt lgkmcnt(0)
	s_add_u32 s0, s16, s14
	s_addc_u32 s1, s17, s15
	s_lshr_b32 s13, s12, 16
	global_load_b64 v[1:2], v1, s[0:1]
	s_mov_b32 s1, s21
	s_mov_b32 s0, s21
	s_delay_alu instid0(SALU_CYCLE_1)
	v_dual_mov_b32 v10, s1 :: v_dual_mov_b32 v9, s0
	v_dual_cndmask_b32 v7, v7, v5 :: v_dual_and_b32 v6, 0xe0, v8
	v_cmp_eq_u32_e64 s1, 0, v4
	v_cmp_lt_u32_e64 s4, 7, v4
	v_lshrrev_b32_e32 v4, 3, v8
	v_mad_u32_u24 v0, v0, s13, v3
	v_and_b32_e32 v13, 7, v5
	v_lshlrev_b32_e32 v15, 5, v8
	v_min_u32_e32 v14, 0xa0, v6
	s_and_b32 s12, s12, 0xffff
	v_and_b32_e32 v17, 28, v4
	v_mad_u64_u32 v[3:4], null, v0, s12, v[8:9]
	v_cmp_eq_u32_e64 s9, 0, v13
	v_cmp_lt_u32_e64 s10, 1, v13
	v_cmp_lt_u32_e64 s11, 3, v13
	v_lshlrev_b32_e32 v13, 2, v8
	v_or_b32_e32 v0, v5, v6
	v_or_b32_e32 v4, 31, v14
	v_mad_i32_i24 v19, 0xffffffe4, v8, v15
	v_cmp_eq_u32_e64 s0, 0, v5
	v_cmp_gt_u32_e64 s6, 6, v8
	v_cmp_lt_u32_e64 s7, 31, v8
	v_cmp_eq_u32_e64 s8, 0, v8
	v_or_b32_e32 v16, 24, v15
	v_lshlrev_b32_e32 v18, 2, v7
	v_add_nc_u32_e32 v20, -4, v17
	v_lshlrev_b32_e32 v21, 3, v0
	v_cmp_eq_u32_e64 s12, v4, v8
	v_lshrrev_b32_e32 v22, 5, v3
	v_add_nc_u32_e32 v23, v19, v13
	s_waitcnt vmcnt(0)
	v_xor_b32_e32 v2, 0x80000000, v2
	s_branch .LBB112_2
.LBB112_1:                              ;   in Loop: Header=BB112_2 Depth=1
	s_delay_alu instid0(VALU_DEP_1)
	v_lshlrev_b32_e32 v0, 3, v0
	s_barrier
	buffer_gl0_inv
	s_add_i32 s21, s21, 1
	ds_store_b64 v0, v[13:14]
	s_waitcnt lgkmcnt(0)
	s_barrier
	buffer_gl0_inv
	ds_load_b64 v[1:2], v23
	s_cmp_eq_u32 s21, 10
	s_cbranch_scc1 .LBB112_14
.LBB112_2:                              ; =>This Loop Header: Depth=1
                                        ;     Child Loop BB112_4 Depth 2
	s_mov_b64 s[16:17], 0
	s_branch .LBB112_4
.LBB112_3:                              ;   in Loop: Header=BB112_4 Depth=2
	s_delay_alu instid0(VALU_DEP_1)
	v_lshlrev_b32_e32 v1, 3, v0
	s_barrier
	buffer_gl0_inv
	s_add_u32 s16, s16, 8
	ds_store_b64 v1, v[13:14]
	s_waitcnt lgkmcnt(0)
	s_barrier
	buffer_gl0_inv
	ds_load_b64 v[1:2], v21
	s_addc_u32 s17, s17, 0
	s_waitcnt lgkmcnt(0)
	s_barrier
	buffer_gl0_inv
	s_cbranch_execz .LBB112_1
.LBB112_4:                              ;   Parent Loop BB112_2 Depth=1
                                        ; =>  This Inner Loop Header: Depth=2
	s_waitcnt lgkmcnt(0)
	v_dual_mov_b32 v14, v2 :: v_dual_mov_b32 v13, v1
	ds_store_2addr_b64 v15, v[11:12], v[9:10] offset0:3 offset1:4
	ds_store_2addr_b64 v16, v[11:12], v[9:10] offset0:2 offset1:3
	s_waitcnt lgkmcnt(0)
	s_barrier
	buffer_gl0_inv
	v_lshrrev_b64 v[1:2], s16, v[13:14]
	; wave barrier
	s_delay_alu instid0(VALU_DEP_1)
	v_and_b32_e32 v0, 1, v1
	v_lshlrev_b32_e32 v2, 30, v1
	v_lshlrev_b32_e32 v3, 29, v1
	;; [unrolled: 1-line block ×4, first 2 shown]
	v_add_co_u32 v0, s13, v0, -1
	s_delay_alu instid0(VALU_DEP_1)
	v_cndmask_b32_e64 v5, 0, 1, s13
	v_not_b32_e32 v25, v2
	v_cmp_gt_i32_e64 s13, 0, v2
	v_not_b32_e32 v2, v3
	v_lshlrev_b32_e32 v7, 26, v1
	v_cmp_ne_u32_e32 vcc_lo, 0, v5
	v_ashrrev_i32_e32 v25, 31, v25
	v_lshlrev_b32_e32 v24, 25, v1
	v_ashrrev_i32_e32 v2, 31, v2
	v_lshlrev_b32_e32 v5, 24, v1
	v_xor_b32_e32 v0, vcc_lo, v0
	v_cmp_gt_i32_e32 vcc_lo, 0, v3
	v_not_b32_e32 v3, v4
	v_xor_b32_e32 v25, s13, v25
	v_cmp_gt_i32_e64 s13, 0, v4
	v_and_b32_e32 v0, exec_lo, v0
	v_not_b32_e32 v4, v6
	v_ashrrev_i32_e32 v3, 31, v3
	v_xor_b32_e32 v2, vcc_lo, v2
	v_cmp_gt_i32_e32 vcc_lo, 0, v6
	v_and_b32_e32 v0, v0, v25
	v_not_b32_e32 v6, v7
	v_ashrrev_i32_e32 v4, 31, v4
	v_xor_b32_e32 v3, s13, v3
	v_cmp_gt_i32_e64 s13, 0, v7
	v_and_b32_e32 v0, v0, v2
	v_not_b32_e32 v2, v24
	v_ashrrev_i32_e32 v6, 31, v6
	v_xor_b32_e32 v4, vcc_lo, v4
	v_cmp_gt_i32_e32 vcc_lo, 0, v24
	v_and_b32_e32 v0, v0, v3
	v_not_b32_e32 v3, v5
	v_ashrrev_i32_e32 v2, 31, v2
	v_xor_b32_e32 v6, s13, v6
	v_cmp_gt_i32_e64 s13, 0, v5
	v_and_b32_e32 v0, v0, v4
	v_ashrrev_i32_e32 v3, 31, v3
	v_xor_b32_e32 v2, vcc_lo, v2
	v_and_b32_e32 v1, 0xff, v1
	s_delay_alu instid0(VALU_DEP_4) | instskip(NEXT) | instid1(VALU_DEP_4)
	v_and_b32_e32 v0, v0, v6
	v_xor_b32_e32 v3, s13, v3
	s_delay_alu instid0(VALU_DEP_3) | instskip(NEXT) | instid1(VALU_DEP_3)
	v_mad_u32_u24 v1, v1, 6, v22
	v_and_b32_e32 v0, v0, v2
	s_delay_alu instid0(VALU_DEP_2) | instskip(NEXT) | instid1(VALU_DEP_2)
	v_lshl_add_u32 v25, v1, 2, 24
	v_and_b32_e32 v0, v0, v3
	s_delay_alu instid0(VALU_DEP_1) | instskip(SKIP_1) | instid1(VALU_DEP_2)
	v_mbcnt_lo_u32_b32 v24, v0, 0
	v_cmp_ne_u32_e64 s13, 0, v0
	v_cmp_eq_u32_e32 vcc_lo, 0, v24
	s_delay_alu instid0(VALU_DEP_2) | instskip(NEXT) | instid1(SALU_CYCLE_1)
	s_and_b32 s20, s13, vcc_lo
	s_and_saveexec_b32 s13, s20
	s_cbranch_execz .LBB112_6
; %bb.5:                                ;   in Loop: Header=BB112_4 Depth=2
	v_bcnt_u32_b32 v0, v0, 0
	ds_store_b32 v25, v0
.LBB112_6:                              ;   in Loop: Header=BB112_4 Depth=2
	s_or_b32 exec_lo, exec_lo, s13
	; wave barrier
	s_waitcnt lgkmcnt(0)
	s_barrier
	buffer_gl0_inv
	ds_load_2addr_b64 v[4:7], v15 offset0:3 offset1:4
	ds_load_2addr_b64 v[0:3], v16 offset0:2 offset1:3
	s_waitcnt lgkmcnt(1)
	v_add_nc_u32_e32 v26, v5, v4
	s_delay_alu instid0(VALU_DEP_1) | instskip(SKIP_1) | instid1(VALU_DEP_1)
	v_add3_u32 v26, v26, v6, v7
	s_waitcnt lgkmcnt(0)
	v_add3_u32 v26, v26, v0, v1
	s_delay_alu instid0(VALU_DEP_1) | instskip(NEXT) | instid1(VALU_DEP_1)
	v_add3_u32 v3, v26, v2, v3
	v_mov_b32_dpp v26, v3 row_shr:1 row_mask:0xf bank_mask:0xf
	s_delay_alu instid0(VALU_DEP_1) | instskip(NEXT) | instid1(VALU_DEP_1)
	v_cndmask_b32_e64 v26, v26, 0, s1
	v_add_nc_u32_e32 v3, v26, v3
	s_delay_alu instid0(VALU_DEP_1) | instskip(NEXT) | instid1(VALU_DEP_1)
	v_mov_b32_dpp v26, v3 row_shr:2 row_mask:0xf bank_mask:0xf
	v_cndmask_b32_e64 v26, 0, v26, s2
	s_delay_alu instid0(VALU_DEP_1) | instskip(NEXT) | instid1(VALU_DEP_1)
	v_add_nc_u32_e32 v3, v3, v26
	v_mov_b32_dpp v26, v3 row_shr:4 row_mask:0xf bank_mask:0xf
	s_delay_alu instid0(VALU_DEP_1) | instskip(NEXT) | instid1(VALU_DEP_1)
	v_cndmask_b32_e64 v26, 0, v26, s3
	v_add_nc_u32_e32 v3, v3, v26
	s_delay_alu instid0(VALU_DEP_1) | instskip(NEXT) | instid1(VALU_DEP_1)
	v_mov_b32_dpp v26, v3 row_shr:8 row_mask:0xf bank_mask:0xf
	v_cndmask_b32_e64 v26, 0, v26, s4
	s_delay_alu instid0(VALU_DEP_1) | instskip(SKIP_3) | instid1(VALU_DEP_1)
	v_add_nc_u32_e32 v3, v3, v26
	ds_swizzle_b32 v26, v3 offset:swizzle(BROADCAST,32,15)
	s_waitcnt lgkmcnt(0)
	v_cndmask_b32_e64 v26, v26, 0, s5
	v_add_nc_u32_e32 v3, v3, v26
	s_and_saveexec_b32 s13, s12
	s_cbranch_execz .LBB112_8
; %bb.7:                                ;   in Loop: Header=BB112_4 Depth=2
	ds_store_b32 v17, v3
.LBB112_8:                              ;   in Loop: Header=BB112_4 Depth=2
	s_or_b32 exec_lo, exec_lo, s13
	s_waitcnt lgkmcnt(0)
	s_barrier
	buffer_gl0_inv
	s_and_saveexec_b32 s13, s6
	s_cbranch_execz .LBB112_10
; %bb.9:                                ;   in Loop: Header=BB112_4 Depth=2
	ds_load_b32 v26, v19
	s_waitcnt lgkmcnt(0)
	v_mov_b32_dpp v27, v26 row_shr:1 row_mask:0xf bank_mask:0xf
	s_delay_alu instid0(VALU_DEP_1) | instskip(NEXT) | instid1(VALU_DEP_1)
	v_cndmask_b32_e64 v27, v27, 0, s9
	v_add_nc_u32_e32 v26, v27, v26
	s_delay_alu instid0(VALU_DEP_1) | instskip(NEXT) | instid1(VALU_DEP_1)
	v_mov_b32_dpp v27, v26 row_shr:2 row_mask:0xf bank_mask:0xf
	v_cndmask_b32_e64 v27, 0, v27, s10
	s_delay_alu instid0(VALU_DEP_1) | instskip(NEXT) | instid1(VALU_DEP_1)
	v_add_nc_u32_e32 v26, v26, v27
	v_mov_b32_dpp v27, v26 row_shr:4 row_mask:0xf bank_mask:0xf
	s_delay_alu instid0(VALU_DEP_1) | instskip(NEXT) | instid1(VALU_DEP_1)
	v_cndmask_b32_e64 v27, 0, v27, s11
	v_add_nc_u32_e32 v26, v26, v27
	ds_store_b32 v19, v26
.LBB112_10:                             ;   in Loop: Header=BB112_4 Depth=2
	s_or_b32 exec_lo, exec_lo, s13
	v_mov_b32_e32 v26, 0
	s_waitcnt lgkmcnt(0)
	s_barrier
	buffer_gl0_inv
	s_and_saveexec_b32 s13, s7
	s_cbranch_execz .LBB112_12
; %bb.11:                               ;   in Loop: Header=BB112_4 Depth=2
	ds_load_b32 v26, v20
.LBB112_12:                             ;   in Loop: Header=BB112_4 Depth=2
	s_or_b32 exec_lo, exec_lo, s13
	s_waitcnt lgkmcnt(0)
	v_add_nc_u32_e32 v3, v26, v3
	s_cmp_gt_u32 s16, 55
	ds_bpermute_b32 v3, v18, v3
	s_waitcnt lgkmcnt(0)
	v_cndmask_b32_e64 v3, v3, v26, s0
	s_delay_alu instid0(VALU_DEP_1) | instskip(NEXT) | instid1(VALU_DEP_1)
	v_cndmask_b32_e64 v3, v3, 0, s8
	v_add_nc_u32_e32 v4, v3, v4
	s_delay_alu instid0(VALU_DEP_1) | instskip(NEXT) | instid1(VALU_DEP_1)
	v_add_nc_u32_e32 v5, v4, v5
	v_add_nc_u32_e32 v6, v5, v6
	s_delay_alu instid0(VALU_DEP_1) | instskip(NEXT) | instid1(VALU_DEP_1)
	v_add_nc_u32_e32 v26, v6, v7
	;; [unrolled: 3-line block ×3, first 2 shown]
	v_add_nc_u32_e32 v1, v0, v2
	ds_store_2addr_b64 v15, v[3:4], v[5:6] offset0:3 offset1:4
	ds_store_2addr_b64 v16, v[26:27], v[0:1] offset0:2 offset1:3
	s_waitcnt lgkmcnt(0)
	s_barrier
	buffer_gl0_inv
	ds_load_b32 v0, v25
	s_waitcnt lgkmcnt(0)
	v_add_nc_u32_e32 v0, v0, v24
	s_cbranch_scc0 .LBB112_3
; %bb.13:                               ;   in Loop: Header=BB112_2 Depth=1
                                        ; implicit-def: $vgpr1_vgpr2
                                        ; implicit-def: $sgpr16_sgpr17
	s_branch .LBB112_1
.LBB112_14:
	s_waitcnt lgkmcnt(0)
	v_xor_b32_e32 v2, 0x80000000, v2
	v_lshlrev_b32_e32 v0, 3, v8
	s_add_u32 s0, s18, s14
	s_addc_u32 s1, s19, s15
	global_store_b64 v0, v[1:2], s[0:1]
	s_nop 0
	s_sendmsg sendmsg(MSG_DEALLOC_VGPRS)
	s_endpgm
	.section	.rodata,"a",@progbits
	.p2align	6, 0x0
	.amdhsa_kernel _Z16sort_keys_kernelI22helper_blocked_blockedxLj192ELj1ELj10EEvPKT0_PS1_
		.amdhsa_group_segment_fixed_size 6176
		.amdhsa_private_segment_fixed_size 0
		.amdhsa_kernarg_size 272
		.amdhsa_user_sgpr_count 15
		.amdhsa_user_sgpr_dispatch_ptr 0
		.amdhsa_user_sgpr_queue_ptr 0
		.amdhsa_user_sgpr_kernarg_segment_ptr 1
		.amdhsa_user_sgpr_dispatch_id 0
		.amdhsa_user_sgpr_private_segment_size 0
		.amdhsa_wavefront_size32 1
		.amdhsa_uses_dynamic_stack 0
		.amdhsa_enable_private_segment 0
		.amdhsa_system_sgpr_workgroup_id_x 1
		.amdhsa_system_sgpr_workgroup_id_y 0
		.amdhsa_system_sgpr_workgroup_id_z 0
		.amdhsa_system_sgpr_workgroup_info 0
		.amdhsa_system_vgpr_workitem_id 2
		.amdhsa_next_free_vgpr 28
		.amdhsa_next_free_sgpr 22
		.amdhsa_reserve_vcc 1
		.amdhsa_float_round_mode_32 0
		.amdhsa_float_round_mode_16_64 0
		.amdhsa_float_denorm_mode_32 3
		.amdhsa_float_denorm_mode_16_64 3
		.amdhsa_dx10_clamp 1
		.amdhsa_ieee_mode 1
		.amdhsa_fp16_overflow 0
		.amdhsa_workgroup_processor_mode 1
		.amdhsa_memory_ordered 1
		.amdhsa_forward_progress 0
		.amdhsa_shared_vgpr_count 0
		.amdhsa_exception_fp_ieee_invalid_op 0
		.amdhsa_exception_fp_denorm_src 0
		.amdhsa_exception_fp_ieee_div_zero 0
		.amdhsa_exception_fp_ieee_overflow 0
		.amdhsa_exception_fp_ieee_underflow 0
		.amdhsa_exception_fp_ieee_inexact 0
		.amdhsa_exception_int_div_zero 0
	.end_amdhsa_kernel
	.section	.text._Z16sort_keys_kernelI22helper_blocked_blockedxLj192ELj1ELj10EEvPKT0_PS1_,"axG",@progbits,_Z16sort_keys_kernelI22helper_blocked_blockedxLj192ELj1ELj10EEvPKT0_PS1_,comdat
.Lfunc_end112:
	.size	_Z16sort_keys_kernelI22helper_blocked_blockedxLj192ELj1ELj10EEvPKT0_PS1_, .Lfunc_end112-_Z16sort_keys_kernelI22helper_blocked_blockedxLj192ELj1ELj10EEvPKT0_PS1_
                                        ; -- End function
	.section	.AMDGPU.csdata,"",@progbits
; Kernel info:
; codeLenInByte = 1472
; NumSgprs: 24
; NumVgprs: 28
; ScratchSize: 0
; MemoryBound: 0
; FloatMode: 240
; IeeeMode: 1
; LDSByteSize: 6176 bytes/workgroup (compile time only)
; SGPRBlocks: 2
; VGPRBlocks: 3
; NumSGPRsForWavesPerEU: 24
; NumVGPRsForWavesPerEU: 28
; Occupancy: 15
; WaveLimiterHint : 0
; COMPUTE_PGM_RSRC2:SCRATCH_EN: 0
; COMPUTE_PGM_RSRC2:USER_SGPR: 15
; COMPUTE_PGM_RSRC2:TRAP_HANDLER: 0
; COMPUTE_PGM_RSRC2:TGID_X_EN: 1
; COMPUTE_PGM_RSRC2:TGID_Y_EN: 0
; COMPUTE_PGM_RSRC2:TGID_Z_EN: 0
; COMPUTE_PGM_RSRC2:TIDIG_COMP_CNT: 2
	.section	.text._Z17sort_pairs_kernelI22helper_blocked_blockedxLj192ELj1ELj10EEvPKT0_PS1_,"axG",@progbits,_Z17sort_pairs_kernelI22helper_blocked_blockedxLj192ELj1ELj10EEvPKT0_PS1_,comdat
	.protected	_Z17sort_pairs_kernelI22helper_blocked_blockedxLj192ELj1ELj10EEvPKT0_PS1_ ; -- Begin function _Z17sort_pairs_kernelI22helper_blocked_blockedxLj192ELj1ELj10EEvPKT0_PS1_
	.globl	_Z17sort_pairs_kernelI22helper_blocked_blockedxLj192ELj1ELj10EEvPKT0_PS1_
	.p2align	8
	.type	_Z17sort_pairs_kernelI22helper_blocked_blockedxLj192ELj1ELj10EEvPKT0_PS1_,@function
_Z17sort_pairs_kernelI22helper_blocked_blockedxLj192ELj1ELj10EEvPKT0_PS1_: ; @_Z17sort_pairs_kernelI22helper_blocked_blockedxLj192ELj1ELj10EEvPKT0_PS1_
; %bb.0:
	s_clause 0x1
	s_load_b128 s[16:19], s[0:1], 0x0
	s_load_b32 s12, s[0:1], 0x1c
	v_and_b32_e32 v8, 0x3ff, v0
	s_mov_b32 s21, 0
	s_mul_i32 s20, s15, 0xc0
	v_mbcnt_lo_u32_b32 v5, -1, 0
	s_lshl_b64 s[14:15], s[20:21], 3
	v_lshlrev_b32_e32 v1, 3, v8
	s_mov_b32 s20, s21
	v_bfe_u32 v3, v0, 10, 10
	v_bfe_u32 v0, v0, 20, 10
	v_dual_mov_b32 v11, s20 :: v_dual_and_b32 v4, 15, v5
	v_and_b32_e32 v6, 16, v5
	v_dual_mov_b32 v12, s21 :: v_dual_add_nc_u32 v7, -1, v5
	s_delay_alu instid0(VALU_DEP_3)
	v_cmp_lt_u32_e64 s2, 1, v4
	v_cmp_lt_u32_e64 s3, 3, v4
	;; [unrolled: 1-line block ×3, first 2 shown]
	v_cmp_eq_u32_e64 s5, 0, v6
	s_waitcnt lgkmcnt(0)
	s_add_u32 s0, s16, s14
	s_addc_u32 s1, s17, s15
	s_lshr_b32 s13, s12, 16
	global_load_b64 v[1:2], v1, s[0:1]
	s_mov_b32 s1, s21
	s_mov_b32 s0, s21
	s_delay_alu instid0(SALU_CYCLE_1)
	v_dual_mov_b32 v10, s1 :: v_dual_mov_b32 v9, s0
	v_cmp_eq_u32_e64 s1, 0, v4
	v_cmp_gt_i32_e32 vcc_lo, 0, v7
	v_and_b32_e32 v6, 0xe0, v8
	v_lshrrev_b32_e32 v4, 3, v8
	v_mad_u32_u24 v0, v0, s13, v3
	s_and_b32 s12, s12, 0xffff
	v_cndmask_b32_e32 v7, v7, v5, vcc_lo
	v_and_b32_e32 v13, 7, v5
	v_lshlrev_b32_e32 v17, 5, v8
	v_min_u32_e32 v14, 0xa0, v6
	v_and_b32_e32 v19, 28, v4
	v_mad_u64_u32 v[3:4], null, v0, s12, v[8:9]
	v_cmp_eq_u32_e64 s9, 0, v13
	v_cmp_lt_u32_e64 s10, 1, v13
	v_cmp_lt_u32_e64 s11, 3, v13
	v_lshlrev_b32_e32 v13, 2, v8
	v_or_b32_e32 v0, v5, v6
	v_or_b32_e32 v4, 31, v14
	v_mad_i32_i24 v21, 0xffffffe4, v8, v17
	v_lshrrev_b32_e32 v24, 5, v3
	v_cmp_eq_u32_e64 s0, 0, v5
	v_cmp_gt_u32_e64 s6, 6, v8
	v_cmp_lt_u32_e64 s7, 31, v8
	v_cmp_eq_u32_e64 s8, 0, v8
	v_or_b32_e32 v18, 24, v17
	v_lshlrev_b32_e32 v20, 2, v7
	v_add_nc_u32_e32 v22, -4, v19
	v_lshlrev_b32_e32 v23, 3, v0
	v_cmp_eq_u32_e64 s12, v4, v8
	v_add_nc_u32_e32 v25, v21, v13
	s_waitcnt vmcnt(0)
	v_add_co_u32 v3, vcc_lo, v1, 1
	v_add_co_ci_u32_e32 v4, vcc_lo, 0, v2, vcc_lo
	v_xor_b32_e32 v2, 0x80000000, v2
	s_branch .LBB113_2
.LBB113_1:                              ;   in Loop: Header=BB113_2 Depth=1
	s_delay_alu instid0(VALU_DEP_1)
	v_lshlrev_b32_e32 v0, 3, v0
	s_barrier
	buffer_gl0_inv
	s_add_i32 s21, s21, 1
	ds_store_b64 v0, v[13:14]
	s_waitcnt lgkmcnt(0)
	s_barrier
	buffer_gl0_inv
	ds_load_b64 v[1:2], v25
	s_waitcnt lgkmcnt(0)
	s_barrier
	buffer_gl0_inv
	ds_store_b64 v0, v[15:16]
	s_waitcnt lgkmcnt(0)
	s_barrier
	buffer_gl0_inv
	ds_load_b64 v[3:4], v25
	s_cmp_lg_u32 s21, 10
	s_cbranch_scc0 .LBB113_14
.LBB113_2:                              ; =>This Loop Header: Depth=1
                                        ;     Child Loop BB113_4 Depth 2
	s_mov_b64 s[16:17], 0
	s_branch .LBB113_4
.LBB113_3:                              ;   in Loop: Header=BB113_4 Depth=2
	s_delay_alu instid0(VALU_DEP_1)
	v_lshlrev_b32_e32 v3, 3, v0
	s_barrier
	buffer_gl0_inv
	s_add_u32 s16, s16, 8
	ds_store_b64 v3, v[13:14]
	s_waitcnt lgkmcnt(0)
	s_barrier
	buffer_gl0_inv
	ds_load_b64 v[1:2], v23
	s_waitcnt lgkmcnt(0)
	s_barrier
	buffer_gl0_inv
	ds_store_b64 v3, v[15:16]
	s_waitcnt lgkmcnt(0)
	s_barrier
	buffer_gl0_inv
	ds_load_b64 v[3:4], v23
	s_addc_u32 s17, s17, 0
	s_waitcnt lgkmcnt(0)
	s_barrier
	buffer_gl0_inv
	s_cbranch_execz .LBB113_1
.LBB113_4:                              ;   Parent Loop BB113_2 Depth=1
                                        ; =>  This Inner Loop Header: Depth=2
	s_delay_alu instid0(VALU_DEP_1)
	v_dual_mov_b32 v14, v2 :: v_dual_mov_b32 v13, v1
	ds_store_2addr_b64 v17, v[11:12], v[9:10] offset0:3 offset1:4
	ds_store_2addr_b64 v18, v[11:12], v[9:10] offset0:2 offset1:3
	s_waitcnt lgkmcnt(0)
	s_barrier
	buffer_gl0_inv
	v_lshrrev_b64 v[1:2], s16, v[13:14]
	; wave barrier
	s_delay_alu instid0(VALU_DEP_1)
	v_and_b32_e32 v0, 1, v1
	v_lshlrev_b32_e32 v2, 30, v1
	v_lshlrev_b32_e32 v5, 29, v1
	;; [unrolled: 1-line block ×4, first 2 shown]
	v_add_co_u32 v0, s13, v0, -1
	s_delay_alu instid0(VALU_DEP_1)
	v_cndmask_b32_e64 v7, 0, 1, s13
	v_not_b32_e32 v27, v2
	v_cmp_gt_i32_e64 s13, 0, v2
	v_not_b32_e32 v2, v5
	v_lshlrev_b32_e32 v16, 26, v1
	v_cmp_ne_u32_e32 vcc_lo, 0, v7
	v_ashrrev_i32_e32 v27, 31, v27
	v_lshlrev_b32_e32 v26, 25, v1
	v_ashrrev_i32_e32 v2, 31, v2
	v_lshlrev_b32_e32 v7, 24, v1
	v_xor_b32_e32 v0, vcc_lo, v0
	v_cmp_gt_i32_e32 vcc_lo, 0, v5
	v_not_b32_e32 v5, v6
	v_xor_b32_e32 v27, s13, v27
	v_cmp_gt_i32_e64 s13, 0, v6
	v_and_b32_e32 v0, exec_lo, v0
	v_not_b32_e32 v6, v15
	v_ashrrev_i32_e32 v5, 31, v5
	v_xor_b32_e32 v2, vcc_lo, v2
	v_cmp_gt_i32_e32 vcc_lo, 0, v15
	v_and_b32_e32 v0, v0, v27
	v_not_b32_e32 v15, v16
	v_ashrrev_i32_e32 v6, 31, v6
	v_xor_b32_e32 v5, s13, v5
	v_cmp_gt_i32_e64 s13, 0, v16
	v_and_b32_e32 v0, v0, v2
	v_not_b32_e32 v2, v26
	v_ashrrev_i32_e32 v15, 31, v15
	v_xor_b32_e32 v6, vcc_lo, v6
	v_cmp_gt_i32_e32 vcc_lo, 0, v26
	v_and_b32_e32 v0, v0, v5
	v_not_b32_e32 v5, v7
	v_ashrrev_i32_e32 v2, 31, v2
	v_xor_b32_e32 v15, s13, v15
	v_cmp_gt_i32_e64 s13, 0, v7
	v_and_b32_e32 v0, v0, v6
	v_ashrrev_i32_e32 v5, 31, v5
	v_xor_b32_e32 v2, vcc_lo, v2
	v_and_b32_e32 v1, 0xff, v1
	s_delay_alu instid0(VALU_DEP_4) | instskip(SKIP_2) | instid1(VALU_DEP_4)
	v_and_b32_e32 v0, v0, v15
	v_mov_b32_e32 v16, v4
	v_xor_b32_e32 v5, s13, v5
	v_mad_u32_u24 v1, v1, 6, v24
	s_delay_alu instid0(VALU_DEP_4) | instskip(NEXT) | instid1(VALU_DEP_2)
	v_dual_mov_b32 v15, v3 :: v_dual_and_b32 v0, v0, v2
	v_lshl_add_u32 v27, v1, 2, 24
	s_delay_alu instid0(VALU_DEP_2) | instskip(NEXT) | instid1(VALU_DEP_1)
	v_and_b32_e32 v0, v0, v5
	v_mbcnt_lo_u32_b32 v26, v0, 0
	v_cmp_ne_u32_e64 s13, 0, v0
	s_delay_alu instid0(VALU_DEP_2) | instskip(NEXT) | instid1(VALU_DEP_2)
	v_cmp_eq_u32_e32 vcc_lo, 0, v26
	s_and_b32 s20, s13, vcc_lo
	s_delay_alu instid0(SALU_CYCLE_1)
	s_and_saveexec_b32 s13, s20
	s_cbranch_execz .LBB113_6
; %bb.5:                                ;   in Loop: Header=BB113_4 Depth=2
	v_bcnt_u32_b32 v0, v0, 0
	ds_store_b32 v27, v0
.LBB113_6:                              ;   in Loop: Header=BB113_4 Depth=2
	s_or_b32 exec_lo, exec_lo, s13
	; wave barrier
	s_waitcnt lgkmcnt(0)
	s_barrier
	buffer_gl0_inv
	ds_load_2addr_b64 v[4:7], v17 offset0:3 offset1:4
	ds_load_2addr_b64 v[0:3], v18 offset0:2 offset1:3
	s_waitcnt lgkmcnt(1)
	v_add_nc_u32_e32 v28, v5, v4
	s_delay_alu instid0(VALU_DEP_1) | instskip(SKIP_1) | instid1(VALU_DEP_1)
	v_add3_u32 v28, v28, v6, v7
	s_waitcnt lgkmcnt(0)
	v_add3_u32 v28, v28, v0, v1
	s_delay_alu instid0(VALU_DEP_1) | instskip(NEXT) | instid1(VALU_DEP_1)
	v_add3_u32 v3, v28, v2, v3
	v_mov_b32_dpp v28, v3 row_shr:1 row_mask:0xf bank_mask:0xf
	s_delay_alu instid0(VALU_DEP_1) | instskip(NEXT) | instid1(VALU_DEP_1)
	v_cndmask_b32_e64 v28, v28, 0, s1
	v_add_nc_u32_e32 v3, v28, v3
	s_delay_alu instid0(VALU_DEP_1) | instskip(NEXT) | instid1(VALU_DEP_1)
	v_mov_b32_dpp v28, v3 row_shr:2 row_mask:0xf bank_mask:0xf
	v_cndmask_b32_e64 v28, 0, v28, s2
	s_delay_alu instid0(VALU_DEP_1) | instskip(NEXT) | instid1(VALU_DEP_1)
	v_add_nc_u32_e32 v3, v3, v28
	v_mov_b32_dpp v28, v3 row_shr:4 row_mask:0xf bank_mask:0xf
	s_delay_alu instid0(VALU_DEP_1) | instskip(NEXT) | instid1(VALU_DEP_1)
	v_cndmask_b32_e64 v28, 0, v28, s3
	v_add_nc_u32_e32 v3, v3, v28
	s_delay_alu instid0(VALU_DEP_1) | instskip(NEXT) | instid1(VALU_DEP_1)
	v_mov_b32_dpp v28, v3 row_shr:8 row_mask:0xf bank_mask:0xf
	v_cndmask_b32_e64 v28, 0, v28, s4
	s_delay_alu instid0(VALU_DEP_1) | instskip(SKIP_3) | instid1(VALU_DEP_1)
	v_add_nc_u32_e32 v3, v3, v28
	ds_swizzle_b32 v28, v3 offset:swizzle(BROADCAST,32,15)
	s_waitcnt lgkmcnt(0)
	v_cndmask_b32_e64 v28, v28, 0, s5
	v_add_nc_u32_e32 v3, v3, v28
	s_and_saveexec_b32 s13, s12
	s_cbranch_execz .LBB113_8
; %bb.7:                                ;   in Loop: Header=BB113_4 Depth=2
	ds_store_b32 v19, v3
.LBB113_8:                              ;   in Loop: Header=BB113_4 Depth=2
	s_or_b32 exec_lo, exec_lo, s13
	s_waitcnt lgkmcnt(0)
	s_barrier
	buffer_gl0_inv
	s_and_saveexec_b32 s13, s6
	s_cbranch_execz .LBB113_10
; %bb.9:                                ;   in Loop: Header=BB113_4 Depth=2
	ds_load_b32 v28, v21
	s_waitcnt lgkmcnt(0)
	v_mov_b32_dpp v29, v28 row_shr:1 row_mask:0xf bank_mask:0xf
	s_delay_alu instid0(VALU_DEP_1) | instskip(NEXT) | instid1(VALU_DEP_1)
	v_cndmask_b32_e64 v29, v29, 0, s9
	v_add_nc_u32_e32 v28, v29, v28
	s_delay_alu instid0(VALU_DEP_1) | instskip(NEXT) | instid1(VALU_DEP_1)
	v_mov_b32_dpp v29, v28 row_shr:2 row_mask:0xf bank_mask:0xf
	v_cndmask_b32_e64 v29, 0, v29, s10
	s_delay_alu instid0(VALU_DEP_1) | instskip(NEXT) | instid1(VALU_DEP_1)
	v_add_nc_u32_e32 v28, v28, v29
	v_mov_b32_dpp v29, v28 row_shr:4 row_mask:0xf bank_mask:0xf
	s_delay_alu instid0(VALU_DEP_1) | instskip(NEXT) | instid1(VALU_DEP_1)
	v_cndmask_b32_e64 v29, 0, v29, s11
	v_add_nc_u32_e32 v28, v28, v29
	ds_store_b32 v21, v28
.LBB113_10:                             ;   in Loop: Header=BB113_4 Depth=2
	s_or_b32 exec_lo, exec_lo, s13
	v_mov_b32_e32 v28, 0
	s_waitcnt lgkmcnt(0)
	s_barrier
	buffer_gl0_inv
	s_and_saveexec_b32 s13, s7
	s_cbranch_execz .LBB113_12
; %bb.11:                               ;   in Loop: Header=BB113_4 Depth=2
	ds_load_b32 v28, v22
.LBB113_12:                             ;   in Loop: Header=BB113_4 Depth=2
	s_or_b32 exec_lo, exec_lo, s13
	s_waitcnt lgkmcnt(0)
	v_add_nc_u32_e32 v3, v28, v3
	s_cmp_gt_u32 s16, 55
	ds_bpermute_b32 v3, v20, v3
	s_waitcnt lgkmcnt(0)
	v_cndmask_b32_e64 v3, v3, v28, s0
	s_delay_alu instid0(VALU_DEP_1) | instskip(NEXT) | instid1(VALU_DEP_1)
	v_cndmask_b32_e64 v3, v3, 0, s8
	v_add_nc_u32_e32 v4, v3, v4
	s_delay_alu instid0(VALU_DEP_1) | instskip(NEXT) | instid1(VALU_DEP_1)
	v_add_nc_u32_e32 v5, v4, v5
	v_add_nc_u32_e32 v6, v5, v6
	s_delay_alu instid0(VALU_DEP_1) | instskip(NEXT) | instid1(VALU_DEP_1)
	v_add_nc_u32_e32 v28, v6, v7
	v_add_nc_u32_e32 v29, v28, v0
	s_delay_alu instid0(VALU_DEP_1) | instskip(NEXT) | instid1(VALU_DEP_1)
	v_add_nc_u32_e32 v0, v29, v1
	v_add_nc_u32_e32 v1, v0, v2
	ds_store_2addr_b64 v17, v[3:4], v[5:6] offset0:3 offset1:4
	ds_store_2addr_b64 v18, v[28:29], v[0:1] offset0:2 offset1:3
	s_waitcnt lgkmcnt(0)
	s_barrier
	buffer_gl0_inv
	ds_load_b32 v0, v27
	s_waitcnt lgkmcnt(0)
	v_add_nc_u32_e32 v0, v0, v26
	s_cbranch_scc0 .LBB113_3
; %bb.13:                               ;   in Loop: Header=BB113_2 Depth=1
                                        ; implicit-def: $vgpr3_vgpr4
                                        ; implicit-def: $vgpr1_vgpr2
                                        ; implicit-def: $sgpr16_sgpr17
	s_branch .LBB113_1
.LBB113_14:
	s_waitcnt lgkmcnt(0)
	v_add_co_u32 v0, vcc_lo, v3, v1
	v_add_co_ci_u32_e32 v1, vcc_lo, v4, v2, vcc_lo
	v_lshlrev_b32_e32 v2, 3, v8
	s_delay_alu instid0(VALU_DEP_3) | instskip(NEXT) | instid1(VALU_DEP_3)
	v_add_co_u32 v0, vcc_lo, v0, 0
	v_add_co_ci_u32_e32 v1, vcc_lo, 0x80000000, v1, vcc_lo
	s_add_u32 s0, s18, s14
	s_addc_u32 s1, s19, s15
	global_store_b64 v2, v[0:1], s[0:1]
	s_nop 0
	s_sendmsg sendmsg(MSG_DEALLOC_VGPRS)
	s_endpgm
	.section	.rodata,"a",@progbits
	.p2align	6, 0x0
	.amdhsa_kernel _Z17sort_pairs_kernelI22helper_blocked_blockedxLj192ELj1ELj10EEvPKT0_PS1_
		.amdhsa_group_segment_fixed_size 6176
		.amdhsa_private_segment_fixed_size 0
		.amdhsa_kernarg_size 272
		.amdhsa_user_sgpr_count 15
		.amdhsa_user_sgpr_dispatch_ptr 0
		.amdhsa_user_sgpr_queue_ptr 0
		.amdhsa_user_sgpr_kernarg_segment_ptr 1
		.amdhsa_user_sgpr_dispatch_id 0
		.amdhsa_user_sgpr_private_segment_size 0
		.amdhsa_wavefront_size32 1
		.amdhsa_uses_dynamic_stack 0
		.amdhsa_enable_private_segment 0
		.amdhsa_system_sgpr_workgroup_id_x 1
		.amdhsa_system_sgpr_workgroup_id_y 0
		.amdhsa_system_sgpr_workgroup_id_z 0
		.amdhsa_system_sgpr_workgroup_info 0
		.amdhsa_system_vgpr_workitem_id 2
		.amdhsa_next_free_vgpr 30
		.amdhsa_next_free_sgpr 22
		.amdhsa_reserve_vcc 1
		.amdhsa_float_round_mode_32 0
		.amdhsa_float_round_mode_16_64 0
		.amdhsa_float_denorm_mode_32 3
		.amdhsa_float_denorm_mode_16_64 3
		.amdhsa_dx10_clamp 1
		.amdhsa_ieee_mode 1
		.amdhsa_fp16_overflow 0
		.amdhsa_workgroup_processor_mode 1
		.amdhsa_memory_ordered 1
		.amdhsa_forward_progress 0
		.amdhsa_shared_vgpr_count 0
		.amdhsa_exception_fp_ieee_invalid_op 0
		.amdhsa_exception_fp_denorm_src 0
		.amdhsa_exception_fp_ieee_div_zero 0
		.amdhsa_exception_fp_ieee_overflow 0
		.amdhsa_exception_fp_ieee_underflow 0
		.amdhsa_exception_fp_ieee_inexact 0
		.amdhsa_exception_int_div_zero 0
	.end_amdhsa_kernel
	.section	.text._Z17sort_pairs_kernelI22helper_blocked_blockedxLj192ELj1ELj10EEvPKT0_PS1_,"axG",@progbits,_Z17sort_pairs_kernelI22helper_blocked_blockedxLj192ELj1ELj10EEvPKT0_PS1_,comdat
.Lfunc_end113:
	.size	_Z17sort_pairs_kernelI22helper_blocked_blockedxLj192ELj1ELj10EEvPKT0_PS1_, .Lfunc_end113-_Z17sort_pairs_kernelI22helper_blocked_blockedxLj192ELj1ELj10EEvPKT0_PS1_
                                        ; -- End function
	.section	.AMDGPU.csdata,"",@progbits
; Kernel info:
; codeLenInByte = 1612
; NumSgprs: 24
; NumVgprs: 30
; ScratchSize: 0
; MemoryBound: 0
; FloatMode: 240
; IeeeMode: 1
; LDSByteSize: 6176 bytes/workgroup (compile time only)
; SGPRBlocks: 2
; VGPRBlocks: 3
; NumSGPRsForWavesPerEU: 24
; NumVGPRsForWavesPerEU: 30
; Occupancy: 15
; WaveLimiterHint : 0
; COMPUTE_PGM_RSRC2:SCRATCH_EN: 0
; COMPUTE_PGM_RSRC2:USER_SGPR: 15
; COMPUTE_PGM_RSRC2:TRAP_HANDLER: 0
; COMPUTE_PGM_RSRC2:TGID_X_EN: 1
; COMPUTE_PGM_RSRC2:TGID_Y_EN: 0
; COMPUTE_PGM_RSRC2:TGID_Z_EN: 0
; COMPUTE_PGM_RSRC2:TIDIG_COMP_CNT: 2
	.section	.text._Z16sort_keys_kernelI22helper_blocked_blockedxLj192ELj3ELj10EEvPKT0_PS1_,"axG",@progbits,_Z16sort_keys_kernelI22helper_blocked_blockedxLj192ELj3ELj10EEvPKT0_PS1_,comdat
	.protected	_Z16sort_keys_kernelI22helper_blocked_blockedxLj192ELj3ELj10EEvPKT0_PS1_ ; -- Begin function _Z16sort_keys_kernelI22helper_blocked_blockedxLj192ELj3ELj10EEvPKT0_PS1_
	.globl	_Z16sort_keys_kernelI22helper_blocked_blockedxLj192ELj3ELj10EEvPKT0_PS1_
	.p2align	8
	.type	_Z16sort_keys_kernelI22helper_blocked_blockedxLj192ELj3ELj10EEvPKT0_PS1_,@function
_Z16sort_keys_kernelI22helper_blocked_blockedxLj192ELj3ELj10EEvPKT0_PS1_: ; @_Z16sort_keys_kernelI22helper_blocked_blockedxLj192ELj3ELj10EEvPKT0_PS1_
; %bb.0:
	s_clause 0x1
	s_load_b128 s[16:19], s[0:1], 0x0
	s_load_b32 s2, s[0:1], 0x1c
	s_mov_b32 s21, 0
	s_mul_i32 s20, s15, 0x240
	v_bfe_u32 v9, v0, 10, 10
	s_lshl_b64 s[14:15], s[20:21], 3
	s_mov_b32 s20, s21
	v_and_b32_e32 v8, 0x3ff, v0
	v_bfe_u32 v0, v0, 20, 10
	v_mbcnt_lo_u32_b32 v12, -1, 0
	s_delay_alu instid0(VALU_DEP_3) | instskip(NEXT) | instid1(VALU_DEP_2)
	v_lshlrev_b32_e32 v5, 3, v8
	v_cmp_eq_u32_e64 s8, 0, v12
	s_waitcnt lgkmcnt(0)
	s_add_u32 s0, s16, s14
	s_addc_u32 s1, s17, s15
	s_mov_b32 s16, s21
	s_clause 0x2
	global_load_b64 v[1:2], v5, s[0:1]
	global_load_b64 v[3:4], v5, s[0:1] offset:1536
	global_load_b64 v[5:6], v5, s[0:1] offset:3072
	s_lshr_b32 s0, s2, 16
	s_mov_b32 s17, s21
	v_mad_u32_u24 v0, v0, s0, v9
	s_and_b32 s0, s2, 0xffff
	s_delay_alu instid0(VALU_DEP_1) | instid1(SALU_CYCLE_1)
	v_mad_u64_u32 v[9:10], null, v0, s0, v[8:9]
	v_and_b32_e32 v10, 15, v12
	s_delay_alu instid0(VALU_DEP_1) | instskip(NEXT) | instid1(VALU_DEP_3)
	v_cmp_eq_u32_e64 s0, 0, v10
	v_lshrrev_b32_e32 v23, 5, v9
	v_add_nc_u32_e32 v9, -1, v12
	v_cmp_lt_u32_e64 s1, 1, v10
	v_cmp_lt_u32_e64 s2, 3, v10
	;; [unrolled: 1-line block ×3, first 2 shown]
	s_delay_alu instid0(VALU_DEP_4) | instskip(SKIP_1) | instid1(VALU_DEP_1)
	v_cmp_gt_i32_e32 vcc_lo, 0, v9
	v_cndmask_b32_e32 v9, v9, v12, vcc_lo
	v_lshlrev_b32_e32 v24, 2, v9
	v_and_b32_e32 v9, 7, v12
	s_delay_alu instid0(VALU_DEP_1)
	v_cmp_eq_u32_e64 s10, 0, v9
	v_cmp_lt_u32_e64 s11, 1, v9
	v_cmp_lt_u32_e64 s12, 3, v9
	v_mov_b32_e32 v9, s20
	v_lshrrev_b32_e32 v7, 5, v8
	v_lshlrev_b32_e32 v19, 5, v8
	v_cmp_gt_u32_e64 s6, 6, v8
	v_cmp_lt_u32_e64 s7, 31, v8
	v_cmp_eq_u32_e64 s9, 0, v8
	v_mul_u32_u24_e32 v11, 0x60, v7
	v_lshlrev_b32_e32 v25, 2, v7
	v_mad_i32_i24 v26, 0xffffffe4, v8, v19
	v_or_b32_e32 v22, 24, v19
	s_delay_alu instid0(VALU_DEP_4) | instskip(SKIP_3) | instid1(VALU_DEP_4)
	v_dual_mov_b32 v10, s21 :: v_dual_lshlrev_b32 v13, 3, v11
	v_or_b32_e32 v0, v12, v11
	v_and_b32_e32 v11, 0xe0, v8
	v_add_nc_u32_e32 v27, -4, v25
	v_mad_u32_u24 v20, v12, 24, v13
	s_delay_alu instid0(VALU_DEP_4) | instskip(NEXT) | instid1(VALU_DEP_4)
	v_lshlrev_b32_e32 v21, 3, v0
	v_min_u32_e32 v0, 0xa0, v11
	v_and_b32_e32 v13, 16, v12
	s_delay_alu instid0(VALU_DEP_2) | instskip(NEXT) | instid1(VALU_DEP_2)
	v_or_b32_e32 v0, 31, v0
	v_cmp_eq_u32_e64 s4, 0, v13
	s_delay_alu instid0(VALU_DEP_2) | instskip(SKIP_1) | instid1(VALU_DEP_1)
	v_cmp_eq_u32_e64 s5, v0, v8
	v_mul_u32_u24_e32 v0, 3, v11
	v_or_b32_e32 v0, v12, v0
	v_dual_mov_b32 v11, s16 :: v_dual_mov_b32 v12, s17
	s_delay_alu instid0(VALU_DEP_2) | instskip(SKIP_1) | instid1(VALU_DEP_1)
	v_lshlrev_b32_e32 v28, 3, v0
	v_mul_u32_u24_e32 v0, 20, v8
	v_add_nc_u32_e32 v29, v26, v0
	s_branch .LBB114_2
.LBB114_1:                              ;   in Loop: Header=BB114_2 Depth=1
	v_lshlrev_b32_e32 v0, 3, v30
	v_lshlrev_b32_e32 v1, 3, v7
	;; [unrolled: 1-line block ×3, first 2 shown]
	s_barrier
	buffer_gl0_inv
	ds_store_b64 v0, v[13:14]
	ds_store_b64 v1, v[17:18]
	;; [unrolled: 1-line block ×3, first 2 shown]
	s_waitcnt lgkmcnt(0)
	s_barrier
	buffer_gl0_inv
	ds_load_2addr_b64 v[1:4], v29 offset1:1
	ds_load_b64 v[5:6], v29 offset:16
	s_add_i32 s21, s21, 1
	s_delay_alu instid0(SALU_CYCLE_1)
	s_cmp_eq_u32 s21, 10
	s_waitcnt lgkmcnt(1)
	v_xor_b32_e32 v2, 0x80000000, v2
	v_xor_b32_e32 v4, 0x80000000, v4
	s_waitcnt lgkmcnt(0)
	v_xor_b32_e32 v6, 0x80000000, v6
	s_cbranch_scc1 .LBB114_18
.LBB114_2:                              ; =>This Loop Header: Depth=1
                                        ;     Child Loop BB114_4 Depth 2
	s_waitcnt vmcnt(2)
	v_xor_b32_e32 v2, 0x80000000, v2
	s_waitcnt vmcnt(1)
	v_xor_b32_e32 v4, 0x80000000, v4
	s_waitcnt vmcnt(0)
	v_xor_b32_e32 v6, 0x80000000, v6
	s_mov_b64 s[16:17], 0
	ds_store_2addr_b64 v20, v[1:2], v[3:4] offset1:1
	ds_store_b64 v20, v[5:6] offset:16
	; wave barrier
	ds_load_2addr_b64 v[0:3], v21 offset1:32
	ds_load_b64 v[4:5], v21 offset:512
	s_waitcnt lgkmcnt(0)
	s_barrier
	buffer_gl0_inv
	; wave barrier
	s_barrier
	s_branch .LBB114_4
.LBB114_3:                              ;   in Loop: Header=BB114_4 Depth=2
	v_lshlrev_b32_e32 v0, 3, v30
	v_lshlrev_b32_e32 v1, 3, v7
	s_delay_alu instid0(VALU_DEP_3)
	v_lshlrev_b32_e32 v2, 3, v6
	s_barrier
	buffer_gl0_inv
	ds_store_b64 v0, v[13:14]
	ds_store_b64 v1, v[17:18]
	;; [unrolled: 1-line block ×3, first 2 shown]
	s_waitcnt lgkmcnt(0)
	s_barrier
	buffer_gl0_inv
	ds_load_2addr_b64 v[0:3], v28 offset1:32
	ds_load_b64 v[4:5], v28 offset:512
	s_add_u32 s16, s16, 8
	s_addc_u32 s17, s17, 0
	s_waitcnt lgkmcnt(0)
	s_barrier
	s_cbranch_execz .LBB114_1
.LBB114_4:                              ;   Parent Loop BB114_2 Depth=1
                                        ; =>  This Inner Loop Header: Depth=2
	v_dual_mov_b32 v14, v1 :: v_dual_mov_b32 v13, v0
	buffer_gl0_inv
	ds_store_2addr_b64 v19, v[9:10], v[11:12] offset0:3 offset1:4
	ds_store_2addr_b64 v22, v[9:10], v[11:12] offset0:2 offset1:3
	s_waitcnt lgkmcnt(0)
	s_barrier
	v_lshrrev_b64 v[6:7], s16, v[13:14]
	buffer_gl0_inv
	; wave barrier
	v_and_b32_e32 v0, 1, v6
	v_lshlrev_b32_e32 v1, 30, v6
	v_lshlrev_b32_e32 v7, 29, v6
	;; [unrolled: 1-line block ×4, first 2 shown]
	v_add_co_u32 v0, s13, v0, -1
	s_delay_alu instid0(VALU_DEP_1)
	v_cndmask_b32_e64 v16, 0, 1, s13
	v_not_b32_e32 v31, v1
	v_cmp_gt_i32_e64 s13, 0, v1
	v_not_b32_e32 v1, v7
	v_lshlrev_b32_e32 v18, 26, v6
	v_cmp_ne_u32_e32 vcc_lo, 0, v16
	v_ashrrev_i32_e32 v31, 31, v31
	v_lshlrev_b32_e32 v30, 25, v6
	v_ashrrev_i32_e32 v1, 31, v1
	v_lshlrev_b32_e32 v16, 24, v6
	v_xor_b32_e32 v0, vcc_lo, v0
	v_cmp_gt_i32_e32 vcc_lo, 0, v7
	v_not_b32_e32 v7, v15
	v_xor_b32_e32 v31, s13, v31
	v_cmp_gt_i32_e64 s13, 0, v15
	v_and_b32_e32 v0, exec_lo, v0
	v_not_b32_e32 v15, v17
	v_ashrrev_i32_e32 v7, 31, v7
	v_xor_b32_e32 v1, vcc_lo, v1
	v_cmp_gt_i32_e32 vcc_lo, 0, v17
	v_and_b32_e32 v0, v0, v31
	v_not_b32_e32 v17, v18
	v_ashrrev_i32_e32 v15, 31, v15
	v_xor_b32_e32 v7, s13, v7
	v_cmp_gt_i32_e64 s13, 0, v18
	v_and_b32_e32 v0, v0, v1
	v_not_b32_e32 v1, v30
	v_ashrrev_i32_e32 v17, 31, v17
	v_xor_b32_e32 v15, vcc_lo, v15
	v_cmp_gt_i32_e32 vcc_lo, 0, v30
	v_and_b32_e32 v0, v0, v7
	v_not_b32_e32 v7, v16
	v_ashrrev_i32_e32 v1, 31, v1
	v_xor_b32_e32 v17, s13, v17
	v_cmp_gt_i32_e64 s13, 0, v16
	v_and_b32_e32 v0, v0, v15
	v_ashrrev_i32_e32 v7, 31, v7
	v_xor_b32_e32 v1, vcc_lo, v1
	v_dual_mov_b32 v16, v5 :: v_dual_mov_b32 v15, v4
	s_delay_alu instid0(VALU_DEP_4) | instskip(NEXT) | instid1(VALU_DEP_4)
	v_and_b32_e32 v0, v0, v17
	v_xor_b32_e32 v7, s13, v7
	v_dual_mov_b32 v18, v3 :: v_dual_mov_b32 v17, v2
	s_delay_alu instid0(VALU_DEP_3) | instskip(SKIP_1) | instid1(VALU_DEP_2)
	v_and_b32_e32 v0, v0, v1
	v_and_b32_e32 v1, 0xff, v6
	;; [unrolled: 1-line block ×3, first 2 shown]
	s_delay_alu instid0(VALU_DEP_2) | instskip(NEXT) | instid1(VALU_DEP_2)
	v_mad_u32_u24 v1, v1, 6, v23
	v_mbcnt_lo_u32_b32 v30, v0, 0
	v_cmp_ne_u32_e64 s13, 0, v0
	s_delay_alu instid0(VALU_DEP_3) | instskip(NEXT) | instid1(VALU_DEP_3)
	v_lshl_add_u32 v31, v1, 2, 24
	v_cmp_eq_u32_e32 vcc_lo, 0, v30
	s_delay_alu instid0(VALU_DEP_3) | instskip(NEXT) | instid1(SALU_CYCLE_1)
	s_and_b32 s20, s13, vcc_lo
	s_and_saveexec_b32 s13, s20
	s_cbranch_execz .LBB114_6
; %bb.5:                                ;   in Loop: Header=BB114_4 Depth=2
	v_bcnt_u32_b32 v0, v0, 0
	ds_store_b32 v31, v0
.LBB114_6:                              ;   in Loop: Header=BB114_4 Depth=2
	s_or_b32 exec_lo, exec_lo, s13
	v_lshrrev_b64 v[0:1], s16, v[17:18]
	; wave barrier
	s_delay_alu instid0(VALU_DEP_1)
	v_and_b32_e32 v2, 1, v0
	v_lshlrev_b32_e32 v3, 30, v0
	v_lshlrev_b32_e32 v4, 29, v0
	;; [unrolled: 1-line block ×4, first 2 shown]
	v_add_co_u32 v2, s13, v2, -1
	s_delay_alu instid0(VALU_DEP_1)
	v_cndmask_b32_e64 v6, 0, 1, s13
	v_not_b32_e32 v34, v3
	v_cmp_gt_i32_e64 s13, 0, v3
	v_not_b32_e32 v3, v4
	v_lshlrev_b32_e32 v32, 26, v0
	v_cmp_ne_u32_e32 vcc_lo, 0, v6
	v_ashrrev_i32_e32 v6, 31, v34
	v_lshlrev_b32_e32 v33, 25, v0
	v_ashrrev_i32_e32 v3, 31, v3
	v_and_b32_e32 v1, 0xff, v0
	v_xor_b32_e32 v2, vcc_lo, v2
	v_cmp_gt_i32_e32 vcc_lo, 0, v4
	v_not_b32_e32 v4, v5
	v_xor_b32_e32 v6, s13, v6
	v_cmp_gt_i32_e64 s13, 0, v5
	v_and_b32_e32 v2, exec_lo, v2
	v_not_b32_e32 v5, v7
	v_ashrrev_i32_e32 v4, 31, v4
	v_xor_b32_e32 v3, vcc_lo, v3
	v_cmp_gt_i32_e32 vcc_lo, 0, v7
	v_and_b32_e32 v2, v2, v6
	v_not_b32_e32 v6, v32
	v_ashrrev_i32_e32 v5, 31, v5
	v_xor_b32_e32 v4, s13, v4
	v_lshlrev_b32_e32 v0, 24, v0
	v_and_b32_e32 v2, v2, v3
	v_cmp_gt_i32_e64 s13, 0, v32
	v_not_b32_e32 v3, v33
	v_ashrrev_i32_e32 v6, 31, v6
	v_xor_b32_e32 v5, vcc_lo, v5
	v_and_b32_e32 v2, v2, v4
	v_cmp_gt_i32_e32 vcc_lo, 0, v33
	v_not_b32_e32 v4, v0
	v_ashrrev_i32_e32 v3, 31, v3
	v_xor_b32_e32 v6, s13, v6
	v_and_b32_e32 v2, v2, v5
	v_mul_u32_u24_e32 v1, 6, v1
	v_cmp_gt_i32_e64 s13, 0, v0
	v_ashrrev_i32_e32 v0, 31, v4
	v_xor_b32_e32 v3, vcc_lo, v3
	v_and_b32_e32 v2, v2, v6
	v_add_lshl_u32 v1, v1, v23, 2
	s_delay_alu instid0(VALU_DEP_4) | instskip(NEXT) | instid1(VALU_DEP_3)
	v_xor_b32_e32 v0, s13, v0
	v_and_b32_e32 v2, v2, v3
	ds_load_b32 v32, v1 offset:24
	v_add_nc_u32_e32 v34, 24, v1
	; wave barrier
	v_and_b32_e32 v0, v2, v0
	s_delay_alu instid0(VALU_DEP_1) | instskip(SKIP_1) | instid1(VALU_DEP_2)
	v_mbcnt_lo_u32_b32 v33, v0, 0
	v_cmp_ne_u32_e64 s13, 0, v0
	v_cmp_eq_u32_e32 vcc_lo, 0, v33
	s_delay_alu instid0(VALU_DEP_2) | instskip(NEXT) | instid1(SALU_CYCLE_1)
	s_and_b32 s20, s13, vcc_lo
	s_and_saveexec_b32 s13, s20
	s_cbranch_execz .LBB114_8
; %bb.7:                                ;   in Loop: Header=BB114_4 Depth=2
	s_waitcnt lgkmcnt(0)
	v_bcnt_u32_b32 v0, v0, v32
	ds_store_b32 v34, v0
.LBB114_8:                              ;   in Loop: Header=BB114_4 Depth=2
	s_or_b32 exec_lo, exec_lo, s13
	v_lshrrev_b64 v[0:1], s16, v[15:16]
	; wave barrier
	s_delay_alu instid0(VALU_DEP_1)
	v_and_b32_e32 v2, 1, v0
	v_lshlrev_b32_e32 v3, 30, v0
	v_lshlrev_b32_e32 v4, 29, v0
	;; [unrolled: 1-line block ×4, first 2 shown]
	v_add_co_u32 v2, s13, v2, -1
	s_delay_alu instid0(VALU_DEP_1)
	v_cndmask_b32_e64 v6, 0, 1, s13
	v_not_b32_e32 v37, v3
	v_cmp_gt_i32_e64 s13, 0, v3
	v_not_b32_e32 v3, v4
	v_lshlrev_b32_e32 v35, 26, v0
	v_cmp_ne_u32_e32 vcc_lo, 0, v6
	v_ashrrev_i32_e32 v6, 31, v37
	v_lshlrev_b32_e32 v36, 25, v0
	v_ashrrev_i32_e32 v3, 31, v3
	v_and_b32_e32 v1, 0xff, v0
	v_xor_b32_e32 v2, vcc_lo, v2
	v_cmp_gt_i32_e32 vcc_lo, 0, v4
	v_not_b32_e32 v4, v5
	v_xor_b32_e32 v6, s13, v6
	v_cmp_gt_i32_e64 s13, 0, v5
	v_and_b32_e32 v2, exec_lo, v2
	v_not_b32_e32 v5, v7
	v_ashrrev_i32_e32 v4, 31, v4
	v_xor_b32_e32 v3, vcc_lo, v3
	v_cmp_gt_i32_e32 vcc_lo, 0, v7
	v_and_b32_e32 v2, v2, v6
	v_not_b32_e32 v6, v35
	v_ashrrev_i32_e32 v5, 31, v5
	v_xor_b32_e32 v4, s13, v4
	v_lshlrev_b32_e32 v0, 24, v0
	v_and_b32_e32 v2, v2, v3
	v_cmp_gt_i32_e64 s13, 0, v35
	v_not_b32_e32 v3, v36
	v_ashrrev_i32_e32 v6, 31, v6
	v_xor_b32_e32 v5, vcc_lo, v5
	v_and_b32_e32 v2, v2, v4
	v_cmp_gt_i32_e32 vcc_lo, 0, v36
	v_not_b32_e32 v4, v0
	v_ashrrev_i32_e32 v3, 31, v3
	v_xor_b32_e32 v6, s13, v6
	v_and_b32_e32 v2, v2, v5
	v_mul_u32_u24_e32 v1, 6, v1
	v_cmp_gt_i32_e64 s13, 0, v0
	v_ashrrev_i32_e32 v0, 31, v4
	v_xor_b32_e32 v3, vcc_lo, v3
	v_and_b32_e32 v2, v2, v6
	v_add_lshl_u32 v1, v1, v23, 2
	s_delay_alu instid0(VALU_DEP_4) | instskip(NEXT) | instid1(VALU_DEP_3)
	v_xor_b32_e32 v0, s13, v0
	v_and_b32_e32 v2, v2, v3
	ds_load_b32 v35, v1 offset:24
	v_add_nc_u32_e32 v37, 24, v1
	; wave barrier
	v_and_b32_e32 v0, v2, v0
	s_delay_alu instid0(VALU_DEP_1) | instskip(SKIP_1) | instid1(VALU_DEP_2)
	v_mbcnt_lo_u32_b32 v36, v0, 0
	v_cmp_ne_u32_e64 s13, 0, v0
	v_cmp_eq_u32_e32 vcc_lo, 0, v36
	s_delay_alu instid0(VALU_DEP_2) | instskip(NEXT) | instid1(SALU_CYCLE_1)
	s_and_b32 s20, s13, vcc_lo
	s_and_saveexec_b32 s13, s20
	s_cbranch_execz .LBB114_10
; %bb.9:                                ;   in Loop: Header=BB114_4 Depth=2
	s_waitcnt lgkmcnt(0)
	v_bcnt_u32_b32 v0, v0, v35
	ds_store_b32 v37, v0
.LBB114_10:                             ;   in Loop: Header=BB114_4 Depth=2
	s_or_b32 exec_lo, exec_lo, s13
	; wave barrier
	s_waitcnt lgkmcnt(0)
	s_barrier
	buffer_gl0_inv
	ds_load_2addr_b64 v[4:7], v19 offset0:3 offset1:4
	ds_load_2addr_b64 v[0:3], v22 offset0:2 offset1:3
	s_waitcnt lgkmcnt(1)
	v_add_nc_u32_e32 v38, v5, v4
	s_delay_alu instid0(VALU_DEP_1) | instskip(SKIP_1) | instid1(VALU_DEP_1)
	v_add3_u32 v38, v38, v6, v7
	s_waitcnt lgkmcnt(0)
	v_add3_u32 v38, v38, v0, v1
	s_delay_alu instid0(VALU_DEP_1) | instskip(NEXT) | instid1(VALU_DEP_1)
	v_add3_u32 v3, v38, v2, v3
	v_mov_b32_dpp v38, v3 row_shr:1 row_mask:0xf bank_mask:0xf
	s_delay_alu instid0(VALU_DEP_1) | instskip(NEXT) | instid1(VALU_DEP_1)
	v_cndmask_b32_e64 v38, v38, 0, s0
	v_add_nc_u32_e32 v3, v38, v3
	s_delay_alu instid0(VALU_DEP_1) | instskip(NEXT) | instid1(VALU_DEP_1)
	v_mov_b32_dpp v38, v3 row_shr:2 row_mask:0xf bank_mask:0xf
	v_cndmask_b32_e64 v38, 0, v38, s1
	s_delay_alu instid0(VALU_DEP_1) | instskip(NEXT) | instid1(VALU_DEP_1)
	v_add_nc_u32_e32 v3, v3, v38
	v_mov_b32_dpp v38, v3 row_shr:4 row_mask:0xf bank_mask:0xf
	s_delay_alu instid0(VALU_DEP_1) | instskip(NEXT) | instid1(VALU_DEP_1)
	v_cndmask_b32_e64 v38, 0, v38, s2
	v_add_nc_u32_e32 v3, v3, v38
	s_delay_alu instid0(VALU_DEP_1) | instskip(NEXT) | instid1(VALU_DEP_1)
	v_mov_b32_dpp v38, v3 row_shr:8 row_mask:0xf bank_mask:0xf
	v_cndmask_b32_e64 v38, 0, v38, s3
	s_delay_alu instid0(VALU_DEP_1) | instskip(SKIP_3) | instid1(VALU_DEP_1)
	v_add_nc_u32_e32 v3, v3, v38
	ds_swizzle_b32 v38, v3 offset:swizzle(BROADCAST,32,15)
	s_waitcnt lgkmcnt(0)
	v_cndmask_b32_e64 v38, v38, 0, s4
	v_add_nc_u32_e32 v3, v3, v38
	s_and_saveexec_b32 s13, s5
	s_cbranch_execz .LBB114_12
; %bb.11:                               ;   in Loop: Header=BB114_4 Depth=2
	ds_store_b32 v25, v3
.LBB114_12:                             ;   in Loop: Header=BB114_4 Depth=2
	s_or_b32 exec_lo, exec_lo, s13
	s_waitcnt lgkmcnt(0)
	s_barrier
	buffer_gl0_inv
	s_and_saveexec_b32 s13, s6
	s_cbranch_execz .LBB114_14
; %bb.13:                               ;   in Loop: Header=BB114_4 Depth=2
	ds_load_b32 v38, v26
	s_waitcnt lgkmcnt(0)
	v_mov_b32_dpp v39, v38 row_shr:1 row_mask:0xf bank_mask:0xf
	s_delay_alu instid0(VALU_DEP_1) | instskip(NEXT) | instid1(VALU_DEP_1)
	v_cndmask_b32_e64 v39, v39, 0, s10
	v_add_nc_u32_e32 v38, v39, v38
	s_delay_alu instid0(VALU_DEP_1) | instskip(NEXT) | instid1(VALU_DEP_1)
	v_mov_b32_dpp v39, v38 row_shr:2 row_mask:0xf bank_mask:0xf
	v_cndmask_b32_e64 v39, 0, v39, s11
	s_delay_alu instid0(VALU_DEP_1) | instskip(NEXT) | instid1(VALU_DEP_1)
	v_add_nc_u32_e32 v38, v38, v39
	v_mov_b32_dpp v39, v38 row_shr:4 row_mask:0xf bank_mask:0xf
	s_delay_alu instid0(VALU_DEP_1) | instskip(NEXT) | instid1(VALU_DEP_1)
	v_cndmask_b32_e64 v39, 0, v39, s12
	v_add_nc_u32_e32 v38, v38, v39
	ds_store_b32 v26, v38
.LBB114_14:                             ;   in Loop: Header=BB114_4 Depth=2
	s_or_b32 exec_lo, exec_lo, s13
	v_mov_b32_e32 v38, 0
	s_waitcnt lgkmcnt(0)
	s_barrier
	buffer_gl0_inv
	s_and_saveexec_b32 s13, s7
	s_cbranch_execz .LBB114_16
; %bb.15:                               ;   in Loop: Header=BB114_4 Depth=2
	ds_load_b32 v38, v27
.LBB114_16:                             ;   in Loop: Header=BB114_4 Depth=2
	s_or_b32 exec_lo, exec_lo, s13
	s_waitcnt lgkmcnt(0)
	v_add_nc_u32_e32 v3, v38, v3
	s_cmp_gt_u32 s16, 55
	ds_bpermute_b32 v3, v24, v3
	s_waitcnt lgkmcnt(0)
	v_cndmask_b32_e64 v3, v3, v38, s8
	s_delay_alu instid0(VALU_DEP_1) | instskip(NEXT) | instid1(VALU_DEP_1)
	v_cndmask_b32_e64 v3, v3, 0, s9
	v_add_nc_u32_e32 v4, v3, v4
	s_delay_alu instid0(VALU_DEP_1) | instskip(NEXT) | instid1(VALU_DEP_1)
	v_add_nc_u32_e32 v5, v4, v5
	v_add_nc_u32_e32 v6, v5, v6
	s_delay_alu instid0(VALU_DEP_1) | instskip(NEXT) | instid1(VALU_DEP_1)
	v_add_nc_u32_e32 v38, v6, v7
	;; [unrolled: 3-line block ×3, first 2 shown]
	v_add_nc_u32_e32 v1, v0, v2
	ds_store_2addr_b64 v19, v[3:4], v[5:6] offset0:3 offset1:4
	ds_store_2addr_b64 v22, v[38:39], v[0:1] offset0:2 offset1:3
	s_waitcnt lgkmcnt(0)
	s_barrier
	buffer_gl0_inv
	ds_load_b32 v0, v31
	ds_load_b32 v1, v34
	;; [unrolled: 1-line block ×3, first 2 shown]
	s_waitcnt lgkmcnt(2)
	v_add_nc_u32_e32 v30, v0, v30
	s_waitcnt lgkmcnt(1)
	v_add3_u32 v7, v33, v32, v1
	s_waitcnt lgkmcnt(0)
	v_add3_u32 v6, v36, v35, v2
	s_cbranch_scc0 .LBB114_3
; %bb.17:                               ;   in Loop: Header=BB114_2 Depth=1
                                        ; implicit-def: $vgpr4_vgpr5
                                        ; implicit-def: $vgpr2_vgpr3
                                        ; implicit-def: $sgpr16_sgpr17
	s_branch .LBB114_1
.LBB114_18:
	v_lshlrev_b32_e32 v0, 3, v8
	s_add_u32 s0, s18, s14
	s_addc_u32 s1, s19, s15
	s_clause 0x2
	global_store_b64 v0, v[1:2], s[0:1]
	global_store_b64 v0, v[3:4], s[0:1] offset:1536
	global_store_b64 v0, v[5:6], s[0:1] offset:3072
	s_nop 0
	s_sendmsg sendmsg(MSG_DEALLOC_VGPRS)
	s_endpgm
	.section	.rodata,"a",@progbits
	.p2align	6, 0x0
	.amdhsa_kernel _Z16sort_keys_kernelI22helper_blocked_blockedxLj192ELj3ELj10EEvPKT0_PS1_
		.amdhsa_group_segment_fixed_size 6176
		.amdhsa_private_segment_fixed_size 0
		.amdhsa_kernarg_size 272
		.amdhsa_user_sgpr_count 15
		.amdhsa_user_sgpr_dispatch_ptr 0
		.amdhsa_user_sgpr_queue_ptr 0
		.amdhsa_user_sgpr_kernarg_segment_ptr 1
		.amdhsa_user_sgpr_dispatch_id 0
		.amdhsa_user_sgpr_private_segment_size 0
		.amdhsa_wavefront_size32 1
		.amdhsa_uses_dynamic_stack 0
		.amdhsa_enable_private_segment 0
		.amdhsa_system_sgpr_workgroup_id_x 1
		.amdhsa_system_sgpr_workgroup_id_y 0
		.amdhsa_system_sgpr_workgroup_id_z 0
		.amdhsa_system_sgpr_workgroup_info 0
		.amdhsa_system_vgpr_workitem_id 2
		.amdhsa_next_free_vgpr 40
		.amdhsa_next_free_sgpr 22
		.amdhsa_reserve_vcc 1
		.amdhsa_float_round_mode_32 0
		.amdhsa_float_round_mode_16_64 0
		.amdhsa_float_denorm_mode_32 3
		.amdhsa_float_denorm_mode_16_64 3
		.amdhsa_dx10_clamp 1
		.amdhsa_ieee_mode 1
		.amdhsa_fp16_overflow 0
		.amdhsa_workgroup_processor_mode 1
		.amdhsa_memory_ordered 1
		.amdhsa_forward_progress 0
		.amdhsa_shared_vgpr_count 0
		.amdhsa_exception_fp_ieee_invalid_op 0
		.amdhsa_exception_fp_denorm_src 0
		.amdhsa_exception_fp_ieee_div_zero 0
		.amdhsa_exception_fp_ieee_overflow 0
		.amdhsa_exception_fp_ieee_underflow 0
		.amdhsa_exception_fp_ieee_inexact 0
		.amdhsa_exception_int_div_zero 0
	.end_amdhsa_kernel
	.section	.text._Z16sort_keys_kernelI22helper_blocked_blockedxLj192ELj3ELj10EEvPKT0_PS1_,"axG",@progbits,_Z16sort_keys_kernelI22helper_blocked_blockedxLj192ELj3ELj10EEvPKT0_PS1_,comdat
.Lfunc_end114:
	.size	_Z16sort_keys_kernelI22helper_blocked_blockedxLj192ELj3ELj10EEvPKT0_PS1_, .Lfunc_end114-_Z16sort_keys_kernelI22helper_blocked_blockedxLj192ELj3ELj10EEvPKT0_PS1_
                                        ; -- End function
	.section	.AMDGPU.csdata,"",@progbits
; Kernel info:
; codeLenInByte = 2448
; NumSgprs: 24
; NumVgprs: 40
; ScratchSize: 0
; MemoryBound: 0
; FloatMode: 240
; IeeeMode: 1
; LDSByteSize: 6176 bytes/workgroup (compile time only)
; SGPRBlocks: 2
; VGPRBlocks: 4
; NumSGPRsForWavesPerEU: 24
; NumVGPRsForWavesPerEU: 40
; Occupancy: 15
; WaveLimiterHint : 1
; COMPUTE_PGM_RSRC2:SCRATCH_EN: 0
; COMPUTE_PGM_RSRC2:USER_SGPR: 15
; COMPUTE_PGM_RSRC2:TRAP_HANDLER: 0
; COMPUTE_PGM_RSRC2:TGID_X_EN: 1
; COMPUTE_PGM_RSRC2:TGID_Y_EN: 0
; COMPUTE_PGM_RSRC2:TGID_Z_EN: 0
; COMPUTE_PGM_RSRC2:TIDIG_COMP_CNT: 2
	.section	.text._Z17sort_pairs_kernelI22helper_blocked_blockedxLj192ELj3ELj10EEvPKT0_PS1_,"axG",@progbits,_Z17sort_pairs_kernelI22helper_blocked_blockedxLj192ELj3ELj10EEvPKT0_PS1_,comdat
	.protected	_Z17sort_pairs_kernelI22helper_blocked_blockedxLj192ELj3ELj10EEvPKT0_PS1_ ; -- Begin function _Z17sort_pairs_kernelI22helper_blocked_blockedxLj192ELj3ELj10EEvPKT0_PS1_
	.globl	_Z17sort_pairs_kernelI22helper_blocked_blockedxLj192ELj3ELj10EEvPKT0_PS1_
	.p2align	8
	.type	_Z17sort_pairs_kernelI22helper_blocked_blockedxLj192ELj3ELj10EEvPKT0_PS1_,@function
_Z17sort_pairs_kernelI22helper_blocked_blockedxLj192ELj3ELj10EEvPKT0_PS1_: ; @_Z17sort_pairs_kernelI22helper_blocked_blockedxLj192ELj3ELj10EEvPKT0_PS1_
; %bb.0:
	s_clause 0x1
	s_load_b128 s[16:19], s[0:1], 0x0
	s_load_b32 s12, s[0:1], 0x1c
	v_and_b32_e32 v9, 0x3ff, v0
	s_mov_b32 s21, 0
	s_mul_i32 s20, s15, 0x240
	v_mbcnt_lo_u32_b32 v7, -1, 0
	s_lshl_b64 s[14:15], s[20:21], 3
	s_mov_b32 s20, s21
	s_delay_alu instid0(SALU_CYCLE_1) | instskip(NEXT) | instid1(VALU_DEP_2)
	v_dual_mov_b32 v12, s20 :: v_dual_lshlrev_b32 v5, 3, v9
	v_add_nc_u32_e32 v16, -1, v7
	v_dual_mov_b32 v13, s21 :: v_dual_and_b32 v8, 16, v7
	v_and_b32_e32 v17, 7, v7
	v_and_b32_e32 v6, 15, v7
	s_delay_alu instid0(VALU_DEP_4) | instskip(NEXT) | instid1(VALU_DEP_4)
	v_cmp_gt_i32_e32 vcc_lo, 0, v16
	v_cmp_eq_u32_e64 s5, 0, v8
	s_delay_alu instid0(VALU_DEP_4)
	v_cmp_eq_u32_e64 s9, 0, v17
	v_cmp_lt_u32_e64 s10, 1, v17
	s_waitcnt lgkmcnt(0)
	s_add_u32 s0, s16, s14
	s_addc_u32 s1, s17, s15
	s_clause 0x2
	global_load_b64 v[1:2], v5, s[0:1]
	global_load_b64 v[3:4], v5, s[0:1] offset:1536
	global_load_b64 v[14:15], v5, s[0:1] offset:3072
	s_mov_b32 s1, s21
	s_mov_b32 s0, s21
	v_mov_b32_e32 v11, s1
	v_bfe_u32 v5, v0, 10, 10
	v_bfe_u32 v0, v0, 20, 10
	s_lshr_b32 s13, s12, 16
	v_mov_b32_e32 v10, s0
	v_lshrrev_b32_e32 v18, 5, v9
	v_cmp_eq_u32_e64 s1, 0, v6
	v_cmp_lt_u32_e64 s2, 1, v6
	v_cmp_lt_u32_e64 s3, 3, v6
	;; [unrolled: 1-line block ×3, first 2 shown]
	v_and_b32_e32 v6, 0xe0, v9
	v_dual_cndmask_b32 v8, v16, v7 :: v_dual_lshlrev_b32 v33, 2, v18
	v_mad_u32_u24 v0, v0, s13, v5
	s_and_b32 s12, s12, 0xffff
	v_cmp_lt_u32_e64 s11, 3, v17
	v_min_u32_e32 v17, 0xa0, v6
	v_lshlrev_b32_e32 v32, 2, v8
	v_mul_u32_u24_e32 v8, 3, v6
	v_mad_u64_u32 v[5:6], null, v0, s12, v[9:10]
	v_mul_u32_u24_e32 v16, 0x60, v18
	v_lshlrev_b32_e32 v30, 5, v9
	s_delay_alu instid0(VALU_DEP_4)
	v_or_b32_e32 v6, v7, v8
	v_cmp_eq_u32_e64 s0, 0, v7
	v_mul_u32_u24_e32 v19, 20, v9
	v_lshlrev_b32_e32 v18, 3, v16
	v_lshrrev_b32_e32 v39, 5, v5
	v_or_b32_e32 v16, v7, v16
	v_lshlrev_b32_e32 v38, 3, v6
	v_mad_i32_i24 v34, 0xffffffe4, v9, v30
	v_or_b32_e32 v0, 31, v17
	v_mad_u32_u24 v36, v7, 24, v18
	v_lshlrev_b32_e32 v37, 3, v16
	v_cmp_gt_u32_e64 s6, 6, v9
	v_cmp_lt_u32_e64 s7, 31, v9
	v_cmp_eq_u32_e64 s8, 0, v9
	v_or_b32_e32 v31, 24, v30
	v_add_nc_u32_e32 v35, -4, v33
	v_cmp_eq_u32_e64 s12, v0, v9
	v_add_nc_u32_e32 v40, v34, v19
	s_waitcnt vmcnt(2)
	v_add_co_u32 v5, vcc_lo, v1, 1
	v_add_co_ci_u32_e32 v6, vcc_lo, 0, v2, vcc_lo
	s_waitcnt vmcnt(1)
	v_add_co_u32 v7, vcc_lo, v3, 1
	v_add_co_ci_u32_e32 v8, vcc_lo, 0, v4, vcc_lo
	;; [unrolled: 3-line block ×3, first 2 shown]
	s_branch .LBB115_2
.LBB115_1:                              ;   in Loop: Header=BB115_2 Depth=1
	v_lshlrev_b32_e32 v0, 3, v44
	v_lshlrev_b32_e32 v5, 3, v43
	;; [unrolled: 1-line block ×3, first 2 shown]
	s_barrier
	buffer_gl0_inv
	ds_store_b64 v0, v[14:15]
	ds_store_b64 v5, v[24:25]
	;; [unrolled: 1-line block ×3, first 2 shown]
	s_waitcnt lgkmcnt(0)
	s_barrier
	buffer_gl0_inv
	ds_load_2addr_b64 v[1:4], v40 offset1:1
	ds_load_b64 v[14:15], v40 offset:16
	s_waitcnt lgkmcnt(0)
	s_barrier
	buffer_gl0_inv
	ds_store_b64 v0, v[20:21]
	ds_store_b64 v5, v[18:19]
	;; [unrolled: 1-line block ×3, first 2 shown]
	s_waitcnt lgkmcnt(0)
	s_barrier
	buffer_gl0_inv
	ds_load_2addr_b64 v[5:8], v40 offset1:1
	ds_load_b64 v[16:17], v40 offset:16
	s_add_i32 s21, s21, 1
	s_delay_alu instid0(SALU_CYCLE_1)
	s_cmp_eq_u32 s21, 10
	v_xor_b32_e32 v2, 0x80000000, v2
	v_xor_b32_e32 v4, 0x80000000, v4
	;; [unrolled: 1-line block ×3, first 2 shown]
	s_cbranch_scc1 .LBB115_18
.LBB115_2:                              ; =>This Loop Header: Depth=1
                                        ;     Child Loop BB115_4 Depth 2
	s_delay_alu instid0(VALU_DEP_3) | instskip(NEXT) | instid1(VALU_DEP_3)
	v_xor_b32_e32 v2, 0x80000000, v2
	v_xor_b32_e32 v4, 0x80000000, v4
	s_delay_alu instid0(VALU_DEP_3)
	v_xor_b32_e32 v15, 0x80000000, v15
	s_mov_b64 s[16:17], 0
	ds_store_2addr_b64 v36, v[1:2], v[3:4] offset1:1
	ds_store_b64 v36, v[14:15] offset:16
	; wave barrier
	ds_load_2addr_b64 v[0:3], v37 offset1:32
	ds_load_b64 v[26:27], v37 offset:512
	; wave barrier
	s_waitcnt lgkmcnt(5)
	ds_store_2addr_b64 v36, v[5:6], v[7:8] offset1:1
	s_waitcnt lgkmcnt(5)
	ds_store_b64 v36, v[16:17] offset:16
	; wave barrier
	ds_load_2addr_b64 v[4:7], v37 offset1:32
	ds_load_b64 v[28:29], v37 offset:512
	s_waitcnt lgkmcnt(0)
	s_barrier
	s_branch .LBB115_4
.LBB115_3:                              ;   in Loop: Header=BB115_4 Depth=2
	v_lshlrev_b32_e32 v4, 3, v44
	v_lshlrev_b32_e32 v5, 3, v43
	s_delay_alu instid0(VALU_DEP_3)
	v_lshlrev_b32_e32 v6, 3, v8
	s_barrier
	buffer_gl0_inv
	ds_store_b64 v4, v[14:15]
	ds_store_b64 v5, v[24:25]
	ds_store_b64 v6, v[22:23]
	s_waitcnt lgkmcnt(0)
	s_barrier
	buffer_gl0_inv
	ds_load_2addr_b64 v[0:3], v38 offset1:32
	ds_load_b64 v[26:27], v38 offset:512
	s_waitcnt lgkmcnt(0)
	s_barrier
	buffer_gl0_inv
	ds_store_b64 v4, v[20:21]
	ds_store_b64 v5, v[18:19]
	ds_store_b64 v6, v[16:17]
	s_waitcnt lgkmcnt(0)
	s_barrier
	buffer_gl0_inv
	ds_load_2addr_b64 v[4:7], v38 offset1:32
	ds_load_b64 v[28:29], v38 offset:512
	s_add_u32 s16, s16, 8
	s_addc_u32 s17, s17, 0
	s_waitcnt lgkmcnt(0)
	s_barrier
	s_cbranch_execz .LBB115_1
.LBB115_4:                              ;   Parent Loop BB115_2 Depth=1
                                        ; =>  This Inner Loop Header: Depth=2
	v_dual_mov_b32 v15, v1 :: v_dual_mov_b32 v14, v0
	buffer_gl0_inv
	ds_store_2addr_b64 v30, v[12:13], v[10:11] offset0:3 offset1:4
	ds_store_2addr_b64 v31, v[12:13], v[10:11] offset0:2 offset1:3
	s_waitcnt lgkmcnt(0)
	s_barrier
	v_lshrrev_b64 v[41:42], s16, v[14:15]
	buffer_gl0_inv
	; wave barrier
	v_dual_mov_b32 v22, v26 :: v_dual_mov_b32 v25, v3
	v_dual_mov_b32 v23, v27 :: v_dual_and_b32 v0, 1, v41
	v_lshlrev_b32_e32 v1, 30, v41
	v_lshlrev_b32_e32 v8, 29, v41
	;; [unrolled: 1-line block ×3, first 2 shown]
	s_delay_alu instid0(VALU_DEP_4) | instskip(NEXT) | instid1(VALU_DEP_1)
	v_add_co_u32 v0, s13, v0, -1
	v_cndmask_b32_e64 v17, 0, 1, s13
	v_not_b32_e32 v21, v1
	v_cmp_gt_i32_e64 s13, 0, v1
	v_not_b32_e32 v1, v8
	v_lshlrev_b32_e32 v18, 27, v41
	v_cmp_ne_u32_e32 vcc_lo, 0, v17
	v_ashrrev_i32_e32 v21, 31, v21
	v_dual_mov_b32 v24, v2 :: v_dual_lshlrev_b32 v19, 26, v41
	v_ashrrev_i32_e32 v1, 31, v1
	v_xor_b32_e32 v0, vcc_lo, v0
	v_cmp_gt_i32_e32 vcc_lo, 0, v8
	v_not_b32_e32 v8, v16
	v_xor_b32_e32 v21, s13, v21
	v_cmp_gt_i32_e64 s13, 0, v16
	v_and_b32_e32 v0, exec_lo, v0
	v_not_b32_e32 v16, v18
	v_ashrrev_i32_e32 v8, 31, v8
	v_xor_b32_e32 v1, vcc_lo, v1
	v_cmp_gt_i32_e32 vcc_lo, 0, v18
	v_and_b32_e32 v0, v0, v21
	v_not_b32_e32 v18, v19
	v_ashrrev_i32_e32 v16, 31, v16
	v_xor_b32_e32 v8, s13, v8
	v_cmp_gt_i32_e64 s13, 0, v19
	v_and_b32_e32 v0, v0, v1
	v_ashrrev_i32_e32 v18, 31, v18
	v_xor_b32_e32 v16, vcc_lo, v16
	v_lshlrev_b32_e32 v20, 25, v41
	v_lshlrev_b32_e32 v17, 24, v41
	v_and_b32_e32 v0, v0, v8
	v_xor_b32_e32 v18, s13, v18
	s_delay_alu instid0(VALU_DEP_2) | instskip(NEXT) | instid1(VALU_DEP_1)
	v_and_b32_e32 v0, v0, v16
	v_dual_mov_b32 v19, v7 :: v_dual_and_b32 v0, v0, v18
	v_mov_b32_e32 v18, v6
	v_not_b32_e32 v1, v20
	v_cmp_gt_i32_e32 vcc_lo, 0, v20
	v_not_b32_e32 v8, v17
	v_cmp_gt_i32_e64 s13, 0, v17
	v_mov_b32_e32 v16, v28
	v_ashrrev_i32_e32 v1, 31, v1
	v_mov_b32_e32 v21, v5
	v_ashrrev_i32_e32 v8, 31, v8
	v_dual_mov_b32 v17, v29 :: v_dual_mov_b32 v20, v4
	s_delay_alu instid0(VALU_DEP_4) | instskip(NEXT) | instid1(VALU_DEP_3)
	v_xor_b32_e32 v1, vcc_lo, v1
	v_xor_b32_e32 v8, s13, v8
	s_delay_alu instid0(VALU_DEP_2) | instskip(SKIP_1) | instid1(VALU_DEP_2)
	v_and_b32_e32 v0, v0, v1
	v_and_b32_e32 v1, 0xff, v41
	;; [unrolled: 1-line block ×3, first 2 shown]
	s_delay_alu instid0(VALU_DEP_2) | instskip(NEXT) | instid1(VALU_DEP_2)
	v_mad_u32_u24 v1, v1, 6, v39
	v_mbcnt_lo_u32_b32 v8, v0, 0
	v_cmp_ne_u32_e64 s13, 0, v0
	s_delay_alu instid0(VALU_DEP_3) | instskip(NEXT) | instid1(VALU_DEP_3)
	v_lshl_add_u32 v26, v1, 2, 24
	v_cmp_eq_u32_e32 vcc_lo, 0, v8
	s_delay_alu instid0(VALU_DEP_3) | instskip(NEXT) | instid1(SALU_CYCLE_1)
	s_and_b32 s20, s13, vcc_lo
	s_and_saveexec_b32 s13, s20
	s_cbranch_execz .LBB115_6
; %bb.5:                                ;   in Loop: Header=BB115_4 Depth=2
	v_bcnt_u32_b32 v0, v0, 0
	ds_store_b32 v26, v0
.LBB115_6:                              ;   in Loop: Header=BB115_4 Depth=2
	s_or_b32 exec_lo, exec_lo, s13
	v_lshrrev_b64 v[0:1], s16, v[24:25]
	; wave barrier
	s_delay_alu instid0(VALU_DEP_1)
	v_and_b32_e32 v2, 1, v0
	v_lshlrev_b32_e32 v3, 30, v0
	v_lshlrev_b32_e32 v4, 29, v0
	;; [unrolled: 1-line block ×4, first 2 shown]
	v_add_co_u32 v2, s13, v2, -1
	s_delay_alu instid0(VALU_DEP_1)
	v_cndmask_b32_e64 v6, 0, 1, s13
	v_not_b32_e32 v29, v3
	v_cmp_gt_i32_e64 s13, 0, v3
	v_not_b32_e32 v3, v4
	v_lshlrev_b32_e32 v27, 26, v0
	v_cmp_ne_u32_e32 vcc_lo, 0, v6
	v_ashrrev_i32_e32 v6, 31, v29
	v_lshlrev_b32_e32 v28, 25, v0
	v_ashrrev_i32_e32 v3, 31, v3
	v_and_b32_e32 v1, 0xff, v0
	v_xor_b32_e32 v2, vcc_lo, v2
	v_cmp_gt_i32_e32 vcc_lo, 0, v4
	v_not_b32_e32 v4, v5
	v_xor_b32_e32 v6, s13, v6
	v_cmp_gt_i32_e64 s13, 0, v5
	v_and_b32_e32 v2, exec_lo, v2
	v_not_b32_e32 v5, v7
	v_ashrrev_i32_e32 v4, 31, v4
	v_xor_b32_e32 v3, vcc_lo, v3
	v_cmp_gt_i32_e32 vcc_lo, 0, v7
	v_and_b32_e32 v2, v2, v6
	v_not_b32_e32 v6, v27
	v_ashrrev_i32_e32 v5, 31, v5
	v_xor_b32_e32 v4, s13, v4
	v_lshlrev_b32_e32 v0, 24, v0
	v_and_b32_e32 v2, v2, v3
	v_cmp_gt_i32_e64 s13, 0, v27
	v_not_b32_e32 v3, v28
	v_ashrrev_i32_e32 v6, 31, v6
	v_xor_b32_e32 v5, vcc_lo, v5
	v_and_b32_e32 v2, v2, v4
	v_cmp_gt_i32_e32 vcc_lo, 0, v28
	v_not_b32_e32 v4, v0
	v_ashrrev_i32_e32 v3, 31, v3
	v_xor_b32_e32 v6, s13, v6
	v_and_b32_e32 v2, v2, v5
	v_mul_u32_u24_e32 v1, 6, v1
	v_cmp_gt_i32_e64 s13, 0, v0
	v_ashrrev_i32_e32 v0, 31, v4
	v_xor_b32_e32 v3, vcc_lo, v3
	v_and_b32_e32 v2, v2, v6
	v_add_lshl_u32 v1, v1, v39, 2
	s_delay_alu instid0(VALU_DEP_4) | instskip(NEXT) | instid1(VALU_DEP_3)
	v_xor_b32_e32 v0, s13, v0
	v_and_b32_e32 v2, v2, v3
	ds_load_b32 v27, v1 offset:24
	v_add_nc_u32_e32 v29, 24, v1
	; wave barrier
	v_and_b32_e32 v0, v2, v0
	s_delay_alu instid0(VALU_DEP_1) | instskip(SKIP_1) | instid1(VALU_DEP_2)
	v_mbcnt_lo_u32_b32 v28, v0, 0
	v_cmp_ne_u32_e64 s13, 0, v0
	v_cmp_eq_u32_e32 vcc_lo, 0, v28
	s_delay_alu instid0(VALU_DEP_2) | instskip(NEXT) | instid1(SALU_CYCLE_1)
	s_and_b32 s20, s13, vcc_lo
	s_and_saveexec_b32 s13, s20
	s_cbranch_execz .LBB115_8
; %bb.7:                                ;   in Loop: Header=BB115_4 Depth=2
	s_waitcnt lgkmcnt(0)
	v_bcnt_u32_b32 v0, v0, v27
	ds_store_b32 v29, v0
.LBB115_8:                              ;   in Loop: Header=BB115_4 Depth=2
	s_or_b32 exec_lo, exec_lo, s13
	v_lshrrev_b64 v[0:1], s16, v[22:23]
	; wave barrier
	s_delay_alu instid0(VALU_DEP_1)
	v_and_b32_e32 v2, 1, v0
	v_lshlrev_b32_e32 v3, 30, v0
	v_lshlrev_b32_e32 v4, 29, v0
	;; [unrolled: 1-line block ×4, first 2 shown]
	v_add_co_u32 v2, s13, v2, -1
	s_delay_alu instid0(VALU_DEP_1)
	v_cndmask_b32_e64 v6, 0, 1, s13
	v_not_b32_e32 v43, v3
	v_cmp_gt_i32_e64 s13, 0, v3
	v_not_b32_e32 v3, v4
	v_lshlrev_b32_e32 v41, 26, v0
	v_cmp_ne_u32_e32 vcc_lo, 0, v6
	v_ashrrev_i32_e32 v6, 31, v43
	v_lshlrev_b32_e32 v42, 25, v0
	v_ashrrev_i32_e32 v3, 31, v3
	v_and_b32_e32 v1, 0xff, v0
	v_xor_b32_e32 v2, vcc_lo, v2
	v_cmp_gt_i32_e32 vcc_lo, 0, v4
	v_not_b32_e32 v4, v5
	v_xor_b32_e32 v6, s13, v6
	v_cmp_gt_i32_e64 s13, 0, v5
	v_and_b32_e32 v2, exec_lo, v2
	v_not_b32_e32 v5, v7
	v_ashrrev_i32_e32 v4, 31, v4
	v_xor_b32_e32 v3, vcc_lo, v3
	v_cmp_gt_i32_e32 vcc_lo, 0, v7
	v_and_b32_e32 v2, v2, v6
	v_not_b32_e32 v6, v41
	v_ashrrev_i32_e32 v5, 31, v5
	v_xor_b32_e32 v4, s13, v4
	v_lshlrev_b32_e32 v0, 24, v0
	v_and_b32_e32 v2, v2, v3
	v_cmp_gt_i32_e64 s13, 0, v41
	v_not_b32_e32 v3, v42
	v_ashrrev_i32_e32 v6, 31, v6
	v_xor_b32_e32 v5, vcc_lo, v5
	v_and_b32_e32 v2, v2, v4
	v_cmp_gt_i32_e32 vcc_lo, 0, v42
	v_not_b32_e32 v4, v0
	v_ashrrev_i32_e32 v3, 31, v3
	v_xor_b32_e32 v6, s13, v6
	v_and_b32_e32 v2, v2, v5
	v_mul_u32_u24_e32 v1, 6, v1
	v_cmp_gt_i32_e64 s13, 0, v0
	v_ashrrev_i32_e32 v0, 31, v4
	v_xor_b32_e32 v3, vcc_lo, v3
	v_and_b32_e32 v2, v2, v6
	v_add_lshl_u32 v1, v1, v39, 2
	s_delay_alu instid0(VALU_DEP_4) | instskip(NEXT) | instid1(VALU_DEP_3)
	v_xor_b32_e32 v0, s13, v0
	v_and_b32_e32 v2, v2, v3
	ds_load_b32 v41, v1 offset:24
	v_add_nc_u32_e32 v43, 24, v1
	; wave barrier
	v_and_b32_e32 v0, v2, v0
	s_delay_alu instid0(VALU_DEP_1) | instskip(SKIP_1) | instid1(VALU_DEP_2)
	v_mbcnt_lo_u32_b32 v42, v0, 0
	v_cmp_ne_u32_e64 s13, 0, v0
	v_cmp_eq_u32_e32 vcc_lo, 0, v42
	s_delay_alu instid0(VALU_DEP_2) | instskip(NEXT) | instid1(SALU_CYCLE_1)
	s_and_b32 s20, s13, vcc_lo
	s_and_saveexec_b32 s13, s20
	s_cbranch_execz .LBB115_10
; %bb.9:                                ;   in Loop: Header=BB115_4 Depth=2
	s_waitcnt lgkmcnt(0)
	v_bcnt_u32_b32 v0, v0, v41
	ds_store_b32 v43, v0
.LBB115_10:                             ;   in Loop: Header=BB115_4 Depth=2
	s_or_b32 exec_lo, exec_lo, s13
	; wave barrier
	s_waitcnt lgkmcnt(0)
	s_barrier
	buffer_gl0_inv
	ds_load_2addr_b64 v[4:7], v30 offset0:3 offset1:4
	ds_load_2addr_b64 v[0:3], v31 offset0:2 offset1:3
	s_waitcnt lgkmcnt(1)
	v_add_nc_u32_e32 v44, v5, v4
	s_delay_alu instid0(VALU_DEP_1) | instskip(SKIP_1) | instid1(VALU_DEP_1)
	v_add3_u32 v44, v44, v6, v7
	s_waitcnt lgkmcnt(0)
	v_add3_u32 v44, v44, v0, v1
	s_delay_alu instid0(VALU_DEP_1) | instskip(NEXT) | instid1(VALU_DEP_1)
	v_add3_u32 v3, v44, v2, v3
	v_mov_b32_dpp v44, v3 row_shr:1 row_mask:0xf bank_mask:0xf
	s_delay_alu instid0(VALU_DEP_1) | instskip(NEXT) | instid1(VALU_DEP_1)
	v_cndmask_b32_e64 v44, v44, 0, s1
	v_add_nc_u32_e32 v3, v44, v3
	s_delay_alu instid0(VALU_DEP_1) | instskip(NEXT) | instid1(VALU_DEP_1)
	v_mov_b32_dpp v44, v3 row_shr:2 row_mask:0xf bank_mask:0xf
	v_cndmask_b32_e64 v44, 0, v44, s2
	s_delay_alu instid0(VALU_DEP_1) | instskip(NEXT) | instid1(VALU_DEP_1)
	v_add_nc_u32_e32 v3, v3, v44
	v_mov_b32_dpp v44, v3 row_shr:4 row_mask:0xf bank_mask:0xf
	s_delay_alu instid0(VALU_DEP_1) | instskip(NEXT) | instid1(VALU_DEP_1)
	v_cndmask_b32_e64 v44, 0, v44, s3
	v_add_nc_u32_e32 v3, v3, v44
	s_delay_alu instid0(VALU_DEP_1) | instskip(NEXT) | instid1(VALU_DEP_1)
	v_mov_b32_dpp v44, v3 row_shr:8 row_mask:0xf bank_mask:0xf
	v_cndmask_b32_e64 v44, 0, v44, s4
	s_delay_alu instid0(VALU_DEP_1) | instskip(SKIP_3) | instid1(VALU_DEP_1)
	v_add_nc_u32_e32 v3, v3, v44
	ds_swizzle_b32 v44, v3 offset:swizzle(BROADCAST,32,15)
	s_waitcnt lgkmcnt(0)
	v_cndmask_b32_e64 v44, v44, 0, s5
	v_add_nc_u32_e32 v3, v3, v44
	s_and_saveexec_b32 s13, s12
	s_cbranch_execz .LBB115_12
; %bb.11:                               ;   in Loop: Header=BB115_4 Depth=2
	ds_store_b32 v33, v3
.LBB115_12:                             ;   in Loop: Header=BB115_4 Depth=2
	s_or_b32 exec_lo, exec_lo, s13
	s_waitcnt lgkmcnt(0)
	s_barrier
	buffer_gl0_inv
	s_and_saveexec_b32 s13, s6
	s_cbranch_execz .LBB115_14
; %bb.13:                               ;   in Loop: Header=BB115_4 Depth=2
	ds_load_b32 v44, v34
	s_waitcnt lgkmcnt(0)
	v_mov_b32_dpp v45, v44 row_shr:1 row_mask:0xf bank_mask:0xf
	s_delay_alu instid0(VALU_DEP_1) | instskip(NEXT) | instid1(VALU_DEP_1)
	v_cndmask_b32_e64 v45, v45, 0, s9
	v_add_nc_u32_e32 v44, v45, v44
	s_delay_alu instid0(VALU_DEP_1) | instskip(NEXT) | instid1(VALU_DEP_1)
	v_mov_b32_dpp v45, v44 row_shr:2 row_mask:0xf bank_mask:0xf
	v_cndmask_b32_e64 v45, 0, v45, s10
	s_delay_alu instid0(VALU_DEP_1) | instskip(NEXT) | instid1(VALU_DEP_1)
	v_add_nc_u32_e32 v44, v44, v45
	v_mov_b32_dpp v45, v44 row_shr:4 row_mask:0xf bank_mask:0xf
	s_delay_alu instid0(VALU_DEP_1) | instskip(NEXT) | instid1(VALU_DEP_1)
	v_cndmask_b32_e64 v45, 0, v45, s11
	v_add_nc_u32_e32 v44, v44, v45
	ds_store_b32 v34, v44
.LBB115_14:                             ;   in Loop: Header=BB115_4 Depth=2
	s_or_b32 exec_lo, exec_lo, s13
	v_mov_b32_e32 v44, 0
	s_waitcnt lgkmcnt(0)
	s_barrier
	buffer_gl0_inv
	s_and_saveexec_b32 s13, s7
	s_cbranch_execz .LBB115_16
; %bb.15:                               ;   in Loop: Header=BB115_4 Depth=2
	ds_load_b32 v44, v35
.LBB115_16:                             ;   in Loop: Header=BB115_4 Depth=2
	s_or_b32 exec_lo, exec_lo, s13
	s_waitcnt lgkmcnt(0)
	v_add_nc_u32_e32 v3, v44, v3
	s_cmp_gt_u32 s16, 55
	ds_bpermute_b32 v3, v32, v3
	s_waitcnt lgkmcnt(0)
	v_cndmask_b32_e64 v3, v3, v44, s0
	s_delay_alu instid0(VALU_DEP_1) | instskip(NEXT) | instid1(VALU_DEP_1)
	v_cndmask_b32_e64 v3, v3, 0, s8
	v_add_nc_u32_e32 v4, v3, v4
	s_delay_alu instid0(VALU_DEP_1) | instskip(NEXT) | instid1(VALU_DEP_1)
	v_add_nc_u32_e32 v5, v4, v5
	v_add_nc_u32_e32 v6, v5, v6
	s_delay_alu instid0(VALU_DEP_1) | instskip(NEXT) | instid1(VALU_DEP_1)
	v_add_nc_u32_e32 v44, v6, v7
	;; [unrolled: 3-line block ×3, first 2 shown]
	v_add_nc_u32_e32 v1, v0, v2
	ds_store_2addr_b64 v30, v[3:4], v[5:6] offset0:3 offset1:4
	ds_store_2addr_b64 v31, v[44:45], v[0:1] offset0:2 offset1:3
	s_waitcnt lgkmcnt(0)
	s_barrier
	buffer_gl0_inv
	ds_load_b32 v0, v26
	ds_load_b32 v1, v29
	;; [unrolled: 1-line block ×3, first 2 shown]
	s_waitcnt lgkmcnt(2)
	v_add_nc_u32_e32 v44, v0, v8
	s_waitcnt lgkmcnt(1)
	v_add3_u32 v43, v28, v27, v1
	s_waitcnt lgkmcnt(0)
	v_add3_u32 v8, v42, v41, v2
	s_cbranch_scc0 .LBB115_3
; %bb.17:                               ;   in Loop: Header=BB115_2 Depth=1
                                        ; implicit-def: $vgpr26_vgpr27
                                        ; implicit-def: $vgpr2_vgpr3
                                        ; implicit-def: $vgpr28_vgpr29
                                        ; implicit-def: $vgpr6_vgpr7
                                        ; implicit-def: $sgpr16_sgpr17
	s_branch .LBB115_1
.LBB115_18:
	s_waitcnt lgkmcnt(1)
	v_add_co_u32 v0, vcc_lo, v1, v5
	v_add_co_ci_u32_e32 v1, vcc_lo, v2, v6, vcc_lo
	v_add_co_u32 v2, vcc_lo, v3, v7
	v_add_co_ci_u32_e32 v3, vcc_lo, v4, v8, vcc_lo
	v_lshlrev_b32_e32 v6, 3, v9
	s_waitcnt lgkmcnt(0)
	v_add_co_u32 v4, vcc_lo, v14, v16
	v_add_co_ci_u32_e32 v5, vcc_lo, v15, v17, vcc_lo
	s_add_u32 s0, s18, s14
	s_addc_u32 s1, s19, s15
	s_clause 0x2
	global_store_b64 v6, v[0:1], s[0:1]
	global_store_b64 v6, v[2:3], s[0:1] offset:1536
	global_store_b64 v6, v[4:5], s[0:1] offset:3072
	s_nop 0
	s_sendmsg sendmsg(MSG_DEALLOC_VGPRS)
	s_endpgm
	.section	.rodata,"a",@progbits
	.p2align	6, 0x0
	.amdhsa_kernel _Z17sort_pairs_kernelI22helper_blocked_blockedxLj192ELj3ELj10EEvPKT0_PS1_
		.amdhsa_group_segment_fixed_size 6176
		.amdhsa_private_segment_fixed_size 0
		.amdhsa_kernarg_size 272
		.amdhsa_user_sgpr_count 15
		.amdhsa_user_sgpr_dispatch_ptr 0
		.amdhsa_user_sgpr_queue_ptr 0
		.amdhsa_user_sgpr_kernarg_segment_ptr 1
		.amdhsa_user_sgpr_dispatch_id 0
		.amdhsa_user_sgpr_private_segment_size 0
		.amdhsa_wavefront_size32 1
		.amdhsa_uses_dynamic_stack 0
		.amdhsa_enable_private_segment 0
		.amdhsa_system_sgpr_workgroup_id_x 1
		.amdhsa_system_sgpr_workgroup_id_y 0
		.amdhsa_system_sgpr_workgroup_id_z 0
		.amdhsa_system_sgpr_workgroup_info 0
		.amdhsa_system_vgpr_workitem_id 2
		.amdhsa_next_free_vgpr 46
		.amdhsa_next_free_sgpr 22
		.amdhsa_reserve_vcc 1
		.amdhsa_float_round_mode_32 0
		.amdhsa_float_round_mode_16_64 0
		.amdhsa_float_denorm_mode_32 3
		.amdhsa_float_denorm_mode_16_64 3
		.amdhsa_dx10_clamp 1
		.amdhsa_ieee_mode 1
		.amdhsa_fp16_overflow 0
		.amdhsa_workgroup_processor_mode 1
		.amdhsa_memory_ordered 1
		.amdhsa_forward_progress 0
		.amdhsa_shared_vgpr_count 0
		.amdhsa_exception_fp_ieee_invalid_op 0
		.amdhsa_exception_fp_denorm_src 0
		.amdhsa_exception_fp_ieee_div_zero 0
		.amdhsa_exception_fp_ieee_overflow 0
		.amdhsa_exception_fp_ieee_underflow 0
		.amdhsa_exception_fp_ieee_inexact 0
		.amdhsa_exception_int_div_zero 0
	.end_amdhsa_kernel
	.section	.text._Z17sort_pairs_kernelI22helper_blocked_blockedxLj192ELj3ELj10EEvPKT0_PS1_,"axG",@progbits,_Z17sort_pairs_kernelI22helper_blocked_blockedxLj192ELj3ELj10EEvPKT0_PS1_,comdat
.Lfunc_end115:
	.size	_Z17sort_pairs_kernelI22helper_blocked_blockedxLj192ELj3ELj10EEvPKT0_PS1_, .Lfunc_end115-_Z17sort_pairs_kernelI22helper_blocked_blockedxLj192ELj3ELj10EEvPKT0_PS1_
                                        ; -- End function
	.section	.AMDGPU.csdata,"",@progbits
; Kernel info:
; codeLenInByte = 2704
; NumSgprs: 24
; NumVgprs: 46
; ScratchSize: 0
; MemoryBound: 0
; FloatMode: 240
; IeeeMode: 1
; LDSByteSize: 6176 bytes/workgroup (compile time only)
; SGPRBlocks: 2
; VGPRBlocks: 5
; NumSGPRsForWavesPerEU: 24
; NumVGPRsForWavesPerEU: 46
; Occupancy: 15
; WaveLimiterHint : 1
; COMPUTE_PGM_RSRC2:SCRATCH_EN: 0
; COMPUTE_PGM_RSRC2:USER_SGPR: 15
; COMPUTE_PGM_RSRC2:TRAP_HANDLER: 0
; COMPUTE_PGM_RSRC2:TGID_X_EN: 1
; COMPUTE_PGM_RSRC2:TGID_Y_EN: 0
; COMPUTE_PGM_RSRC2:TGID_Z_EN: 0
; COMPUTE_PGM_RSRC2:TIDIG_COMP_CNT: 2
	.section	.text._Z16sort_keys_kernelI22helper_blocked_blockedxLj192ELj4ELj10EEvPKT0_PS1_,"axG",@progbits,_Z16sort_keys_kernelI22helper_blocked_blockedxLj192ELj4ELj10EEvPKT0_PS1_,comdat
	.protected	_Z16sort_keys_kernelI22helper_blocked_blockedxLj192ELj4ELj10EEvPKT0_PS1_ ; -- Begin function _Z16sort_keys_kernelI22helper_blocked_blockedxLj192ELj4ELj10EEvPKT0_PS1_
	.globl	_Z16sort_keys_kernelI22helper_blocked_blockedxLj192ELj4ELj10EEvPKT0_PS1_
	.p2align	8
	.type	_Z16sort_keys_kernelI22helper_blocked_blockedxLj192ELj4ELj10EEvPKT0_PS1_,@function
_Z16sort_keys_kernelI22helper_blocked_blockedxLj192ELj4ELj10EEvPKT0_PS1_: ; @_Z16sort_keys_kernelI22helper_blocked_blockedxLj192ELj4ELj10EEvPKT0_PS1_
; %bb.0:
	s_clause 0x1
	s_load_b128 s[16:19], s[0:1], 0x0
	s_load_b32 s3, s[0:1], 0x1c
	s_mov_b32 s23, 0
	s_mul_i32 s22, s15, 0x300
	v_mbcnt_lo_u32_b32 v12, -1, 0
	s_lshl_b64 s[20:21], s[22:23], 3
	s_mov_b32 s22, s23
	v_and_b32_e32 v9, 0x3ff, v0
	v_bfe_u32 v11, v0, 10, 10
	v_bfe_u32 v0, v0, 20, 10
	v_and_b32_e32 v10, 3, v12
	v_and_b32_e32 v13, 16, v12
	v_lshlrev_b32_e32 v1, 3, v9
	v_cmp_eq_u32_e64 s11, 0, v12
	s_delay_alu instid0(VALU_DEP_3) | instskip(SKIP_4) | instid1(VALU_DEP_1)
	v_cmp_eq_u32_e64 s7, 0, v13
	s_waitcnt lgkmcnt(0)
	s_add_u32 s0, s16, s20
	s_addc_u32 s1, s17, s21
	v_add_co_u32 v2, s2, s0, v1
	v_add_co_ci_u32_e64 v4, null, s1, 0, s2
	s_lshr_b32 s2, s3, 16
	s_delay_alu instid0(VALU_DEP_2) | instskip(NEXT) | instid1(VALU_DEP_2)
	v_add_co_u32 v3, vcc_lo, 0x1000, v2
	v_add_co_ci_u32_e32 v4, vcc_lo, 0, v4, vcc_lo
	s_clause 0x3
	global_load_b64 v[5:6], v1, s[0:1]
	global_load_b64 v[7:8], v1, s[0:1] offset:1536
	global_load_b64 v[1:2], v1, s[0:1] offset:3072
	global_load_b64 v[3:4], v[3:4], off offset:512
	v_mad_u32_u24 v0, v0, s2, v11
	s_and_b32 s3, s3, 0xffff
	v_cmp_eq_u32_e64 s0, 3, v10
	v_cmp_eq_u32_e64 s1, 2, v10
	;; [unrolled: 1-line block ×3, first 2 shown]
	v_mad_u64_u32 v[10:11], null, v0, s3, v[9:10]
	s_mov_b32 s16, s23
	s_mov_b32 s17, s23
	v_and_b32_e32 v11, 0xe0, v9
	v_and_b32_e32 v0, 15, v12
	;; [unrolled: 1-line block ×3, first 2 shown]
	s_delay_alu instid0(VALU_DEP_4) | instskip(NEXT) | instid1(VALU_DEP_4)
	v_lshrrev_b32_e32 v28, 5, v10
	v_min_u32_e32 v10, 0xa0, v11
	v_add_nc_u32_e32 v11, -1, v12
	v_cmp_eq_u32_e64 s3, 0, v0
	v_cmp_lt_u32_e64 s4, 1, v0
	v_cmp_lt_u32_e64 s5, 3, v0
	v_or_b32_e32 v10, 31, v10
	v_cmp_gt_i32_e32 vcc_lo, 0, v11
	v_cmp_lt_u32_e64 s6, 7, v0
	s_delay_alu instid0(VALU_DEP_3) | instskip(SKIP_3) | instid1(VALU_DEP_3)
	v_cmp_eq_u32_e64 s8, v10, v9
	v_cndmask_b32_e32 v0, v11, v12, vcc_lo
	v_lshlrev_b32_e32 v10, 2, v9
	v_and_b32_e32 v11, 7, v12
	v_lshlrev_b32_e32 v29, 2, v0
	v_lshrrev_b32_e32 v0, 3, v9
	s_delay_alu instid0(VALU_DEP_3) | instskip(SKIP_2) | instid1(VALU_DEP_4)
	v_cmp_eq_u32_e64 s13, 0, v11
	v_cmp_lt_u32_e64 s14, 1, v11
	v_cmp_lt_u32_e64 s15, 3, v11
	v_and_b32_e32 v30, 28, v0
	v_and_or_b32 v0, 0x380, v10, v12
	v_mov_b32_e32 v10, s22
	v_lshlrev_b32_e32 v24, 5, v9
	v_dual_mov_b32 v12, s16 :: v_dual_mov_b32 v13, s17
	s_delay_alu instid0(VALU_DEP_4) | instskip(SKIP_1) | instid1(VALU_DEP_4)
	v_lshlrev_b32_e32 v33, 3, v0
	v_mul_u32_u24_e32 v0, 28, v9
	v_mad_i32_i24 v31, 0xffffffe4, v9, v24
	v_or_b32_e32 v23, 32, v22
	v_or_b32_e32 v25, 64, v22
	;; [unrolled: 1-line block ×4, first 2 shown]
	v_cmp_gt_u32_e64 s9, 6, v9
	v_cmp_lt_u32_e64 s10, 31, v9
	v_cmp_eq_u32_e64 s12, 0, v9
	v_dual_mov_b32 v11, s23 :: v_dual_add_nc_u32 v32, -4, v30
	v_add_nc_u32_e32 v34, v31, v0
	s_branch .LBB116_2
.LBB116_1:                              ;   in Loop: Header=BB116_2 Depth=1
	v_lshlrev_b32_e32 v0, 3, v38
	v_lshlrev_b32_e32 v1, 3, v36
	;; [unrolled: 1-line block ×4, first 2 shown]
	s_barrier
	buffer_gl0_inv
	ds_store_b64 v0, v[14:15]
	ds_store_b64 v1, v[20:21]
	;; [unrolled: 1-line block ×4, first 2 shown]
	s_waitcnt lgkmcnt(0)
	s_barrier
	buffer_gl0_inv
	ds_load_2addr_b64 v[5:8], v34 offset1:1
	ds_load_2addr_b64 v[1:4], v34 offset0:2 offset1:3
	s_add_i32 s23, s23, 1
	s_delay_alu instid0(SALU_CYCLE_1)
	s_cmp_eq_u32 s23, 10
	s_waitcnt lgkmcnt(1)
	v_xor_b32_e32 v6, 0x80000000, v6
	v_xor_b32_e32 v8, 0x80000000, v8
	s_waitcnt lgkmcnt(0)
	v_xor_b32_e32 v2, 0x80000000, v2
	v_xor_b32_e32 v4, 0x80000000, v4
	s_cbranch_scc1 .LBB116_20
.LBB116_2:                              ; =>This Loop Header: Depth=1
                                        ;     Child Loop BB116_4 Depth 2
	s_waitcnt vmcnt(3)
	v_xor_b32_e32 v0, 0x80000000, v6
	s_waitcnt vmcnt(2)
	v_xor_b32_e32 v6, 0x80000000, v8
	ds_bpermute_b32 v8, v22, v5
	ds_bpermute_b32 v14, v22, v7
	s_waitcnt vmcnt(1)
	v_xor_b32_e32 v2, 0x80000000, v2
	ds_bpermute_b32 v15, v22, v0
	ds_bpermute_b32 v16, v22, v6
	;; [unrolled: 1-line block ×14, first 2 shown]
	s_waitcnt vmcnt(0)
	v_xor_b32_e32 v4, 0x80000000, v4
	ds_bpermute_b32 v37, v23, v1
	ds_bpermute_b32 v43, v26, v2
	;; [unrolled: 1-line block ×3, first 2 shown]
	s_waitcnt lgkmcnt(17)
	v_cndmask_b32_e64 v8, v8, v14, s2
	ds_bpermute_b32 v14, v25, v6
	ds_bpermute_b32 v6, v26, v6
	s_waitcnt lgkmcnt(17)
	v_cndmask_b32_e64 v15, v15, v16, s2
	ds_bpermute_b32 v16, v26, v0
	s_waitcnt lgkmcnt(17)
	v_cndmask_b32_e64 v0, v8, v17, s1
	s_waitcnt lgkmcnt(15)
	v_cndmask_b32_e64 v8, v18, v19, s2
	ds_bpermute_b32 v18, v25, v1
	s_waitcnt lgkmcnt(15)
	v_cndmask_b32_e64 v15, v15, v20, s1
	ds_bpermute_b32 v19, v25, v2
	ds_bpermute_b32 v20, v26, v1
	ds_bpermute_b32 v40, v22, v4
	ds_bpermute_b32 v17, v23, v3
	ds_bpermute_b32 v44, v23, v4
	ds_bpermute_b32 v45, v25, v3
	ds_bpermute_b32 v46, v25, v4
	ds_bpermute_b32 v47, v26, v3
	ds_bpermute_b32 v48, v26, v4
	s_waitcnt lgkmcnt(22)
	v_cndmask_b32_e64 v2, v35, v36, s2
	s_waitcnt lgkmcnt(17)
	v_cndmask_b32_e64 v3, v8, v41, s1
	v_cndmask_b32_e64 v4, v38, v39, s2
	s_waitcnt lgkmcnt(12)
	v_cndmask_b32_e64 v8, v42, v14, s2
	v_cndmask_b32_e64 v5, v5, v7, s2
	;; [unrolled: 1-line block ×3, first 2 shown]
	s_waitcnt lgkmcnt(10)
	v_cndmask_b32_e64 v6, v16, v6, s2
	v_cndmask_b32_e64 v0, v0, v21, s0
	s_mov_b64 s[24:25], 0
	s_waitcnt lgkmcnt(9)
	v_cndmask_b32_e64 v4, v4, v18, s1
	s_waitcnt lgkmcnt(0)
	v_cndmask_b32_e64 v7, v8, v19, s1
	v_cndmask_b32_e64 v8, v5, v20, s1
	v_cndmask_b32_e64 v14, v6, v43, s1
	v_cndmask_b32_e64 v1, v15, v40, s0
	v_cndmask_b32_e64 v2, v2, v17, s0
	v_cndmask_b32_e64 v3, v3, v44, s0
	v_cndmask_b32_e64 v4, v4, v45, s0
	v_cndmask_b32_e64 v5, v7, v46, s0
	v_cndmask_b32_e64 v6, v8, v47, s0
	v_cndmask_b32_e64 v7, v14, v48, s0
	s_barrier
	s_branch .LBB116_4
.LBB116_3:                              ;   in Loop: Header=BB116_4 Depth=2
	v_lshlrev_b32_e32 v0, 3, v38
	v_lshlrev_b32_e32 v1, 3, v36
	;; [unrolled: 1-line block ×4, first 2 shown]
	s_barrier
	buffer_gl0_inv
	ds_store_b64 v0, v[14:15]
	ds_store_b64 v1, v[20:21]
	;; [unrolled: 1-line block ×4, first 2 shown]
	s_waitcnt lgkmcnt(0)
	s_barrier
	buffer_gl0_inv
	ds_load_2addr_b64 v[0:3], v33 offset1:32
	ds_load_2addr_b64 v[4:7], v33 offset0:64 offset1:96
	s_add_u32 s24, s24, 8
	s_addc_u32 s25, s25, 0
	s_waitcnt lgkmcnt(0)
	s_barrier
	s_cbranch_execz .LBB116_1
.LBB116_4:                              ;   Parent Loop BB116_2 Depth=1
                                        ; =>  This Inner Loop Header: Depth=2
	v_dual_mov_b32 v15, v1 :: v_dual_mov_b32 v14, v0
	buffer_gl0_inv
	ds_store_2addr_b64 v24, v[10:11], v[12:13] offset0:3 offset1:4
	ds_store_2addr_b64 v27, v[10:11], v[12:13] offset0:2 offset1:3
	s_waitcnt lgkmcnt(0)
	s_barrier
	v_lshrrev_b64 v[35:36], s24, v[14:15]
	buffer_gl0_inv
	; wave barrier
	v_and_b32_e32 v0, 1, v35
	v_lshlrev_b32_e32 v1, 30, v35
	v_lshlrev_b32_e32 v8, 29, v35
	;; [unrolled: 1-line block ×4, first 2 shown]
	v_add_co_u32 v0, s16, v0, -1
	s_delay_alu instid0(VALU_DEP_1)
	v_cndmask_b32_e64 v17, 0, 1, s16
	v_not_b32_e32 v21, v1
	v_cmp_gt_i32_e64 s16, 0, v1
	v_not_b32_e32 v1, v8
	v_lshlrev_b32_e32 v19, 26, v35
	v_cmp_ne_u32_e32 vcc_lo, 0, v17
	v_ashrrev_i32_e32 v21, 31, v21
	v_lshlrev_b32_e32 v20, 25, v35
	v_ashrrev_i32_e32 v1, 31, v1
	v_lshlrev_b32_e32 v17, 24, v35
	v_xor_b32_e32 v0, vcc_lo, v0
	v_cmp_gt_i32_e32 vcc_lo, 0, v8
	v_not_b32_e32 v8, v16
	v_xor_b32_e32 v21, s16, v21
	v_cmp_gt_i32_e64 s16, 0, v16
	v_and_b32_e32 v0, exec_lo, v0
	v_not_b32_e32 v16, v18
	v_ashrrev_i32_e32 v8, 31, v8
	v_xor_b32_e32 v1, vcc_lo, v1
	v_cmp_gt_i32_e32 vcc_lo, 0, v18
	v_and_b32_e32 v0, v0, v21
	v_not_b32_e32 v18, v19
	v_ashrrev_i32_e32 v16, 31, v16
	v_xor_b32_e32 v8, s16, v8
	v_cmp_gt_i32_e64 s16, 0, v19
	v_and_b32_e32 v0, v0, v1
	v_not_b32_e32 v1, v20
	v_ashrrev_i32_e32 v18, 31, v18
	v_xor_b32_e32 v16, vcc_lo, v16
	v_cmp_gt_i32_e32 vcc_lo, 0, v20
	v_dual_mov_b32 v21, v3 :: v_dual_and_b32 v0, v0, v8
	v_mov_b32_e32 v20, v2
	v_not_b32_e32 v8, v17
	v_ashrrev_i32_e32 v1, 31, v1
	v_xor_b32_e32 v18, s16, v18
	v_and_b32_e32 v0, v0, v16
	v_cmp_gt_i32_e64 s16, 0, v17
	v_ashrrev_i32_e32 v8, 31, v8
	v_xor_b32_e32 v1, vcc_lo, v1
	s_delay_alu instid0(VALU_DEP_4) | instskip(SKIP_1) | instid1(VALU_DEP_4)
	v_dual_mov_b32 v17, v7 :: v_dual_and_b32 v0, v0, v18
	v_mov_b32_e32 v19, v5
	v_xor_b32_e32 v8, s16, v8
	v_mov_b32_e32 v16, v6
	v_mov_b32_e32 v18, v4
	v_and_b32_e32 v0, v0, v1
	v_and_b32_e32 v1, 0xff, v35
	s_delay_alu instid0(VALU_DEP_2) | instskip(NEXT) | instid1(VALU_DEP_2)
	v_and_b32_e32 v0, v0, v8
	v_mad_u32_u24 v1, v1, 6, v28
	s_delay_alu instid0(VALU_DEP_2) | instskip(SKIP_1) | instid1(VALU_DEP_3)
	v_mbcnt_lo_u32_b32 v8, v0, 0
	v_cmp_ne_u32_e64 s16, 0, v0
	v_lshl_add_u32 v35, v1, 2, 24
	s_delay_alu instid0(VALU_DEP_3) | instskip(NEXT) | instid1(VALU_DEP_3)
	v_cmp_eq_u32_e32 vcc_lo, 0, v8
	s_and_b32 s17, s16, vcc_lo
	s_delay_alu instid0(SALU_CYCLE_1)
	s_and_saveexec_b32 s16, s17
	s_cbranch_execz .LBB116_6
; %bb.5:                                ;   in Loop: Header=BB116_4 Depth=2
	v_bcnt_u32_b32 v0, v0, 0
	ds_store_b32 v35, v0
.LBB116_6:                              ;   in Loop: Header=BB116_4 Depth=2
	s_or_b32 exec_lo, exec_lo, s16
	v_lshrrev_b64 v[0:1], s24, v[20:21]
	; wave barrier
	s_delay_alu instid0(VALU_DEP_1)
	v_and_b32_e32 v2, 1, v0
	v_lshlrev_b32_e32 v3, 30, v0
	v_lshlrev_b32_e32 v4, 29, v0
	;; [unrolled: 1-line block ×4, first 2 shown]
	v_add_co_u32 v2, s16, v2, -1
	s_delay_alu instid0(VALU_DEP_1)
	v_cndmask_b32_e64 v6, 0, 1, s16
	v_not_b32_e32 v38, v3
	v_cmp_gt_i32_e64 s16, 0, v3
	v_not_b32_e32 v3, v4
	v_lshlrev_b32_e32 v36, 26, v0
	v_cmp_ne_u32_e32 vcc_lo, 0, v6
	v_ashrrev_i32_e32 v6, 31, v38
	v_lshlrev_b32_e32 v37, 25, v0
	v_ashrrev_i32_e32 v3, 31, v3
	v_and_b32_e32 v1, 0xff, v0
	v_xor_b32_e32 v2, vcc_lo, v2
	v_cmp_gt_i32_e32 vcc_lo, 0, v4
	v_not_b32_e32 v4, v5
	v_xor_b32_e32 v6, s16, v6
	v_cmp_gt_i32_e64 s16, 0, v5
	v_and_b32_e32 v2, exec_lo, v2
	v_not_b32_e32 v5, v7
	v_ashrrev_i32_e32 v4, 31, v4
	v_xor_b32_e32 v3, vcc_lo, v3
	v_cmp_gt_i32_e32 vcc_lo, 0, v7
	v_and_b32_e32 v2, v2, v6
	v_not_b32_e32 v6, v36
	v_ashrrev_i32_e32 v5, 31, v5
	v_xor_b32_e32 v4, s16, v4
	v_lshlrev_b32_e32 v0, 24, v0
	v_and_b32_e32 v2, v2, v3
	v_cmp_gt_i32_e64 s16, 0, v36
	v_not_b32_e32 v3, v37
	v_ashrrev_i32_e32 v6, 31, v6
	v_xor_b32_e32 v5, vcc_lo, v5
	v_and_b32_e32 v2, v2, v4
	v_cmp_gt_i32_e32 vcc_lo, 0, v37
	v_not_b32_e32 v4, v0
	v_ashrrev_i32_e32 v3, 31, v3
	v_xor_b32_e32 v6, s16, v6
	v_and_b32_e32 v2, v2, v5
	v_mul_u32_u24_e32 v1, 6, v1
	v_cmp_gt_i32_e64 s16, 0, v0
	v_ashrrev_i32_e32 v0, 31, v4
	v_xor_b32_e32 v3, vcc_lo, v3
	v_and_b32_e32 v2, v2, v6
	v_add_lshl_u32 v1, v1, v28, 2
	s_delay_alu instid0(VALU_DEP_4) | instskip(NEXT) | instid1(VALU_DEP_3)
	v_xor_b32_e32 v0, s16, v0
	v_and_b32_e32 v2, v2, v3
	ds_load_b32 v36, v1 offset:24
	v_add_nc_u32_e32 v38, 24, v1
	; wave barrier
	v_and_b32_e32 v0, v2, v0
	s_delay_alu instid0(VALU_DEP_1) | instskip(SKIP_1) | instid1(VALU_DEP_2)
	v_mbcnt_lo_u32_b32 v37, v0, 0
	v_cmp_ne_u32_e64 s16, 0, v0
	v_cmp_eq_u32_e32 vcc_lo, 0, v37
	s_delay_alu instid0(VALU_DEP_2) | instskip(NEXT) | instid1(SALU_CYCLE_1)
	s_and_b32 s17, s16, vcc_lo
	s_and_saveexec_b32 s16, s17
	s_cbranch_execz .LBB116_8
; %bb.7:                                ;   in Loop: Header=BB116_4 Depth=2
	s_waitcnt lgkmcnt(0)
	v_bcnt_u32_b32 v0, v0, v36
	ds_store_b32 v38, v0
.LBB116_8:                              ;   in Loop: Header=BB116_4 Depth=2
	s_or_b32 exec_lo, exec_lo, s16
	v_lshrrev_b64 v[0:1], s24, v[18:19]
	; wave barrier
	s_delay_alu instid0(VALU_DEP_1)
	v_and_b32_e32 v2, 1, v0
	v_lshlrev_b32_e32 v3, 30, v0
	v_lshlrev_b32_e32 v4, 29, v0
	;; [unrolled: 1-line block ×4, first 2 shown]
	v_add_co_u32 v2, s16, v2, -1
	s_delay_alu instid0(VALU_DEP_1)
	v_cndmask_b32_e64 v6, 0, 1, s16
	v_not_b32_e32 v41, v3
	v_cmp_gt_i32_e64 s16, 0, v3
	v_not_b32_e32 v3, v4
	v_lshlrev_b32_e32 v39, 26, v0
	v_cmp_ne_u32_e32 vcc_lo, 0, v6
	v_ashrrev_i32_e32 v6, 31, v41
	v_lshlrev_b32_e32 v40, 25, v0
	v_ashrrev_i32_e32 v3, 31, v3
	v_and_b32_e32 v1, 0xff, v0
	v_xor_b32_e32 v2, vcc_lo, v2
	v_cmp_gt_i32_e32 vcc_lo, 0, v4
	v_not_b32_e32 v4, v5
	v_xor_b32_e32 v6, s16, v6
	v_cmp_gt_i32_e64 s16, 0, v5
	v_and_b32_e32 v2, exec_lo, v2
	v_not_b32_e32 v5, v7
	v_ashrrev_i32_e32 v4, 31, v4
	v_xor_b32_e32 v3, vcc_lo, v3
	v_cmp_gt_i32_e32 vcc_lo, 0, v7
	v_and_b32_e32 v2, v2, v6
	v_not_b32_e32 v6, v39
	v_ashrrev_i32_e32 v5, 31, v5
	v_xor_b32_e32 v4, s16, v4
	v_lshlrev_b32_e32 v0, 24, v0
	v_and_b32_e32 v2, v2, v3
	v_cmp_gt_i32_e64 s16, 0, v39
	v_not_b32_e32 v3, v40
	v_ashrrev_i32_e32 v6, 31, v6
	v_xor_b32_e32 v5, vcc_lo, v5
	v_and_b32_e32 v2, v2, v4
	v_cmp_gt_i32_e32 vcc_lo, 0, v40
	v_not_b32_e32 v4, v0
	v_ashrrev_i32_e32 v3, 31, v3
	v_xor_b32_e32 v6, s16, v6
	v_and_b32_e32 v2, v2, v5
	v_mul_u32_u24_e32 v1, 6, v1
	v_cmp_gt_i32_e64 s16, 0, v0
	v_ashrrev_i32_e32 v0, 31, v4
	v_xor_b32_e32 v3, vcc_lo, v3
	v_and_b32_e32 v2, v2, v6
	v_add_lshl_u32 v1, v1, v28, 2
	s_delay_alu instid0(VALU_DEP_4) | instskip(NEXT) | instid1(VALU_DEP_3)
	v_xor_b32_e32 v0, s16, v0
	v_and_b32_e32 v2, v2, v3
	ds_load_b32 v39, v1 offset:24
	v_add_nc_u32_e32 v41, 24, v1
	; wave barrier
	v_and_b32_e32 v0, v2, v0
	s_delay_alu instid0(VALU_DEP_1) | instskip(SKIP_1) | instid1(VALU_DEP_2)
	v_mbcnt_lo_u32_b32 v40, v0, 0
	v_cmp_ne_u32_e64 s16, 0, v0
	v_cmp_eq_u32_e32 vcc_lo, 0, v40
	s_delay_alu instid0(VALU_DEP_2) | instskip(NEXT) | instid1(SALU_CYCLE_1)
	s_and_b32 s17, s16, vcc_lo
	s_and_saveexec_b32 s16, s17
	s_cbranch_execz .LBB116_10
; %bb.9:                                ;   in Loop: Header=BB116_4 Depth=2
	s_waitcnt lgkmcnt(0)
	v_bcnt_u32_b32 v0, v0, v39
	ds_store_b32 v41, v0
.LBB116_10:                             ;   in Loop: Header=BB116_4 Depth=2
	s_or_b32 exec_lo, exec_lo, s16
	v_lshrrev_b64 v[0:1], s24, v[16:17]
	; wave barrier
	s_delay_alu instid0(VALU_DEP_1)
	v_and_b32_e32 v2, 1, v0
	v_lshlrev_b32_e32 v3, 30, v0
	v_lshlrev_b32_e32 v4, 29, v0
	v_lshlrev_b32_e32 v5, 28, v0
	v_lshlrev_b32_e32 v7, 27, v0
	v_add_co_u32 v2, s16, v2, -1
	s_delay_alu instid0(VALU_DEP_1)
	v_cndmask_b32_e64 v6, 0, 1, s16
	v_not_b32_e32 v44, v3
	v_cmp_gt_i32_e64 s16, 0, v3
	v_not_b32_e32 v3, v4
	v_lshlrev_b32_e32 v42, 26, v0
	v_cmp_ne_u32_e32 vcc_lo, 0, v6
	v_ashrrev_i32_e32 v6, 31, v44
	v_lshlrev_b32_e32 v43, 25, v0
	v_ashrrev_i32_e32 v3, 31, v3
	v_and_b32_e32 v1, 0xff, v0
	v_xor_b32_e32 v2, vcc_lo, v2
	v_cmp_gt_i32_e32 vcc_lo, 0, v4
	v_not_b32_e32 v4, v5
	v_xor_b32_e32 v6, s16, v6
	v_cmp_gt_i32_e64 s16, 0, v5
	v_and_b32_e32 v2, exec_lo, v2
	v_not_b32_e32 v5, v7
	v_ashrrev_i32_e32 v4, 31, v4
	v_xor_b32_e32 v3, vcc_lo, v3
	v_cmp_gt_i32_e32 vcc_lo, 0, v7
	v_and_b32_e32 v2, v2, v6
	v_not_b32_e32 v6, v42
	v_ashrrev_i32_e32 v5, 31, v5
	v_xor_b32_e32 v4, s16, v4
	v_lshlrev_b32_e32 v0, 24, v0
	v_and_b32_e32 v2, v2, v3
	v_cmp_gt_i32_e64 s16, 0, v42
	v_not_b32_e32 v3, v43
	v_ashrrev_i32_e32 v6, 31, v6
	v_xor_b32_e32 v5, vcc_lo, v5
	v_and_b32_e32 v2, v2, v4
	v_cmp_gt_i32_e32 vcc_lo, 0, v43
	v_not_b32_e32 v4, v0
	v_ashrrev_i32_e32 v3, 31, v3
	v_xor_b32_e32 v6, s16, v6
	v_and_b32_e32 v2, v2, v5
	v_mul_u32_u24_e32 v1, 6, v1
	v_cmp_gt_i32_e64 s16, 0, v0
	v_ashrrev_i32_e32 v0, 31, v4
	v_xor_b32_e32 v3, vcc_lo, v3
	v_and_b32_e32 v2, v2, v6
	v_add_lshl_u32 v1, v1, v28, 2
	s_delay_alu instid0(VALU_DEP_4) | instskip(NEXT) | instid1(VALU_DEP_3)
	v_xor_b32_e32 v0, s16, v0
	v_and_b32_e32 v2, v2, v3
	ds_load_b32 v42, v1 offset:24
	v_add_nc_u32_e32 v44, 24, v1
	; wave barrier
	v_and_b32_e32 v0, v2, v0
	s_delay_alu instid0(VALU_DEP_1) | instskip(SKIP_1) | instid1(VALU_DEP_2)
	v_mbcnt_lo_u32_b32 v43, v0, 0
	v_cmp_ne_u32_e64 s16, 0, v0
	v_cmp_eq_u32_e32 vcc_lo, 0, v43
	s_delay_alu instid0(VALU_DEP_2) | instskip(NEXT) | instid1(SALU_CYCLE_1)
	s_and_b32 s17, s16, vcc_lo
	s_and_saveexec_b32 s16, s17
	s_cbranch_execz .LBB116_12
; %bb.11:                               ;   in Loop: Header=BB116_4 Depth=2
	s_waitcnt lgkmcnt(0)
	v_bcnt_u32_b32 v0, v0, v42
	ds_store_b32 v44, v0
.LBB116_12:                             ;   in Loop: Header=BB116_4 Depth=2
	s_or_b32 exec_lo, exec_lo, s16
	; wave barrier
	s_waitcnt lgkmcnt(0)
	s_barrier
	buffer_gl0_inv
	ds_load_2addr_b64 v[4:7], v24 offset0:3 offset1:4
	ds_load_2addr_b64 v[0:3], v27 offset0:2 offset1:3
	s_waitcnt lgkmcnt(1)
	v_add_nc_u32_e32 v45, v5, v4
	s_delay_alu instid0(VALU_DEP_1) | instskip(SKIP_1) | instid1(VALU_DEP_1)
	v_add3_u32 v45, v45, v6, v7
	s_waitcnt lgkmcnt(0)
	v_add3_u32 v45, v45, v0, v1
	s_delay_alu instid0(VALU_DEP_1) | instskip(NEXT) | instid1(VALU_DEP_1)
	v_add3_u32 v3, v45, v2, v3
	v_mov_b32_dpp v45, v3 row_shr:1 row_mask:0xf bank_mask:0xf
	s_delay_alu instid0(VALU_DEP_1) | instskip(NEXT) | instid1(VALU_DEP_1)
	v_cndmask_b32_e64 v45, v45, 0, s3
	v_add_nc_u32_e32 v3, v45, v3
	s_delay_alu instid0(VALU_DEP_1) | instskip(NEXT) | instid1(VALU_DEP_1)
	v_mov_b32_dpp v45, v3 row_shr:2 row_mask:0xf bank_mask:0xf
	v_cndmask_b32_e64 v45, 0, v45, s4
	s_delay_alu instid0(VALU_DEP_1) | instskip(NEXT) | instid1(VALU_DEP_1)
	v_add_nc_u32_e32 v3, v3, v45
	v_mov_b32_dpp v45, v3 row_shr:4 row_mask:0xf bank_mask:0xf
	s_delay_alu instid0(VALU_DEP_1) | instskip(NEXT) | instid1(VALU_DEP_1)
	v_cndmask_b32_e64 v45, 0, v45, s5
	v_add_nc_u32_e32 v3, v3, v45
	s_delay_alu instid0(VALU_DEP_1) | instskip(NEXT) | instid1(VALU_DEP_1)
	v_mov_b32_dpp v45, v3 row_shr:8 row_mask:0xf bank_mask:0xf
	v_cndmask_b32_e64 v45, 0, v45, s6
	s_delay_alu instid0(VALU_DEP_1) | instskip(SKIP_3) | instid1(VALU_DEP_1)
	v_add_nc_u32_e32 v3, v3, v45
	ds_swizzle_b32 v45, v3 offset:swizzle(BROADCAST,32,15)
	s_waitcnt lgkmcnt(0)
	v_cndmask_b32_e64 v45, v45, 0, s7
	v_add_nc_u32_e32 v3, v3, v45
	s_and_saveexec_b32 s16, s8
	s_cbranch_execz .LBB116_14
; %bb.13:                               ;   in Loop: Header=BB116_4 Depth=2
	ds_store_b32 v30, v3
.LBB116_14:                             ;   in Loop: Header=BB116_4 Depth=2
	s_or_b32 exec_lo, exec_lo, s16
	s_waitcnt lgkmcnt(0)
	s_barrier
	buffer_gl0_inv
	s_and_saveexec_b32 s16, s9
	s_cbranch_execz .LBB116_16
; %bb.15:                               ;   in Loop: Header=BB116_4 Depth=2
	ds_load_b32 v45, v31
	s_waitcnt lgkmcnt(0)
	v_mov_b32_dpp v46, v45 row_shr:1 row_mask:0xf bank_mask:0xf
	s_delay_alu instid0(VALU_DEP_1) | instskip(NEXT) | instid1(VALU_DEP_1)
	v_cndmask_b32_e64 v46, v46, 0, s13
	v_add_nc_u32_e32 v45, v46, v45
	s_delay_alu instid0(VALU_DEP_1) | instskip(NEXT) | instid1(VALU_DEP_1)
	v_mov_b32_dpp v46, v45 row_shr:2 row_mask:0xf bank_mask:0xf
	v_cndmask_b32_e64 v46, 0, v46, s14
	s_delay_alu instid0(VALU_DEP_1) | instskip(NEXT) | instid1(VALU_DEP_1)
	v_add_nc_u32_e32 v45, v45, v46
	v_mov_b32_dpp v46, v45 row_shr:4 row_mask:0xf bank_mask:0xf
	s_delay_alu instid0(VALU_DEP_1) | instskip(NEXT) | instid1(VALU_DEP_1)
	v_cndmask_b32_e64 v46, 0, v46, s15
	v_add_nc_u32_e32 v45, v45, v46
	ds_store_b32 v31, v45
.LBB116_16:                             ;   in Loop: Header=BB116_4 Depth=2
	s_or_b32 exec_lo, exec_lo, s16
	v_mov_b32_e32 v45, 0
	s_waitcnt lgkmcnt(0)
	s_barrier
	buffer_gl0_inv
	s_and_saveexec_b32 s16, s10
	s_cbranch_execz .LBB116_18
; %bb.17:                               ;   in Loop: Header=BB116_4 Depth=2
	ds_load_b32 v45, v32
.LBB116_18:                             ;   in Loop: Header=BB116_4 Depth=2
	s_or_b32 exec_lo, exec_lo, s16
	s_waitcnt lgkmcnt(0)
	v_add_nc_u32_e32 v3, v45, v3
	s_cmp_gt_u32 s24, 55
	ds_bpermute_b32 v3, v29, v3
	s_waitcnt lgkmcnt(0)
	v_cndmask_b32_e64 v3, v3, v45, s11
	s_delay_alu instid0(VALU_DEP_1) | instskip(NEXT) | instid1(VALU_DEP_1)
	v_cndmask_b32_e64 v3, v3, 0, s12
	v_add_nc_u32_e32 v4, v3, v4
	s_delay_alu instid0(VALU_DEP_1) | instskip(NEXT) | instid1(VALU_DEP_1)
	v_add_nc_u32_e32 v5, v4, v5
	v_add_nc_u32_e32 v6, v5, v6
	s_delay_alu instid0(VALU_DEP_1) | instskip(NEXT) | instid1(VALU_DEP_1)
	v_add_nc_u32_e32 v45, v6, v7
	;; [unrolled: 3-line block ×3, first 2 shown]
	v_add_nc_u32_e32 v1, v0, v2
	ds_store_2addr_b64 v24, v[3:4], v[5:6] offset0:3 offset1:4
	ds_store_2addr_b64 v27, v[45:46], v[0:1] offset0:2 offset1:3
	s_waitcnt lgkmcnt(0)
	s_barrier
	buffer_gl0_inv
	ds_load_b32 v0, v35
	ds_load_b32 v1, v38
	;; [unrolled: 1-line block ×4, first 2 shown]
	s_waitcnt lgkmcnt(3)
	v_add_nc_u32_e32 v38, v0, v8
	s_waitcnt lgkmcnt(2)
	v_add3_u32 v36, v37, v36, v1
	s_waitcnt lgkmcnt(1)
	v_add3_u32 v35, v40, v39, v2
	;; [unrolled: 2-line block ×3, first 2 shown]
	s_cbranch_scc0 .LBB116_3
; %bb.19:                               ;   in Loop: Header=BB116_2 Depth=1
                                        ; implicit-def: $vgpr6_vgpr7
                                        ; implicit-def: $vgpr2_vgpr3
                                        ; implicit-def: $sgpr24_sgpr25
	s_branch .LBB116_1
.LBB116_20:
	v_lshlrev_b32_e32 v0, 3, v9
	s_add_u32 s0, s18, s20
	s_addc_u32 s1, s19, s21
	s_delay_alu instid0(VALU_DEP_1) | instskip(NEXT) | instid1(VALU_DEP_1)
	v_add_co_u32 v9, s2, s0, v0
	v_add_co_ci_u32_e64 v10, null, s1, 0, s2
	s_delay_alu instid0(VALU_DEP_2) | instskip(NEXT) | instid1(VALU_DEP_2)
	v_add_co_u32 v9, vcc_lo, 0x1000, v9
	v_add_co_ci_u32_e32 v10, vcc_lo, 0, v10, vcc_lo
	s_clause 0x3
	global_store_b64 v0, v[5:6], s[0:1]
	global_store_b64 v0, v[7:8], s[0:1] offset:1536
	global_store_b64 v0, v[1:2], s[0:1] offset:3072
	global_store_b64 v[9:10], v[3:4], off offset:512
	s_nop 0
	s_sendmsg sendmsg(MSG_DEALLOC_VGPRS)
	s_endpgm
	.section	.rodata,"a",@progbits
	.p2align	6, 0x0
	.amdhsa_kernel _Z16sort_keys_kernelI22helper_blocked_blockedxLj192ELj4ELj10EEvPKT0_PS1_
		.amdhsa_group_segment_fixed_size 6176
		.amdhsa_private_segment_fixed_size 0
		.amdhsa_kernarg_size 272
		.amdhsa_user_sgpr_count 15
		.amdhsa_user_sgpr_dispatch_ptr 0
		.amdhsa_user_sgpr_queue_ptr 0
		.amdhsa_user_sgpr_kernarg_segment_ptr 1
		.amdhsa_user_sgpr_dispatch_id 0
		.amdhsa_user_sgpr_private_segment_size 0
		.amdhsa_wavefront_size32 1
		.amdhsa_uses_dynamic_stack 0
		.amdhsa_enable_private_segment 0
		.amdhsa_system_sgpr_workgroup_id_x 1
		.amdhsa_system_sgpr_workgroup_id_y 0
		.amdhsa_system_sgpr_workgroup_id_z 0
		.amdhsa_system_sgpr_workgroup_info 0
		.amdhsa_system_vgpr_workitem_id 2
		.amdhsa_next_free_vgpr 49
		.amdhsa_next_free_sgpr 26
		.amdhsa_reserve_vcc 1
		.amdhsa_float_round_mode_32 0
		.amdhsa_float_round_mode_16_64 0
		.amdhsa_float_denorm_mode_32 3
		.amdhsa_float_denorm_mode_16_64 3
		.amdhsa_dx10_clamp 1
		.amdhsa_ieee_mode 1
		.amdhsa_fp16_overflow 0
		.amdhsa_workgroup_processor_mode 1
		.amdhsa_memory_ordered 1
		.amdhsa_forward_progress 0
		.amdhsa_shared_vgpr_count 0
		.amdhsa_exception_fp_ieee_invalid_op 0
		.amdhsa_exception_fp_denorm_src 0
		.amdhsa_exception_fp_ieee_div_zero 0
		.amdhsa_exception_fp_ieee_overflow 0
		.amdhsa_exception_fp_ieee_underflow 0
		.amdhsa_exception_fp_ieee_inexact 0
		.amdhsa_exception_int_div_zero 0
	.end_amdhsa_kernel
	.section	.text._Z16sort_keys_kernelI22helper_blocked_blockedxLj192ELj4ELj10EEvPKT0_PS1_,"axG",@progbits,_Z16sort_keys_kernelI22helper_blocked_blockedxLj192ELj4ELj10EEvPKT0_PS1_,comdat
.Lfunc_end116:
	.size	_Z16sort_keys_kernelI22helper_blocked_blockedxLj192ELj4ELj10EEvPKT0_PS1_, .Lfunc_end116-_Z16sort_keys_kernelI22helper_blocked_blockedxLj192ELj4ELj10EEvPKT0_PS1_
                                        ; -- End function
	.section	.AMDGPU.csdata,"",@progbits
; Kernel info:
; codeLenInByte = 3392
; NumSgprs: 28
; NumVgprs: 49
; ScratchSize: 0
; MemoryBound: 0
; FloatMode: 240
; IeeeMode: 1
; LDSByteSize: 6176 bytes/workgroup (compile time only)
; SGPRBlocks: 3
; VGPRBlocks: 6
; NumSGPRsForWavesPerEU: 28
; NumVGPRsForWavesPerEU: 49
; Occupancy: 15
; WaveLimiterHint : 1
; COMPUTE_PGM_RSRC2:SCRATCH_EN: 0
; COMPUTE_PGM_RSRC2:USER_SGPR: 15
; COMPUTE_PGM_RSRC2:TRAP_HANDLER: 0
; COMPUTE_PGM_RSRC2:TGID_X_EN: 1
; COMPUTE_PGM_RSRC2:TGID_Y_EN: 0
; COMPUTE_PGM_RSRC2:TGID_Z_EN: 0
; COMPUTE_PGM_RSRC2:TIDIG_COMP_CNT: 2
	.section	.text._Z17sort_pairs_kernelI22helper_blocked_blockedxLj192ELj4ELj10EEvPKT0_PS1_,"axG",@progbits,_Z17sort_pairs_kernelI22helper_blocked_blockedxLj192ELj4ELj10EEvPKT0_PS1_,comdat
	.protected	_Z17sort_pairs_kernelI22helper_blocked_blockedxLj192ELj4ELj10EEvPKT0_PS1_ ; -- Begin function _Z17sort_pairs_kernelI22helper_blocked_blockedxLj192ELj4ELj10EEvPKT0_PS1_
	.globl	_Z17sort_pairs_kernelI22helper_blocked_blockedxLj192ELj4ELj10EEvPKT0_PS1_
	.p2align	8
	.type	_Z17sort_pairs_kernelI22helper_blocked_blockedxLj192ELj4ELj10EEvPKT0_PS1_,@function
_Z17sort_pairs_kernelI22helper_blocked_blockedxLj192ELj4ELj10EEvPKT0_PS1_: ; @_Z17sort_pairs_kernelI22helper_blocked_blockedxLj192ELj4ELj10EEvPKT0_PS1_
; %bb.0:
	s_load_b128 s[16:19], s[0:1], 0x0
	s_mov_b32 s23, 0
	s_mul_i32 s22, s15, 0x300
	s_load_b32 s15, s[0:1], 0x1c
	s_lshl_b64 s[20:21], s[22:23], 3
	s_mov_b32 s22, s23
	s_delay_alu instid0(SALU_CYCLE_1) | instskip(SKIP_3) | instid1(VALU_DEP_4)
	v_dual_mov_b32 v19, s22 :: v_dual_and_b32 v18, 0x3ff, v0
	v_mov_b32_e32 v20, s23
	v_mbcnt_lo_u32_b32 v5, -1, 0
	v_bfe_u32 v11, v0, 10, 10
	v_lshlrev_b32_e32 v1, 3, v18
	v_bfe_u32 v0, v0, 20, 10
	v_cmp_gt_u32_e64 s9, 6, v18
	v_add_nc_u32_e32 v14, -1, v5
	v_and_b32_e32 v12, 15, v5
	v_and_b32_e32 v15, 7, v5
	v_and_b32_e32 v13, 16, v5
	v_cmp_lt_u32_e64 s10, 31, v18
	v_cmp_eq_u32_e64 s11, 0, v18
	s_waitcnt lgkmcnt(0)
	s_add_u32 s0, s16, s20
	s_addc_u32 s1, s17, s21
	v_add_co_u32 v2, s2, s0, v1
	s_delay_alu instid0(VALU_DEP_1)
	v_add_co_ci_u32_e64 v4, null, s1, 0, s2
	s_clause 0x1
	global_load_b64 v[6:7], v1, s[0:1]
	global_load_b64 v[8:9], v1, s[0:1] offset:1536
	v_add_co_u32 v3, vcc_lo, 0x1000, v2
	v_add_co_ci_u32_e32 v4, vcc_lo, 0, v4, vcc_lo
	s_mov_b32 s16, s23
	s_clause 0x1
	global_load_b64 v[1:2], v1, s[0:1] offset:3072
	global_load_b64 v[3:4], v[3:4], off offset:512
	s_mov_b32 s17, s23
	v_and_b32_e32 v10, 3, v5
	v_cmp_gt_i32_e32 vcc_lo, 0, v14
	s_lshr_b32 s22, s15, 16
	v_dual_mov_b32 v22, s17 :: v_dual_and_b32 v37, 28, v5
	v_lshlrev_b32_e32 v41, 5, v18
	v_mad_u32_u24 v0, v0, s22, v11
	v_mov_b32_e32 v21, s16
	v_cmp_eq_u32_e64 s1, 3, v10
	v_cmp_eq_u32_e64 s2, 2, v10
	;; [unrolled: 1-line block ×3, first 2 shown]
	v_and_b32_e32 v10, 0xe0, v18
	v_cmp_eq_u32_e64 s4, 0, v12
	v_cmp_lt_u32_e64 s5, 1, v12
	v_cmp_lt_u32_e64 s6, 3, v12
	;; [unrolled: 1-line block ×3, first 2 shown]
	v_cndmask_b32_e32 v12, v14, v5, vcc_lo
	v_lshlrev_b32_e32 v14, 2, v18
	s_and_b32 s15, s15, 0xffff
	v_cmp_eq_u32_e64 s12, 0, v15
	v_cmp_lt_u32_e64 s13, 1, v15
	v_cmp_lt_u32_e64 s14, 3, v15
	v_mul_u32_u24_e32 v15, 28, v18
	v_mad_i32_i24 v44, 0xffffffe4, v18, v41
	v_min_u32_e32 v16, 0xa0, v10
	v_mad_u64_u32 v[10:11], null, v0, s15, v[18:19]
	v_cmp_eq_u32_e64 s0, 0, v5
	v_and_or_b32 v5, 0x380, v14, v5
	v_cmp_eq_u32_e64 s8, 0, v13
	v_lshrrev_b32_e32 v13, 3, v18
	v_add_nc_u32_e32 v48, v44, v15
	v_or_b32_e32 v0, 31, v16
	v_lshrrev_b32_e32 v49, 5, v10
	v_lshlrev_b32_e32 v45, 2, v12
	v_and_b32_e32 v43, 28, v13
	v_or_b32_e32 v38, 32, v37
	v_or_b32_e32 v39, 64, v37
	;; [unrolled: 1-line block ×4, first 2 shown]
	v_add_nc_u32_e32 v46, -4, v43
	v_lshlrev_b32_e32 v47, 3, v5
	v_cmp_eq_u32_e64 s15, v0, v18
	s_waitcnt vmcnt(3)
	v_add_co_u32 v14, vcc_lo, v6, 1
	v_add_co_ci_u32_e32 v15, vcc_lo, 0, v7, vcc_lo
	s_waitcnt vmcnt(2)
	v_add_co_u32 v16, vcc_lo, v8, 1
	v_add_co_ci_u32_e32 v17, vcc_lo, 0, v9, vcc_lo
	;; [unrolled: 3-line block ×4, first 2 shown]
	s_branch .LBB117_2
.LBB117_1:                              ;   in Loop: Header=BB117_2 Depth=1
	v_lshlrev_b32_e32 v0, 3, v54
	v_lshlrev_b32_e32 v5, 3, v53
	;; [unrolled: 1-line block ×4, first 2 shown]
	s_barrier
	buffer_gl0_inv
	ds_store_b64 v0, v[16:17]
	ds_store_b64 v5, v[35:36]
	;; [unrolled: 1-line block ×4, first 2 shown]
	s_waitcnt lgkmcnt(0)
	s_barrier
	buffer_gl0_inv
	ds_load_2addr_b64 v[6:9], v48 offset1:1
	ds_load_2addr_b64 v[1:4], v48 offset0:2 offset1:3
	s_waitcnt lgkmcnt(0)
	s_barrier
	buffer_gl0_inv
	ds_store_b64 v0, v[25:26]
	ds_store_b64 v5, v[23:24]
	;; [unrolled: 1-line block ×4, first 2 shown]
	s_waitcnt lgkmcnt(0)
	s_barrier
	buffer_gl0_inv
	ds_load_2addr_b64 v[14:17], v48 offset1:1
	ds_load_2addr_b64 v[10:13], v48 offset0:2 offset1:3
	s_add_i32 s23, s23, 1
	s_delay_alu instid0(SALU_CYCLE_1)
	s_cmp_lg_u32 s23, 10
	v_xor_b32_e32 v7, 0x80000000, v7
	v_xor_b32_e32 v9, 0x80000000, v9
	;; [unrolled: 1-line block ×4, first 2 shown]
	s_cbranch_scc0 .LBB117_20
.LBB117_2:                              ; =>This Loop Header: Depth=1
                                        ;     Child Loop BB117_4 Depth 2
	v_xor_b32_e32 v0, 0x80000000, v7
	v_xor_b32_e32 v7, 0x80000000, v9
	ds_bpermute_b32 v5, v37, v6
	ds_bpermute_b32 v9, v37, v8
	v_xor_b32_e32 v2, 0x80000000, v2
	ds_bpermute_b32 v23, v37, v0
	ds_bpermute_b32 v24, v37, v7
	;; [unrolled: 1-line block ×6, first 2 shown]
	v_xor_b32_e32 v29, 0x80000000, v4
	ds_bpermute_b32 v4, v38, v6
	ds_bpermute_b32 v30, v38, v8
	;; [unrolled: 1-line block ×11, first 2 shown]
	s_waitcnt lgkmcnt(17)
	v_cndmask_b32_e64 v5, v5, v9, s3
	ds_bpermute_b32 v9, v38, v29
	ds_bpermute_b32 v52, v39, v3
	s_waitcnt lgkmcnt(17)
	v_cndmask_b32_e64 v23, v23, v24, s3
	ds_bpermute_b32 v24, v39, v0
	s_waitcnt lgkmcnt(17)
	v_cndmask_b32_e64 v5, v5, v25, s2
	s_waitcnt lgkmcnt(15)
	v_cndmask_b32_e64 v25, v27, v28, s3
	ds_bpermute_b32 v28, v40, v6
	s_waitcnt lgkmcnt(15)
	v_cndmask_b32_e64 v23, v23, v26, s2
	ds_bpermute_b32 v26, v39, v2
	s_waitcnt lgkmcnt(14)
	v_cndmask_b32_e64 v27, v4, v30, s3
	s_waitcnt lgkmcnt(13)
	v_cndmask_b32_e64 v4, v5, v31, s1
	;; [unrolled: 2-line block ×3, first 2 shown]
	ds_bpermute_b32 v30, v40, v0
	ds_bpermute_b32 v31, v40, v7
	;; [unrolled: 1-line block ×3, first 2 shown]
	s_waitcnt lgkmcnt(14)
	v_cndmask_b32_e64 v5, v23, v33, s1
	ds_bpermute_b32 v23, v39, v29
	ds_bpermute_b32 v33, v37, v14
	;; [unrolled: 1-line block ×8, first 2 shown]
	s_waitcnt lgkmcnt(19)
	v_cndmask_b32_e64 v0, v36, v50, s3
	ds_bpermute_b32 v36, v37, v10
	ds_bpermute_b32 v50, v37, v11
	v_cndmask_b32_e64 v1, v27, v34, s2
	s_waitcnt lgkmcnt(15)
	v_cndmask_b32_e64 v7, v24, v53, s3
	ds_bpermute_b32 v24, v38, v14
	ds_bpermute_b32 v27, v38, v16
	s_waitcnt lgkmcnt(16)
	v_cndmask_b32_e64 v8, v28, v8, s3
	v_cndmask_b32_e64 v6, v1, v35, s1
	s_waitcnt lgkmcnt(15)
	v_cndmask_b32_e64 v1, v7, v26, s2
	v_cndmask_b32_e64 v7, v25, v9, s1
	s_waitcnt lgkmcnt(13)
	v_cndmask_b32_e64 v9, v30, v31, s3
	s_waitcnt lgkmcnt(12)
	v_cndmask_b32_e64 v8, v8, v32, s2
	ds_bpermute_b32 v26, v40, v29
	s_waitcnt lgkmcnt(12)
	v_cndmask_b32_e64 v1, v1, v23, s1
	s_waitcnt lgkmcnt(9)
	v_cndmask_b32_e64 v23, v33, v55, s3
	;; [unrolled: 2-line block ×5, first 2 shown]
	ds_bpermute_b32 v28, v37, v13
	ds_bpermute_b32 v3, v38, v15
	;; [unrolled: 1-line block ×11, first 2 shown]
	s_waitcnt lgkmcnt(16)
	v_cndmask_b32_e64 v0, v0, v51, s2
	s_waitcnt lgkmcnt(15)
	v_cndmask_b32_e64 v8, v23, v36, s2
	;; [unrolled: 2-line block ×4, first 2 shown]
	ds_bpermute_b32 v27, v38, v10
	ds_bpermute_b32 v30, v38, v11
	;; [unrolled: 1-line block ×6, first 2 shown]
	v_cndmask_b32_e64 v0, v0, v52, s1
	ds_bpermute_b32 v25, v37, v12
	ds_bpermute_b32 v35, v38, v13
	;; [unrolled: 1-line block ×7, first 2 shown]
	s_waitcnt lgkmcnt(21)
	v_cndmask_b32_e64 v11, v3, v29, s3
	v_cndmask_b32_e64 v3, v9, v26, s1
	;; [unrolled: 1-line block ×3, first 2 shown]
	s_waitcnt lgkmcnt(17)
	v_cndmask_b32_e64 v13, v32, v34, s3
	v_cndmask_b32_e64 v23, v31, v33, s3
	s_waitcnt lgkmcnt(14)
	v_cndmask_b32_e64 v15, v15, v17, s3
	s_waitcnt lgkmcnt(13)
	;; [unrolled: 2-line block ×15, first 2 shown]
	v_cndmask_b32_e64 v14, v14, v56, s1
	s_mov_b64 s[24:25], 0
	s_barrier
	s_branch .LBB117_4
.LBB117_3:                              ;   in Loop: Header=BB117_4 Depth=2
	v_lshlrev_b32_e32 v8, 3, v54
	v_lshlrev_b32_e32 v9, 3, v53
	;; [unrolled: 1-line block ×4, first 2 shown]
	s_barrier
	buffer_gl0_inv
	ds_store_b64 v8, v[16:17]
	ds_store_b64 v9, v[35:36]
	;; [unrolled: 1-line block ×4, first 2 shown]
	s_waitcnt lgkmcnt(0)
	s_barrier
	buffer_gl0_inv
	ds_load_2addr_b64 v[4:7], v47 offset1:32
	ds_load_2addr_b64 v[0:3], v47 offset0:64 offset1:96
	s_waitcnt lgkmcnt(0)
	s_barrier
	buffer_gl0_inv
	ds_store_b64 v8, v[25:26]
	ds_store_b64 v9, v[23:24]
	;; [unrolled: 1-line block ×4, first 2 shown]
	s_waitcnt lgkmcnt(0)
	s_barrier
	buffer_gl0_inv
	ds_load_2addr_b64 v[8:11], v47 offset1:32
	ds_load_2addr_b64 v[12:15], v47 offset0:64 offset1:96
	s_add_u32 s24, s24, 8
	s_addc_u32 s25, s25, 0
	s_waitcnt lgkmcnt(0)
	s_barrier
	s_cbranch_execz .LBB117_1
.LBB117_4:                              ;   Parent Loop BB117_2 Depth=1
                                        ; =>  This Inner Loop Header: Depth=2
	v_dual_mov_b32 v17, v5 :: v_dual_mov_b32 v16, v4
	buffer_gl0_inv
	ds_store_2addr_b64 v41, v[19:20], v[21:22] offset0:3 offset1:4
	ds_store_2addr_b64 v42, v[19:20], v[21:22] offset0:2 offset1:3
	s_waitcnt lgkmcnt(0)
	s_barrier
	v_lshrrev_b64 v[4:5], s24, v[16:17]
	buffer_gl0_inv
	; wave barrier
	v_mov_b32_e32 v32, v3
	v_dual_mov_b32 v34, v1 :: v_dual_and_b32 v5, 1, v4
	v_lshlrev_b32_e32 v23, 30, v4
	v_dual_mov_b32 v31, v2 :: v_dual_lshlrev_b32 v24, 29, v4
	v_dual_mov_b32 v36, v7 :: v_dual_lshlrev_b32 v25, 28, v4
	s_delay_alu instid0(VALU_DEP_4) | instskip(NEXT) | instid1(VALU_DEP_1)
	v_add_co_u32 v5, s16, v5, -1
	v_cndmask_b32_e64 v26, 0, 1, s16
	v_not_b32_e32 v30, v23
	v_cmp_gt_i32_e64 s16, 0, v23
	v_not_b32_e32 v23, v24
	v_lshlrev_b32_e32 v27, 27, v4
	v_cmp_ne_u32_e32 vcc_lo, 0, v26
	v_ashrrev_i32_e32 v30, 31, v30
	v_dual_mov_b32 v33, v0 :: v_dual_lshlrev_b32 v28, 26, v4
	v_ashrrev_i32_e32 v23, 31, v23
	v_xor_b32_e32 v5, vcc_lo, v5
	v_cmp_gt_i32_e32 vcc_lo, 0, v24
	v_not_b32_e32 v24, v25
	v_xor_b32_e32 v30, s16, v30
	v_cmp_gt_i32_e64 s16, 0, v25
	v_and_b32_e32 v5, exec_lo, v5
	v_not_b32_e32 v25, v27
	v_ashrrev_i32_e32 v24, 31, v24
	v_xor_b32_e32 v23, vcc_lo, v23
	v_lshlrev_b32_e32 v29, 25, v4
	v_and_b32_e32 v5, v5, v30
	v_cmp_gt_i32_e32 vcc_lo, 0, v27
	v_not_b32_e32 v27, v28
	v_ashrrev_i32_e32 v25, 31, v25
	v_xor_b32_e32 v24, s16, v24
	v_and_b32_e32 v5, v5, v23
	v_dual_mov_b32 v35, v6 :: v_dual_lshlrev_b32 v26, 24, v4
	v_cmp_gt_i32_e64 s16, 0, v28
	v_not_b32_e32 v23, v29
	v_ashrrev_i32_e32 v27, 31, v27
	v_xor_b32_e32 v25, vcc_lo, v25
	v_and_b32_e32 v5, v5, v24
	v_cmp_gt_i32_e32 vcc_lo, 0, v29
	v_not_b32_e32 v24, v26
	v_ashrrev_i32_e32 v23, 31, v23
	v_xor_b32_e32 v27, s16, v27
	v_and_b32_e32 v5, v5, v25
	v_cmp_gt_i32_e64 s16, 0, v26
	v_ashrrev_i32_e32 v24, 31, v24
	v_xor_b32_e32 v23, vcc_lo, v23
	v_mov_b32_e32 v26, v9
	v_and_b32_e32 v5, v5, v27
	v_and_b32_e32 v1, 0xff, v4
	v_xor_b32_e32 v2, s16, v24
	v_mov_b32_e32 v30, v13
	s_delay_alu instid0(VALU_DEP_4) | instskip(SKIP_3) | instid1(VALU_DEP_4)
	v_dual_mov_b32 v28, v15 :: v_dual_and_b32 v3, v5, v23
	v_mov_b32_e32 v25, v8
	v_mad_u32_u24 v1, v1, 6, v49
	v_dual_mov_b32 v24, v11 :: v_dual_mov_b32 v23, v10
	v_dual_mov_b32 v29, v12 :: v_dual_and_b32 v0, v3, v2
	v_mov_b32_e32 v27, v14
	s_delay_alu instid0(VALU_DEP_4) | instskip(NEXT) | instid1(VALU_DEP_3)
	v_lshl_add_u32 v9, v1, 2, 24
	v_mbcnt_lo_u32_b32 v8, v0, 0
	v_cmp_ne_u32_e64 s16, 0, v0
	s_delay_alu instid0(VALU_DEP_2) | instskip(NEXT) | instid1(VALU_DEP_2)
	v_cmp_eq_u32_e32 vcc_lo, 0, v8
	s_and_b32 s17, s16, vcc_lo
	s_delay_alu instid0(SALU_CYCLE_1)
	s_and_saveexec_b32 s16, s17
	s_cbranch_execz .LBB117_6
; %bb.5:                                ;   in Loop: Header=BB117_4 Depth=2
	v_bcnt_u32_b32 v0, v0, 0
	ds_store_b32 v9, v0
.LBB117_6:                              ;   in Loop: Header=BB117_4 Depth=2
	s_or_b32 exec_lo, exec_lo, s16
	v_lshrrev_b64 v[0:1], s24, v[35:36]
	; wave barrier
	s_delay_alu instid0(VALU_DEP_1)
	v_and_b32_e32 v2, 1, v0
	v_lshlrev_b32_e32 v3, 30, v0
	v_lshlrev_b32_e32 v4, 29, v0
	;; [unrolled: 1-line block ×4, first 2 shown]
	v_add_co_u32 v2, s16, v2, -1
	s_delay_alu instid0(VALU_DEP_1)
	v_cndmask_b32_e64 v6, 0, 1, s16
	v_not_b32_e32 v12, v3
	v_cmp_gt_i32_e64 s16, 0, v3
	v_not_b32_e32 v3, v4
	v_lshlrev_b32_e32 v10, 26, v0
	v_cmp_ne_u32_e32 vcc_lo, 0, v6
	v_ashrrev_i32_e32 v6, 31, v12
	v_lshlrev_b32_e32 v11, 25, v0
	v_ashrrev_i32_e32 v3, 31, v3
	v_and_b32_e32 v1, 0xff, v0
	v_xor_b32_e32 v2, vcc_lo, v2
	v_cmp_gt_i32_e32 vcc_lo, 0, v4
	v_not_b32_e32 v4, v5
	v_xor_b32_e32 v6, s16, v6
	v_cmp_gt_i32_e64 s16, 0, v5
	v_and_b32_e32 v2, exec_lo, v2
	v_not_b32_e32 v5, v7
	v_ashrrev_i32_e32 v4, 31, v4
	v_xor_b32_e32 v3, vcc_lo, v3
	v_cmp_gt_i32_e32 vcc_lo, 0, v7
	v_and_b32_e32 v2, v2, v6
	v_not_b32_e32 v6, v10
	v_ashrrev_i32_e32 v5, 31, v5
	v_xor_b32_e32 v4, s16, v4
	v_lshlrev_b32_e32 v0, 24, v0
	v_and_b32_e32 v2, v2, v3
	v_cmp_gt_i32_e64 s16, 0, v10
	v_not_b32_e32 v3, v11
	v_ashrrev_i32_e32 v6, 31, v6
	v_xor_b32_e32 v5, vcc_lo, v5
	v_and_b32_e32 v2, v2, v4
	v_cmp_gt_i32_e32 vcc_lo, 0, v11
	v_not_b32_e32 v4, v0
	v_ashrrev_i32_e32 v3, 31, v3
	v_xor_b32_e32 v6, s16, v6
	v_and_b32_e32 v2, v2, v5
	v_mul_u32_u24_e32 v1, 6, v1
	v_cmp_gt_i32_e64 s16, 0, v0
	v_ashrrev_i32_e32 v0, 31, v4
	v_xor_b32_e32 v3, vcc_lo, v3
	v_and_b32_e32 v2, v2, v6
	v_add_lshl_u32 v1, v1, v49, 2
	s_delay_alu instid0(VALU_DEP_4) | instskip(NEXT) | instid1(VALU_DEP_3)
	v_xor_b32_e32 v0, s16, v0
	v_and_b32_e32 v2, v2, v3
	ds_load_b32 v10, v1 offset:24
	v_add_nc_u32_e32 v12, 24, v1
	; wave barrier
	v_and_b32_e32 v0, v2, v0
	s_delay_alu instid0(VALU_DEP_1) | instskip(SKIP_1) | instid1(VALU_DEP_2)
	v_mbcnt_lo_u32_b32 v11, v0, 0
	v_cmp_ne_u32_e64 s16, 0, v0
	v_cmp_eq_u32_e32 vcc_lo, 0, v11
	s_delay_alu instid0(VALU_DEP_2) | instskip(NEXT) | instid1(SALU_CYCLE_1)
	s_and_b32 s17, s16, vcc_lo
	s_and_saveexec_b32 s16, s17
	s_cbranch_execz .LBB117_8
; %bb.7:                                ;   in Loop: Header=BB117_4 Depth=2
	s_waitcnt lgkmcnt(0)
	v_bcnt_u32_b32 v0, v0, v10
	ds_store_b32 v12, v0
.LBB117_8:                              ;   in Loop: Header=BB117_4 Depth=2
	s_or_b32 exec_lo, exec_lo, s16
	v_lshrrev_b64 v[0:1], s24, v[33:34]
	; wave barrier
	s_delay_alu instid0(VALU_DEP_1)
	v_and_b32_e32 v2, 1, v0
	v_lshlrev_b32_e32 v3, 30, v0
	v_lshlrev_b32_e32 v4, 29, v0
	;; [unrolled: 1-line block ×4, first 2 shown]
	v_add_co_u32 v2, s16, v2, -1
	s_delay_alu instid0(VALU_DEP_1)
	v_cndmask_b32_e64 v6, 0, 1, s16
	v_not_b32_e32 v15, v3
	v_cmp_gt_i32_e64 s16, 0, v3
	v_not_b32_e32 v3, v4
	v_lshlrev_b32_e32 v13, 26, v0
	v_cmp_ne_u32_e32 vcc_lo, 0, v6
	v_ashrrev_i32_e32 v6, 31, v15
	v_lshlrev_b32_e32 v14, 25, v0
	v_ashrrev_i32_e32 v3, 31, v3
	v_and_b32_e32 v1, 0xff, v0
	v_xor_b32_e32 v2, vcc_lo, v2
	v_cmp_gt_i32_e32 vcc_lo, 0, v4
	v_not_b32_e32 v4, v5
	v_xor_b32_e32 v6, s16, v6
	v_cmp_gt_i32_e64 s16, 0, v5
	v_and_b32_e32 v2, exec_lo, v2
	v_not_b32_e32 v5, v7
	v_ashrrev_i32_e32 v4, 31, v4
	v_xor_b32_e32 v3, vcc_lo, v3
	v_cmp_gt_i32_e32 vcc_lo, 0, v7
	v_and_b32_e32 v2, v2, v6
	v_not_b32_e32 v6, v13
	v_ashrrev_i32_e32 v5, 31, v5
	v_xor_b32_e32 v4, s16, v4
	v_lshlrev_b32_e32 v0, 24, v0
	v_and_b32_e32 v2, v2, v3
	v_cmp_gt_i32_e64 s16, 0, v13
	v_not_b32_e32 v3, v14
	v_ashrrev_i32_e32 v6, 31, v6
	v_xor_b32_e32 v5, vcc_lo, v5
	v_and_b32_e32 v2, v2, v4
	v_cmp_gt_i32_e32 vcc_lo, 0, v14
	v_not_b32_e32 v4, v0
	v_ashrrev_i32_e32 v3, 31, v3
	v_xor_b32_e32 v6, s16, v6
	v_and_b32_e32 v2, v2, v5
	v_mul_u32_u24_e32 v1, 6, v1
	v_cmp_gt_i32_e64 s16, 0, v0
	v_ashrrev_i32_e32 v0, 31, v4
	v_xor_b32_e32 v3, vcc_lo, v3
	v_and_b32_e32 v2, v2, v6
	v_add_lshl_u32 v1, v1, v49, 2
	s_delay_alu instid0(VALU_DEP_4) | instskip(NEXT) | instid1(VALU_DEP_3)
	v_xor_b32_e32 v0, s16, v0
	v_and_b32_e32 v2, v2, v3
	ds_load_b32 v13, v1 offset:24
	v_add_nc_u32_e32 v15, 24, v1
	; wave barrier
	v_and_b32_e32 v0, v2, v0
	s_delay_alu instid0(VALU_DEP_1) | instskip(SKIP_1) | instid1(VALU_DEP_2)
	v_mbcnt_lo_u32_b32 v14, v0, 0
	v_cmp_ne_u32_e64 s16, 0, v0
	v_cmp_eq_u32_e32 vcc_lo, 0, v14
	s_delay_alu instid0(VALU_DEP_2) | instskip(NEXT) | instid1(SALU_CYCLE_1)
	s_and_b32 s17, s16, vcc_lo
	s_and_saveexec_b32 s16, s17
	s_cbranch_execz .LBB117_10
; %bb.9:                                ;   in Loop: Header=BB117_4 Depth=2
	s_waitcnt lgkmcnt(0)
	v_bcnt_u32_b32 v0, v0, v13
	ds_store_b32 v15, v0
.LBB117_10:                             ;   in Loop: Header=BB117_4 Depth=2
	s_or_b32 exec_lo, exec_lo, s16
	v_lshrrev_b64 v[0:1], s24, v[31:32]
	; wave barrier
	s_delay_alu instid0(VALU_DEP_1)
	v_and_b32_e32 v2, 1, v0
	v_lshlrev_b32_e32 v3, 30, v0
	v_lshlrev_b32_e32 v4, 29, v0
	;; [unrolled: 1-line block ×4, first 2 shown]
	v_add_co_u32 v2, s16, v2, -1
	s_delay_alu instid0(VALU_DEP_1)
	v_cndmask_b32_e64 v6, 0, 1, s16
	v_not_b32_e32 v52, v3
	v_cmp_gt_i32_e64 s16, 0, v3
	v_not_b32_e32 v3, v4
	v_lshlrev_b32_e32 v50, 26, v0
	v_cmp_ne_u32_e32 vcc_lo, 0, v6
	v_ashrrev_i32_e32 v6, 31, v52
	v_lshlrev_b32_e32 v51, 25, v0
	v_ashrrev_i32_e32 v3, 31, v3
	v_and_b32_e32 v1, 0xff, v0
	v_xor_b32_e32 v2, vcc_lo, v2
	v_cmp_gt_i32_e32 vcc_lo, 0, v4
	v_not_b32_e32 v4, v5
	v_xor_b32_e32 v6, s16, v6
	v_cmp_gt_i32_e64 s16, 0, v5
	v_and_b32_e32 v2, exec_lo, v2
	v_not_b32_e32 v5, v7
	v_ashrrev_i32_e32 v4, 31, v4
	v_xor_b32_e32 v3, vcc_lo, v3
	v_cmp_gt_i32_e32 vcc_lo, 0, v7
	v_and_b32_e32 v2, v2, v6
	v_not_b32_e32 v6, v50
	v_ashrrev_i32_e32 v5, 31, v5
	v_xor_b32_e32 v4, s16, v4
	v_lshlrev_b32_e32 v0, 24, v0
	v_and_b32_e32 v2, v2, v3
	v_cmp_gt_i32_e64 s16, 0, v50
	v_not_b32_e32 v3, v51
	v_ashrrev_i32_e32 v6, 31, v6
	v_xor_b32_e32 v5, vcc_lo, v5
	v_and_b32_e32 v2, v2, v4
	v_cmp_gt_i32_e32 vcc_lo, 0, v51
	v_not_b32_e32 v4, v0
	v_ashrrev_i32_e32 v3, 31, v3
	v_xor_b32_e32 v6, s16, v6
	v_and_b32_e32 v2, v2, v5
	v_mul_u32_u24_e32 v1, 6, v1
	v_cmp_gt_i32_e64 s16, 0, v0
	v_ashrrev_i32_e32 v0, 31, v4
	v_xor_b32_e32 v3, vcc_lo, v3
	v_and_b32_e32 v2, v2, v6
	v_add_lshl_u32 v1, v1, v49, 2
	s_delay_alu instid0(VALU_DEP_4) | instskip(NEXT) | instid1(VALU_DEP_3)
	v_xor_b32_e32 v0, s16, v0
	v_and_b32_e32 v2, v2, v3
	ds_load_b32 v50, v1 offset:24
	v_add_nc_u32_e32 v52, 24, v1
	; wave barrier
	v_and_b32_e32 v0, v2, v0
	s_delay_alu instid0(VALU_DEP_1) | instskip(SKIP_1) | instid1(VALU_DEP_2)
	v_mbcnt_lo_u32_b32 v51, v0, 0
	v_cmp_ne_u32_e64 s16, 0, v0
	v_cmp_eq_u32_e32 vcc_lo, 0, v51
	s_delay_alu instid0(VALU_DEP_2) | instskip(NEXT) | instid1(SALU_CYCLE_1)
	s_and_b32 s17, s16, vcc_lo
	s_and_saveexec_b32 s16, s17
	s_cbranch_execz .LBB117_12
; %bb.11:                               ;   in Loop: Header=BB117_4 Depth=2
	s_waitcnt lgkmcnt(0)
	v_bcnt_u32_b32 v0, v0, v50
	ds_store_b32 v52, v0
.LBB117_12:                             ;   in Loop: Header=BB117_4 Depth=2
	s_or_b32 exec_lo, exec_lo, s16
	; wave barrier
	s_waitcnt lgkmcnt(0)
	s_barrier
	buffer_gl0_inv
	ds_load_2addr_b64 v[4:7], v41 offset0:3 offset1:4
	ds_load_2addr_b64 v[0:3], v42 offset0:2 offset1:3
	s_waitcnt lgkmcnt(1)
	v_add_nc_u32_e32 v53, v5, v4
	s_delay_alu instid0(VALU_DEP_1) | instskip(SKIP_1) | instid1(VALU_DEP_1)
	v_add3_u32 v53, v53, v6, v7
	s_waitcnt lgkmcnt(0)
	v_add3_u32 v53, v53, v0, v1
	s_delay_alu instid0(VALU_DEP_1) | instskip(NEXT) | instid1(VALU_DEP_1)
	v_add3_u32 v3, v53, v2, v3
	v_mov_b32_dpp v53, v3 row_shr:1 row_mask:0xf bank_mask:0xf
	s_delay_alu instid0(VALU_DEP_1) | instskip(NEXT) | instid1(VALU_DEP_1)
	v_cndmask_b32_e64 v53, v53, 0, s4
	v_add_nc_u32_e32 v3, v53, v3
	s_delay_alu instid0(VALU_DEP_1) | instskip(NEXT) | instid1(VALU_DEP_1)
	v_mov_b32_dpp v53, v3 row_shr:2 row_mask:0xf bank_mask:0xf
	v_cndmask_b32_e64 v53, 0, v53, s5
	s_delay_alu instid0(VALU_DEP_1) | instskip(NEXT) | instid1(VALU_DEP_1)
	v_add_nc_u32_e32 v3, v3, v53
	v_mov_b32_dpp v53, v3 row_shr:4 row_mask:0xf bank_mask:0xf
	s_delay_alu instid0(VALU_DEP_1) | instskip(NEXT) | instid1(VALU_DEP_1)
	v_cndmask_b32_e64 v53, 0, v53, s6
	v_add_nc_u32_e32 v3, v3, v53
	s_delay_alu instid0(VALU_DEP_1) | instskip(NEXT) | instid1(VALU_DEP_1)
	v_mov_b32_dpp v53, v3 row_shr:8 row_mask:0xf bank_mask:0xf
	v_cndmask_b32_e64 v53, 0, v53, s7
	s_delay_alu instid0(VALU_DEP_1) | instskip(SKIP_3) | instid1(VALU_DEP_1)
	v_add_nc_u32_e32 v3, v3, v53
	ds_swizzle_b32 v53, v3 offset:swizzle(BROADCAST,32,15)
	s_waitcnt lgkmcnt(0)
	v_cndmask_b32_e64 v53, v53, 0, s8
	v_add_nc_u32_e32 v3, v3, v53
	s_and_saveexec_b32 s16, s15
	s_cbranch_execz .LBB117_14
; %bb.13:                               ;   in Loop: Header=BB117_4 Depth=2
	ds_store_b32 v43, v3
.LBB117_14:                             ;   in Loop: Header=BB117_4 Depth=2
	s_or_b32 exec_lo, exec_lo, s16
	s_waitcnt lgkmcnt(0)
	s_barrier
	buffer_gl0_inv
	s_and_saveexec_b32 s16, s9
	s_cbranch_execz .LBB117_16
; %bb.15:                               ;   in Loop: Header=BB117_4 Depth=2
	ds_load_b32 v53, v44
	s_waitcnt lgkmcnt(0)
	v_mov_b32_dpp v54, v53 row_shr:1 row_mask:0xf bank_mask:0xf
	s_delay_alu instid0(VALU_DEP_1) | instskip(NEXT) | instid1(VALU_DEP_1)
	v_cndmask_b32_e64 v54, v54, 0, s12
	v_add_nc_u32_e32 v53, v54, v53
	s_delay_alu instid0(VALU_DEP_1) | instskip(NEXT) | instid1(VALU_DEP_1)
	v_mov_b32_dpp v54, v53 row_shr:2 row_mask:0xf bank_mask:0xf
	v_cndmask_b32_e64 v54, 0, v54, s13
	s_delay_alu instid0(VALU_DEP_1) | instskip(NEXT) | instid1(VALU_DEP_1)
	v_add_nc_u32_e32 v53, v53, v54
	v_mov_b32_dpp v54, v53 row_shr:4 row_mask:0xf bank_mask:0xf
	s_delay_alu instid0(VALU_DEP_1) | instskip(NEXT) | instid1(VALU_DEP_1)
	v_cndmask_b32_e64 v54, 0, v54, s14
	v_add_nc_u32_e32 v53, v53, v54
	ds_store_b32 v44, v53
.LBB117_16:                             ;   in Loop: Header=BB117_4 Depth=2
	s_or_b32 exec_lo, exec_lo, s16
	v_mov_b32_e32 v53, 0
	s_waitcnt lgkmcnt(0)
	s_barrier
	buffer_gl0_inv
	s_and_saveexec_b32 s16, s10
	s_cbranch_execz .LBB117_18
; %bb.17:                               ;   in Loop: Header=BB117_4 Depth=2
	ds_load_b32 v53, v46
.LBB117_18:                             ;   in Loop: Header=BB117_4 Depth=2
	s_or_b32 exec_lo, exec_lo, s16
	s_waitcnt lgkmcnt(0)
	v_add_nc_u32_e32 v3, v53, v3
	s_cmp_gt_u32 s24, 55
	ds_bpermute_b32 v3, v45, v3
	s_waitcnt lgkmcnt(0)
	v_cndmask_b32_e64 v3, v3, v53, s0
	s_delay_alu instid0(VALU_DEP_1) | instskip(NEXT) | instid1(VALU_DEP_1)
	v_cndmask_b32_e64 v3, v3, 0, s11
	v_add_nc_u32_e32 v4, v3, v4
	s_delay_alu instid0(VALU_DEP_1) | instskip(NEXT) | instid1(VALU_DEP_1)
	v_add_nc_u32_e32 v5, v4, v5
	v_add_nc_u32_e32 v6, v5, v6
	s_delay_alu instid0(VALU_DEP_1) | instskip(NEXT) | instid1(VALU_DEP_1)
	v_add_nc_u32_e32 v53, v6, v7
	;; [unrolled: 3-line block ×3, first 2 shown]
	v_add_nc_u32_e32 v1, v0, v2
	ds_store_2addr_b64 v41, v[3:4], v[5:6] offset0:3 offset1:4
	ds_store_2addr_b64 v42, v[53:54], v[0:1] offset0:2 offset1:3
	s_waitcnt lgkmcnt(0)
	s_barrier
	buffer_gl0_inv
	ds_load_b32 v0, v9
	ds_load_b32 v1, v12
	;; [unrolled: 1-line block ×4, first 2 shown]
	s_waitcnt lgkmcnt(3)
	v_add_nc_u32_e32 v54, v0, v8
	s_waitcnt lgkmcnt(2)
	v_add3_u32 v53, v11, v10, v1
	s_waitcnt lgkmcnt(1)
	v_add3_u32 v52, v14, v13, v2
	;; [unrolled: 2-line block ×3, first 2 shown]
	s_cbranch_scc0 .LBB117_3
; %bb.19:                               ;   in Loop: Header=BB117_2 Depth=1
                                        ; implicit-def: $vgpr2_vgpr3
                                        ; implicit-def: $vgpr6_vgpr7
                                        ; implicit-def: $vgpr8_vgpr9
                                        ; implicit-def: $vgpr12_vgpr13
                                        ; implicit-def: $sgpr24_sgpr25
	s_branch .LBB117_1
.LBB117_20:
	s_waitcnt lgkmcnt(1)
	v_add_co_u32 v5, vcc_lo, v14, v6
	v_add_co_ci_u32_e32 v6, vcc_lo, v15, v7, vcc_lo
	v_lshlrev_b32_e32 v14, 3, v18
	v_add_co_u32 v7, vcc_lo, v16, v8
	v_add_co_ci_u32_e32 v8, vcc_lo, v17, v9, vcc_lo
	s_add_u32 s0, s18, s20
	s_waitcnt lgkmcnt(0)
	v_add_co_u32 v0, vcc_lo, v10, v1
	s_addc_u32 s1, s19, s21
	v_add_co_u32 v9, s2, s0, v14
	v_add_co_ci_u32_e32 v1, vcc_lo, v11, v2, vcc_lo
	v_add_co_ci_u32_e64 v10, null, s1, 0, s2
	v_add_co_u32 v2, vcc_lo, v12, v3
	v_add_co_ci_u32_e32 v3, vcc_lo, v13, v4, vcc_lo
	v_add_co_u32 v9, vcc_lo, 0x1000, v9
	s_delay_alu instid0(VALU_DEP_4)
	v_add_co_ci_u32_e32 v10, vcc_lo, 0, v10, vcc_lo
	s_clause 0x3
	global_store_b64 v14, v[5:6], s[0:1]
	global_store_b64 v14, v[7:8], s[0:1] offset:1536
	global_store_b64 v14, v[0:1], s[0:1] offset:3072
	global_store_b64 v[9:10], v[2:3], off offset:512
	s_nop 0
	s_sendmsg sendmsg(MSG_DEALLOC_VGPRS)
	s_endpgm
	.section	.rodata,"a",@progbits
	.p2align	6, 0x0
	.amdhsa_kernel _Z17sort_pairs_kernelI22helper_blocked_blockedxLj192ELj4ELj10EEvPKT0_PS1_
		.amdhsa_group_segment_fixed_size 6176
		.amdhsa_private_segment_fixed_size 0
		.amdhsa_kernarg_size 272
		.amdhsa_user_sgpr_count 15
		.amdhsa_user_sgpr_dispatch_ptr 0
		.amdhsa_user_sgpr_queue_ptr 0
		.amdhsa_user_sgpr_kernarg_segment_ptr 1
		.amdhsa_user_sgpr_dispatch_id 0
		.amdhsa_user_sgpr_private_segment_size 0
		.amdhsa_wavefront_size32 1
		.amdhsa_uses_dynamic_stack 0
		.amdhsa_enable_private_segment 0
		.amdhsa_system_sgpr_workgroup_id_x 1
		.amdhsa_system_sgpr_workgroup_id_y 0
		.amdhsa_system_sgpr_workgroup_id_z 0
		.amdhsa_system_sgpr_workgroup_info 0
		.amdhsa_system_vgpr_workitem_id 2
		.amdhsa_next_free_vgpr 57
		.amdhsa_next_free_sgpr 26
		.amdhsa_reserve_vcc 1
		.amdhsa_float_round_mode_32 0
		.amdhsa_float_round_mode_16_64 0
		.amdhsa_float_denorm_mode_32 3
		.amdhsa_float_denorm_mode_16_64 3
		.amdhsa_dx10_clamp 1
		.amdhsa_ieee_mode 1
		.amdhsa_fp16_overflow 0
		.amdhsa_workgroup_processor_mode 1
		.amdhsa_memory_ordered 1
		.amdhsa_forward_progress 0
		.amdhsa_shared_vgpr_count 0
		.amdhsa_exception_fp_ieee_invalid_op 0
		.amdhsa_exception_fp_denorm_src 0
		.amdhsa_exception_fp_ieee_div_zero 0
		.amdhsa_exception_fp_ieee_overflow 0
		.amdhsa_exception_fp_ieee_underflow 0
		.amdhsa_exception_fp_ieee_inexact 0
		.amdhsa_exception_int_div_zero 0
	.end_amdhsa_kernel
	.section	.text._Z17sort_pairs_kernelI22helper_blocked_blockedxLj192ELj4ELj10EEvPKT0_PS1_,"axG",@progbits,_Z17sort_pairs_kernelI22helper_blocked_blockedxLj192ELj4ELj10EEvPKT0_PS1_,comdat
.Lfunc_end117:
	.size	_Z17sort_pairs_kernelI22helper_blocked_blockedxLj192ELj4ELj10EEvPKT0_PS1_, .Lfunc_end117-_Z17sort_pairs_kernelI22helper_blocked_blockedxLj192ELj4ELj10EEvPKT0_PS1_
                                        ; -- End function
	.section	.AMDGPU.csdata,"",@progbits
; Kernel info:
; codeLenInByte = 4224
; NumSgprs: 28
; NumVgprs: 57
; ScratchSize: 0
; MemoryBound: 0
; FloatMode: 240
; IeeeMode: 1
; LDSByteSize: 6176 bytes/workgroup (compile time only)
; SGPRBlocks: 3
; VGPRBlocks: 7
; NumSGPRsForWavesPerEU: 28
; NumVGPRsForWavesPerEU: 57
; Occupancy: 15
; WaveLimiterHint : 1
; COMPUTE_PGM_RSRC2:SCRATCH_EN: 0
; COMPUTE_PGM_RSRC2:USER_SGPR: 15
; COMPUTE_PGM_RSRC2:TRAP_HANDLER: 0
; COMPUTE_PGM_RSRC2:TGID_X_EN: 1
; COMPUTE_PGM_RSRC2:TGID_Y_EN: 0
; COMPUTE_PGM_RSRC2:TGID_Z_EN: 0
; COMPUTE_PGM_RSRC2:TIDIG_COMP_CNT: 2
	.section	.text._Z16sort_keys_kernelI22helper_blocked_blockedxLj192ELj8ELj10EEvPKT0_PS1_,"axG",@progbits,_Z16sort_keys_kernelI22helper_blocked_blockedxLj192ELj8ELj10EEvPKT0_PS1_,comdat
	.protected	_Z16sort_keys_kernelI22helper_blocked_blockedxLj192ELj8ELj10EEvPKT0_PS1_ ; -- Begin function _Z16sort_keys_kernelI22helper_blocked_blockedxLj192ELj8ELj10EEvPKT0_PS1_
	.globl	_Z16sort_keys_kernelI22helper_blocked_blockedxLj192ELj8ELj10EEvPKT0_PS1_
	.p2align	8
	.type	_Z16sort_keys_kernelI22helper_blocked_blockedxLj192ELj8ELj10EEvPKT0_PS1_,@function
_Z16sort_keys_kernelI22helper_blocked_blockedxLj192ELj8ELj10EEvPKT0_PS1_: ; @_Z16sort_keys_kernelI22helper_blocked_blockedxLj192ELj8ELj10EEvPKT0_PS1_
; %bb.0:
	s_clause 0x1
	s_load_b128 s[16:19], s[0:1], 0x0
	s_load_b32 s2, s[0:1], 0x1c
	v_mbcnt_lo_u32_b32 v21, -1, 0
	v_and_b32_e32 v17, 0x3ff, v0
	s_mov_b32 s21, 0
	s_mul_i32 s20, s15, 0x600
	s_mov_b32 s24, s21
	s_lshl_b64 s[14:15], s[20:21], 3
	v_lshlrev_b32_e32 v20, 3, v17
	v_and_b32_e32 v22, 0xe0, v17
	v_cmp_eq_u32_e64 s8, 0, v21
	s_mov_b32 s20, s21
	s_delay_alu instid0(VALU_DEP_3) | instskip(NEXT) | instid1(VALU_DEP_3)
	v_and_b32_e32 v23, 0x700, v20
	v_or_b32_e32 v18, v21, v22
	s_delay_alu instid0(VALU_DEP_2) | instskip(NEXT) | instid1(VALU_DEP_2)
	v_or_b32_e32 v25, 0x60, v23
	v_lshlrev_b32_e32 v19, 1, v18
	s_waitcnt lgkmcnt(0)
	s_add_u32 s0, s16, s14
	s_addc_u32 s1, s17, s15
	v_add_co_u32 v3, s3, s0, v20
	s_delay_alu instid0(VALU_DEP_1) | instskip(SKIP_1) | instid1(VALU_DEP_3)
	v_add_co_ci_u32_e64 v4, null, s1, 0, s3
	v_and_b32_e32 v19, 0x1f8, v19
	v_add_co_u32 v1, vcc_lo, 0x1000, v3
	s_delay_alu instid0(VALU_DEP_3)
	v_add_co_ci_u32_e32 v2, vcc_lo, 0, v4, vcc_lo
	v_add_co_u32 v3, vcc_lo, 0x2000, v3
	v_add_co_ci_u32_e32 v4, vcc_lo, 0, v4, vcc_lo
	s_clause 0x7
	global_load_b64 v[13:14], v20, s[0:1]
	global_load_b64 v[15:16], v20, s[0:1] offset:1536
	global_load_b64 v[9:10], v20, s[0:1] offset:3072
	global_load_b64 v[11:12], v[1:2], off offset:512
	global_load_b64 v[5:6], v[1:2], off offset:2048
	;; [unrolled: 1-line block ×5, first 2 shown]
	v_lshl_add_u32 v34, v18, 6, v19
	v_or_b32_e32 v18, 32, v23
	v_or_b32_e32 v19, 64, v23
	;; [unrolled: 1-line block ×4, first 2 shown]
	v_lshrrev_b32_e32 v25, 5, v25
	v_lshrrev_b32_e32 v18, 5, v18
	;; [unrolled: 1-line block ×3, first 2 shown]
	s_lshr_b32 s0, s2, 16
	v_lshrrev_b32_e32 v26, 5, v23
	v_add_lshl_u32 v38, v25, v24, 3
	v_add_lshl_u32 v36, v18, v24, 3
	v_lshrrev_b32_e32 v18, 5, v27
	v_bfe_u32 v25, v0, 10, 10
	v_bfe_u32 v0, v0, 20, 10
	v_add_lshl_u32 v37, v19, v24, 3
	v_or_b32_e32 v19, 0xa0, v23
	v_add_lshl_u32 v39, v18, v24, 3
	v_or_b32_e32 v18, 0xc0, v23
	v_mad_u32_u24 v0, v0, s0, v25
	v_or_b32_e32 v23, 0xe0, v23
	s_and_b32 s0, s2, 0xffff
	v_add_lshl_u32 v35, v26, v24, 3
	v_lshrrev_b32_e32 v26, 5, v19
	v_lshrrev_b32_e32 v25, 5, v18
	v_mad_u64_u32 v[18:19], null, v0, s0, v[17:18]
	v_lshrrev_b32_e32 v0, 5, v23
	v_and_b32_e32 v19, 15, v21
	v_add_lshl_u32 v41, v26, v24, 3
	v_add_lshl_u32 v42, v25, v24, 3
	s_mov_b32 s16, s21
	v_add_lshl_u32 v43, v0, v24, 3
	v_min_u32_e32 v0, 0xa0, v22
	v_add_nc_u32_e32 v22, -1, v21
	v_lshrrev_b32_e32 v45, 5, v18
	v_and_b32_e32 v18, 16, v21
	v_cmp_eq_u32_e64 s0, 0, v19
	v_or_b32_e32 v0, 31, v0
	v_cmp_gt_i32_e32 vcc_lo, 0, v22
	v_cmp_lt_u32_e64 s1, 1, v19
	v_cmp_eq_u32_e64 s4, 0, v18
	v_cmp_lt_u32_e64 s2, 3, v19
	v_cmp_lt_u32_e64 s3, 7, v19
	v_cndmask_b32_e32 v18, v22, v21, vcc_lo
	v_cmp_eq_u32_e64 s5, v0, v17
	v_lshrrev_b32_e32 v0, 3, v17
	v_lshlrev_b32_e32 v40, 5, v17
	v_lshrrev_b32_e32 v19, 2, v17
	v_lshlrev_b32_e32 v46, 2, v18
	v_and_b32_e32 v18, 7, v21
	v_and_b32_e32 v47, 28, v0
	v_mul_i32_i24_e32 v0, 0xffffffe4, v17
	v_or_b32_e32 v44, 24, v40
	v_cmp_gt_u32_e64 s6, 6, v17
	v_cmp_lt_u32_e64 s7, 31, v17
	v_cmp_eq_u32_e64 s9, 0, v17
	v_cmp_eq_u32_e64 s10, 0, v18
	v_cmp_lt_u32_e64 s11, 1, v18
	v_cmp_lt_u32_e64 s12, 3, v18
	v_add_nc_u32_e32 v48, -4, v47
	v_add_lshl_u32 v49, v19, v20, 3
	v_add_nc_u32_e32 v50, v40, v0
	s_mov_b32 s17, s21
	s_branch .LBB118_2
.LBB118_1:                              ;   in Loop: Header=BB118_2 Depth=1
	v_lshrrev_b32_e32 v0, 2, v55
	v_lshrrev_b32_e32 v1, 2, v58
	;; [unrolled: 1-line block ×4, first 2 shown]
	s_delay_alu instid0(VALU_DEP_4) | instskip(NEXT) | instid1(VALU_DEP_4)
	v_and_b32_e32 v0, 0x3ffffff8, v0
	v_and_b32_e32 v1, 0x3ffffff8, v1
	s_delay_alu instid0(VALU_DEP_4)
	v_and_b32_e32 v2, 0x3ffffff8, v2
	s_barrier
	buffer_gl0_inv
	v_lshl_add_u32 v0, v55, 3, v0
	v_lshl_add_u32 v1, v58, 3, v1
	v_lshl_add_u32 v2, v61, 3, v2
	v_lshrrev_b32_e32 v4, 2, v54
	v_and_b32_e32 v3, 0x3ffffff8, v3
	ds_store_b64 v0, v[8:9]
	ds_store_b64 v1, v[24:25]
	;; [unrolled: 1-line block ×3, first 2 shown]
	v_lshrrev_b32_e32 v0, 2, v51
	v_lshrrev_b32_e32 v1, 2, v52
	;; [unrolled: 1-line block ×3, first 2 shown]
	v_and_b32_e32 v4, 0x3ffffff8, v4
	v_lshl_add_u32 v3, v16, 3, v3
	v_and_b32_e32 v0, 0x3ffffff8, v0
	v_and_b32_e32 v1, 0x3ffffff8, v1
	;; [unrolled: 1-line block ×3, first 2 shown]
	v_lshl_add_u32 v4, v54, 3, v4
	s_add_i32 s24, s24, 1
	v_lshl_add_u32 v0, v51, 3, v0
	v_lshl_add_u32 v1, v52, 3, v1
	;; [unrolled: 1-line block ×3, first 2 shown]
	ds_store_b64 v3, v[20:21]
	ds_store_b64 v0, v[18:19]
	;; [unrolled: 1-line block ×5, first 2 shown]
	s_waitcnt lgkmcnt(0)
	s_barrier
	buffer_gl0_inv
	ds_load_2addr_b64 v[13:16], v49 offset1:1
	ds_load_2addr_b64 v[9:12], v49 offset0:2 offset1:3
	ds_load_2addr_b64 v[5:8], v49 offset0:4 offset1:5
	;; [unrolled: 1-line block ×3, first 2 shown]
	s_cmp_eq_u32 s24, 10
	s_waitcnt lgkmcnt(3)
	v_xor_b32_e32 v14, 0x80000000, v14
	v_xor_b32_e32 v16, 0x80000000, v16
	s_waitcnt lgkmcnt(2)
	v_xor_b32_e32 v10, 0x80000000, v10
	v_xor_b32_e32 v12, 0x80000000, v12
	;; [unrolled: 3-line block ×4, first 2 shown]
	s_cbranch_scc1 .LBB118_28
.LBB118_2:                              ; =>This Loop Header: Depth=1
                                        ;     Child Loop BB118_4 Depth 2
	s_waitcnt vmcnt(7)
	v_xor_b32_e32 v14, 0x80000000, v14
	s_waitcnt vmcnt(6)
	v_xor_b32_e32 v16, 0x80000000, v16
	;; [unrolled: 2-line block ×8, first 2 shown]
	ds_store_2addr_b64 v34, v[13:14], v[15:16] offset1:1
	ds_store_2addr_b64 v34, v[9:10], v[11:12] offset0:2 offset1:3
	ds_store_2addr_b64 v34, v[5:6], v[7:8] offset0:4 offset1:5
	;; [unrolled: 1-line block ×3, first 2 shown]
	; wave barrier
	ds_load_b64 v[32:33], v35
	ds_load_b64 v[0:1], v36 offset:256
	ds_load_b64 v[2:3], v37 offset:512
	;; [unrolled: 1-line block ×7, first 2 shown]
	s_mov_b64 s[22:23], 0
	s_waitcnt lgkmcnt(0)
	s_barrier
	buffer_gl0_inv
	; wave barrier
	s_barrier
	s_branch .LBB118_4
.LBB118_3:                              ;   in Loop: Header=BB118_4 Depth=2
	v_lshrrev_b32_e32 v0, 2, v55
	v_lshrrev_b32_e32 v1, 2, v58
	;; [unrolled: 1-line block ×4, first 2 shown]
	s_delay_alu instid0(VALU_DEP_4) | instskip(NEXT) | instid1(VALU_DEP_4)
	v_and_b32_e32 v0, 0x3ffffff8, v0
	v_and_b32_e32 v1, 0x3ffffff8, v1
	s_delay_alu instid0(VALU_DEP_4)
	v_and_b32_e32 v2, 0x3ffffff8, v2
	s_barrier
	buffer_gl0_inv
	v_lshl_add_u32 v0, v55, 3, v0
	v_lshl_add_u32 v1, v58, 3, v1
	;; [unrolled: 1-line block ×3, first 2 shown]
	v_lshrrev_b32_e32 v4, 2, v54
	v_and_b32_e32 v3, 0x3ffffff8, v3
	ds_store_b64 v0, v[8:9]
	ds_store_b64 v1, v[24:25]
	;; [unrolled: 1-line block ×3, first 2 shown]
	v_lshrrev_b32_e32 v0, 2, v51
	v_lshrrev_b32_e32 v1, 2, v52
	;; [unrolled: 1-line block ×3, first 2 shown]
	v_and_b32_e32 v4, 0x3ffffff8, v4
	v_lshl_add_u32 v3, v16, 3, v3
	v_and_b32_e32 v0, 0x3ffffff8, v0
	v_and_b32_e32 v1, 0x3ffffff8, v1
	;; [unrolled: 1-line block ×3, first 2 shown]
	v_lshl_add_u32 v4, v54, 3, v4
	s_add_u32 s22, s22, 8
	v_lshl_add_u32 v0, v51, 3, v0
	v_lshl_add_u32 v1, v52, 3, v1
	;; [unrolled: 1-line block ×3, first 2 shown]
	ds_store_b64 v3, v[20:21]
	ds_store_b64 v0, v[18:19]
	;; [unrolled: 1-line block ×5, first 2 shown]
	s_waitcnt lgkmcnt(0)
	s_barrier
	buffer_gl0_inv
	ds_load_b64 v[32:33], v35
	ds_load_b64 v[0:1], v36 offset:256
	ds_load_b64 v[2:3], v37 offset:512
	;; [unrolled: 1-line block ×7, first 2 shown]
	s_addc_u32 s23, s23, 0
	s_waitcnt lgkmcnt(0)
	s_barrier
	s_cbranch_execz .LBB118_1
.LBB118_4:                              ;   Parent Loop BB118_2 Depth=1
                                        ; =>  This Inner Loop Header: Depth=2
	v_dual_mov_b32 v8, v32 :: v_dual_mov_b32 v9, v33
	buffer_gl0_inv
	v_dual_mov_b32 v21, v5 :: v_dual_mov_b32 v20, v4
	v_mov_b32_e32 v23, v3
	v_lshrrev_b64 v[32:33], s22, v[8:9]
	v_dual_mov_b32 v22, v2 :: v_dual_mov_b32 v3, s20
	v_mov_b32_e32 v4, s21
	s_delay_alu instid0(VALU_DEP_3)
	v_and_b32_e32 v10, 1, v32
	v_lshlrev_b32_e32 v11, 30, v32
	v_lshlrev_b32_e32 v12, 29, v32
	;; [unrolled: 1-line block ×4, first 2 shown]
	v_add_co_u32 v10, s13, v10, -1
	s_delay_alu instid0(VALU_DEP_1)
	v_cndmask_b32_e64 v14, 0, 1, s13
	v_not_b32_e32 v19, v11
	v_cmp_gt_i32_e64 s13, 0, v11
	v_not_b32_e32 v11, v12
	v_lshlrev_b32_e32 v16, 26, v32
	v_cmp_ne_u32_e32 vcc_lo, 0, v14
	v_ashrrev_i32_e32 v19, 31, v19
	v_lshlrev_b32_e32 v18, 25, v32
	v_ashrrev_i32_e32 v11, 31, v11
	v_lshlrev_b32_e32 v14, 24, v32
	v_xor_b32_e32 v10, vcc_lo, v10
	v_cmp_gt_i32_e32 vcc_lo, 0, v12
	v_not_b32_e32 v12, v13
	v_xor_b32_e32 v19, s13, v19
	v_cmp_gt_i32_e64 s13, 0, v13
	v_and_b32_e32 v10, exec_lo, v10
	v_not_b32_e32 v13, v15
	v_ashrrev_i32_e32 v12, 31, v12
	v_xor_b32_e32 v11, vcc_lo, v11
	v_cmp_gt_i32_e32 vcc_lo, 0, v15
	v_and_b32_e32 v10, v10, v19
	v_not_b32_e32 v15, v16
	v_ashrrev_i32_e32 v13, 31, v13
	v_xor_b32_e32 v12, s13, v12
	v_cmp_gt_i32_e64 s13, 0, v16
	v_and_b32_e32 v10, v10, v11
	v_not_b32_e32 v11, v18
	v_ashrrev_i32_e32 v15, 31, v15
	v_xor_b32_e32 v13, vcc_lo, v13
	v_cmp_gt_i32_e32 vcc_lo, 0, v18
	v_and_b32_e32 v10, v10, v12
	v_ashrrev_i32_e32 v11, 31, v11
	v_xor_b32_e32 v15, s13, v15
	s_delay_alu instid0(VALU_DEP_3) | instskip(NEXT) | instid1(VALU_DEP_3)
	v_and_b32_e32 v10, v10, v13
	v_xor_b32_e32 v18, vcc_lo, v11
	s_delay_alu instid0(VALU_DEP_2) | instskip(SKIP_1) | instid1(VALU_DEP_2)
	v_and_b32_e32 v19, v10, v15
	v_dual_mov_b32 v10, v30 :: v_dual_mov_b32 v11, v31
	v_and_b32_e32 v24, v19, v18
	v_mov_b32_e32 v19, v7
	v_not_b32_e32 v12, v14
	v_cmp_gt_i32_e64 s13, 0, v14
	v_mov_b32_e32 v14, v26
	v_dual_mov_b32 v18, v6 :: v_dual_mov_b32 v5, s16
	s_delay_alu instid0(VALU_DEP_4) | instskip(SKIP_2) | instid1(VALU_DEP_3)
	v_ashrrev_i32_e32 v16, 31, v12
	v_dual_mov_b32 v12, v28 :: v_dual_mov_b32 v13, v29
	v_dual_mov_b32 v15, v27 :: v_dual_mov_b32 v6, s17
	v_xor_b32_e32 v16, s13, v16
	ds_store_2addr_b64 v40, v[3:4], v[5:6] offset0:3 offset1:4
	ds_store_2addr_b64 v44, v[3:4], v[5:6] offset0:2 offset1:3
	v_dual_mov_b32 v25, v1 :: v_dual_and_b32 v2, v24, v16
	v_mov_b32_e32 v24, v0
	v_and_b32_e32 v0, 0xff, v32
	s_waitcnt lgkmcnt(0)
	s_delay_alu instid0(VALU_DEP_3)
	v_mbcnt_lo_u32_b32 v16, v2, 0
	v_cmp_ne_u32_e64 s13, 0, v2
	s_barrier
	v_mad_u32_u24 v0, v0, 6, v45
	buffer_gl0_inv
	v_cmp_eq_u32_e32 vcc_lo, 0, v16
	; wave barrier
	v_lshl_add_u32 v26, v0, 2, 24
	s_and_b32 s25, s13, vcc_lo
	s_delay_alu instid0(SALU_CYCLE_1)
	s_and_saveexec_b32 s13, s25
	s_cbranch_execz .LBB118_6
; %bb.5:                                ;   in Loop: Header=BB118_4 Depth=2
	v_bcnt_u32_b32 v0, v2, 0
	ds_store_b32 v26, v0
.LBB118_6:                              ;   in Loop: Header=BB118_4 Depth=2
	s_or_b32 exec_lo, exec_lo, s13
	v_lshrrev_b64 v[0:1], s22, v[24:25]
	; wave barrier
	s_delay_alu instid0(VALU_DEP_1)
	v_and_b32_e32 v2, 1, v0
	v_lshlrev_b32_e32 v3, 30, v0
	v_lshlrev_b32_e32 v4, 29, v0
	;; [unrolled: 1-line block ×4, first 2 shown]
	v_add_co_u32 v2, s13, v2, -1
	s_delay_alu instid0(VALU_DEP_1)
	v_cndmask_b32_e64 v6, 0, 1, s13
	v_not_b32_e32 v29, v3
	v_cmp_gt_i32_e64 s13, 0, v3
	v_not_b32_e32 v3, v4
	v_lshlrev_b32_e32 v27, 26, v0
	v_cmp_ne_u32_e32 vcc_lo, 0, v6
	v_ashrrev_i32_e32 v6, 31, v29
	v_lshlrev_b32_e32 v28, 25, v0
	v_ashrrev_i32_e32 v3, 31, v3
	v_and_b32_e32 v1, 0xff, v0
	v_xor_b32_e32 v2, vcc_lo, v2
	v_cmp_gt_i32_e32 vcc_lo, 0, v4
	v_not_b32_e32 v4, v5
	v_xor_b32_e32 v6, s13, v6
	v_cmp_gt_i32_e64 s13, 0, v5
	v_and_b32_e32 v2, exec_lo, v2
	v_not_b32_e32 v5, v7
	v_ashrrev_i32_e32 v4, 31, v4
	v_xor_b32_e32 v3, vcc_lo, v3
	v_cmp_gt_i32_e32 vcc_lo, 0, v7
	v_and_b32_e32 v2, v2, v6
	v_not_b32_e32 v6, v27
	v_ashrrev_i32_e32 v5, 31, v5
	v_xor_b32_e32 v4, s13, v4
	v_lshlrev_b32_e32 v0, 24, v0
	v_and_b32_e32 v2, v2, v3
	v_cmp_gt_i32_e64 s13, 0, v27
	v_not_b32_e32 v3, v28
	v_ashrrev_i32_e32 v6, 31, v6
	v_xor_b32_e32 v5, vcc_lo, v5
	v_and_b32_e32 v2, v2, v4
	v_cmp_gt_i32_e32 vcc_lo, 0, v28
	v_not_b32_e32 v4, v0
	v_ashrrev_i32_e32 v3, 31, v3
	v_xor_b32_e32 v6, s13, v6
	v_and_b32_e32 v2, v2, v5
	v_mul_u32_u24_e32 v1, 6, v1
	v_cmp_gt_i32_e64 s13, 0, v0
	v_ashrrev_i32_e32 v0, 31, v4
	v_xor_b32_e32 v3, vcc_lo, v3
	v_and_b32_e32 v2, v2, v6
	v_add_lshl_u32 v1, v1, v45, 2
	s_delay_alu instid0(VALU_DEP_4) | instskip(NEXT) | instid1(VALU_DEP_3)
	v_xor_b32_e32 v0, s13, v0
	v_and_b32_e32 v2, v2, v3
	ds_load_b32 v27, v1 offset:24
	v_add_nc_u32_e32 v29, 24, v1
	; wave barrier
	v_and_b32_e32 v0, v2, v0
	s_delay_alu instid0(VALU_DEP_1) | instskip(SKIP_1) | instid1(VALU_DEP_2)
	v_mbcnt_lo_u32_b32 v28, v0, 0
	v_cmp_ne_u32_e64 s13, 0, v0
	v_cmp_eq_u32_e32 vcc_lo, 0, v28
	s_delay_alu instid0(VALU_DEP_2) | instskip(NEXT) | instid1(SALU_CYCLE_1)
	s_and_b32 s25, s13, vcc_lo
	s_and_saveexec_b32 s13, s25
	s_cbranch_execz .LBB118_8
; %bb.7:                                ;   in Loop: Header=BB118_4 Depth=2
	s_waitcnt lgkmcnt(0)
	v_bcnt_u32_b32 v0, v0, v27
	ds_store_b32 v29, v0
.LBB118_8:                              ;   in Loop: Header=BB118_4 Depth=2
	s_or_b32 exec_lo, exec_lo, s13
	v_lshrrev_b64 v[0:1], s22, v[22:23]
	; wave barrier
	s_delay_alu instid0(VALU_DEP_1)
	v_and_b32_e32 v2, 1, v0
	v_lshlrev_b32_e32 v3, 30, v0
	v_lshlrev_b32_e32 v4, 29, v0
	;; [unrolled: 1-line block ×4, first 2 shown]
	v_add_co_u32 v2, s13, v2, -1
	s_delay_alu instid0(VALU_DEP_1)
	v_cndmask_b32_e64 v6, 0, 1, s13
	v_not_b32_e32 v32, v3
	v_cmp_gt_i32_e64 s13, 0, v3
	v_not_b32_e32 v3, v4
	v_lshlrev_b32_e32 v30, 26, v0
	v_cmp_ne_u32_e32 vcc_lo, 0, v6
	v_ashrrev_i32_e32 v6, 31, v32
	v_lshlrev_b32_e32 v31, 25, v0
	v_ashrrev_i32_e32 v3, 31, v3
	v_and_b32_e32 v1, 0xff, v0
	v_xor_b32_e32 v2, vcc_lo, v2
	v_cmp_gt_i32_e32 vcc_lo, 0, v4
	v_not_b32_e32 v4, v5
	v_xor_b32_e32 v6, s13, v6
	v_cmp_gt_i32_e64 s13, 0, v5
	v_and_b32_e32 v2, exec_lo, v2
	v_not_b32_e32 v5, v7
	v_ashrrev_i32_e32 v4, 31, v4
	v_xor_b32_e32 v3, vcc_lo, v3
	v_cmp_gt_i32_e32 vcc_lo, 0, v7
	v_and_b32_e32 v2, v2, v6
	v_not_b32_e32 v6, v30
	v_ashrrev_i32_e32 v5, 31, v5
	v_xor_b32_e32 v4, s13, v4
	v_lshlrev_b32_e32 v0, 24, v0
	v_and_b32_e32 v2, v2, v3
	v_cmp_gt_i32_e64 s13, 0, v30
	v_not_b32_e32 v3, v31
	v_ashrrev_i32_e32 v6, 31, v6
	v_xor_b32_e32 v5, vcc_lo, v5
	v_and_b32_e32 v2, v2, v4
	v_cmp_gt_i32_e32 vcc_lo, 0, v31
	v_not_b32_e32 v4, v0
	v_ashrrev_i32_e32 v3, 31, v3
	v_xor_b32_e32 v6, s13, v6
	v_and_b32_e32 v2, v2, v5
	v_mul_u32_u24_e32 v1, 6, v1
	v_cmp_gt_i32_e64 s13, 0, v0
	v_ashrrev_i32_e32 v0, 31, v4
	v_xor_b32_e32 v3, vcc_lo, v3
	v_and_b32_e32 v2, v2, v6
	v_add_lshl_u32 v1, v1, v45, 2
	s_delay_alu instid0(VALU_DEP_4) | instskip(NEXT) | instid1(VALU_DEP_3)
	v_xor_b32_e32 v0, s13, v0
	v_and_b32_e32 v2, v2, v3
	ds_load_b32 v30, v1 offset:24
	v_add_nc_u32_e32 v32, 24, v1
	; wave barrier
	v_and_b32_e32 v0, v2, v0
	s_delay_alu instid0(VALU_DEP_1) | instskip(SKIP_1) | instid1(VALU_DEP_2)
	v_mbcnt_lo_u32_b32 v31, v0, 0
	v_cmp_ne_u32_e64 s13, 0, v0
	v_cmp_eq_u32_e32 vcc_lo, 0, v31
	s_delay_alu instid0(VALU_DEP_2) | instskip(NEXT) | instid1(SALU_CYCLE_1)
	s_and_b32 s25, s13, vcc_lo
	s_and_saveexec_b32 s13, s25
	s_cbranch_execz .LBB118_10
; %bb.9:                                ;   in Loop: Header=BB118_4 Depth=2
	s_waitcnt lgkmcnt(0)
	v_bcnt_u32_b32 v0, v0, v30
	ds_store_b32 v32, v0
.LBB118_10:                             ;   in Loop: Header=BB118_4 Depth=2
	s_or_b32 exec_lo, exec_lo, s13
	v_lshrrev_b64 v[0:1], s22, v[20:21]
	; wave barrier
	s_delay_alu instid0(VALU_DEP_1)
	v_and_b32_e32 v2, 1, v0
	v_lshlrev_b32_e32 v3, 30, v0
	v_lshlrev_b32_e32 v4, 29, v0
	;; [unrolled: 1-line block ×4, first 2 shown]
	v_add_co_u32 v2, s13, v2, -1
	s_delay_alu instid0(VALU_DEP_1)
	v_cndmask_b32_e64 v6, 0, 1, s13
	v_not_b32_e32 v52, v3
	v_cmp_gt_i32_e64 s13, 0, v3
	v_not_b32_e32 v3, v4
	v_lshlrev_b32_e32 v33, 26, v0
	v_cmp_ne_u32_e32 vcc_lo, 0, v6
	v_ashrrev_i32_e32 v6, 31, v52
	v_lshlrev_b32_e32 v51, 25, v0
	v_ashrrev_i32_e32 v3, 31, v3
	v_and_b32_e32 v1, 0xff, v0
	v_xor_b32_e32 v2, vcc_lo, v2
	v_cmp_gt_i32_e32 vcc_lo, 0, v4
	v_not_b32_e32 v4, v5
	v_xor_b32_e32 v6, s13, v6
	v_cmp_gt_i32_e64 s13, 0, v5
	v_and_b32_e32 v2, exec_lo, v2
	v_not_b32_e32 v5, v7
	v_ashrrev_i32_e32 v4, 31, v4
	v_xor_b32_e32 v3, vcc_lo, v3
	v_cmp_gt_i32_e32 vcc_lo, 0, v7
	v_and_b32_e32 v2, v2, v6
	v_not_b32_e32 v6, v33
	v_ashrrev_i32_e32 v5, 31, v5
	v_xor_b32_e32 v4, s13, v4
	v_lshlrev_b32_e32 v0, 24, v0
	v_and_b32_e32 v2, v2, v3
	v_cmp_gt_i32_e64 s13, 0, v33
	v_not_b32_e32 v3, v51
	v_ashrrev_i32_e32 v6, 31, v6
	v_xor_b32_e32 v5, vcc_lo, v5
	v_and_b32_e32 v2, v2, v4
	v_cmp_gt_i32_e32 vcc_lo, 0, v51
	v_not_b32_e32 v4, v0
	v_ashrrev_i32_e32 v3, 31, v3
	v_xor_b32_e32 v6, s13, v6
	v_and_b32_e32 v2, v2, v5
	v_mul_u32_u24_e32 v1, 6, v1
	v_cmp_gt_i32_e64 s13, 0, v0
	v_ashrrev_i32_e32 v0, 31, v4
	v_xor_b32_e32 v3, vcc_lo, v3
	v_and_b32_e32 v2, v2, v6
	v_add_lshl_u32 v1, v1, v45, 2
	s_delay_alu instid0(VALU_DEP_4) | instskip(NEXT) | instid1(VALU_DEP_3)
	v_xor_b32_e32 v0, s13, v0
	v_and_b32_e32 v2, v2, v3
	ds_load_b32 v33, v1 offset:24
	v_add_nc_u32_e32 v52, 24, v1
	; wave barrier
	v_and_b32_e32 v0, v2, v0
	s_delay_alu instid0(VALU_DEP_1) | instskip(SKIP_1) | instid1(VALU_DEP_2)
	v_mbcnt_lo_u32_b32 v51, v0, 0
	v_cmp_ne_u32_e64 s13, 0, v0
	v_cmp_eq_u32_e32 vcc_lo, 0, v51
	s_delay_alu instid0(VALU_DEP_2) | instskip(NEXT) | instid1(SALU_CYCLE_1)
	s_and_b32 s25, s13, vcc_lo
	s_and_saveexec_b32 s13, s25
	s_cbranch_execz .LBB118_12
; %bb.11:                               ;   in Loop: Header=BB118_4 Depth=2
	s_waitcnt lgkmcnt(0)
	v_bcnt_u32_b32 v0, v0, v33
	ds_store_b32 v52, v0
.LBB118_12:                             ;   in Loop: Header=BB118_4 Depth=2
	s_or_b32 exec_lo, exec_lo, s13
	v_lshrrev_b64 v[0:1], s22, v[18:19]
	; wave barrier
	s_delay_alu instid0(VALU_DEP_1)
	v_and_b32_e32 v2, 1, v0
	v_lshlrev_b32_e32 v3, 30, v0
	v_lshlrev_b32_e32 v4, 29, v0
	;; [unrolled: 1-line block ×4, first 2 shown]
	v_add_co_u32 v2, s13, v2, -1
	s_delay_alu instid0(VALU_DEP_1)
	v_cndmask_b32_e64 v6, 0, 1, s13
	v_not_b32_e32 v55, v3
	v_cmp_gt_i32_e64 s13, 0, v3
	v_not_b32_e32 v3, v4
	v_lshlrev_b32_e32 v53, 26, v0
	v_cmp_ne_u32_e32 vcc_lo, 0, v6
	v_ashrrev_i32_e32 v6, 31, v55
	v_lshlrev_b32_e32 v54, 25, v0
	v_ashrrev_i32_e32 v3, 31, v3
	v_and_b32_e32 v1, 0xff, v0
	v_xor_b32_e32 v2, vcc_lo, v2
	v_cmp_gt_i32_e32 vcc_lo, 0, v4
	v_not_b32_e32 v4, v5
	v_xor_b32_e32 v6, s13, v6
	v_cmp_gt_i32_e64 s13, 0, v5
	v_and_b32_e32 v2, exec_lo, v2
	v_not_b32_e32 v5, v7
	v_ashrrev_i32_e32 v4, 31, v4
	v_xor_b32_e32 v3, vcc_lo, v3
	v_cmp_gt_i32_e32 vcc_lo, 0, v7
	v_and_b32_e32 v2, v2, v6
	v_not_b32_e32 v6, v53
	v_ashrrev_i32_e32 v5, 31, v5
	v_xor_b32_e32 v4, s13, v4
	v_lshlrev_b32_e32 v0, 24, v0
	v_and_b32_e32 v2, v2, v3
	v_cmp_gt_i32_e64 s13, 0, v53
	v_not_b32_e32 v3, v54
	v_ashrrev_i32_e32 v6, 31, v6
	v_xor_b32_e32 v5, vcc_lo, v5
	v_and_b32_e32 v2, v2, v4
	v_cmp_gt_i32_e32 vcc_lo, 0, v54
	v_not_b32_e32 v4, v0
	v_ashrrev_i32_e32 v3, 31, v3
	v_xor_b32_e32 v6, s13, v6
	v_and_b32_e32 v2, v2, v5
	v_mul_u32_u24_e32 v1, 6, v1
	v_cmp_gt_i32_e64 s13, 0, v0
	v_ashrrev_i32_e32 v0, 31, v4
	v_xor_b32_e32 v3, vcc_lo, v3
	v_and_b32_e32 v2, v2, v6
	v_add_lshl_u32 v1, v1, v45, 2
	s_delay_alu instid0(VALU_DEP_4) | instskip(NEXT) | instid1(VALU_DEP_3)
	v_xor_b32_e32 v0, s13, v0
	v_and_b32_e32 v2, v2, v3
	ds_load_b32 v53, v1 offset:24
	v_add_nc_u32_e32 v55, 24, v1
	; wave barrier
	v_and_b32_e32 v0, v2, v0
	s_delay_alu instid0(VALU_DEP_1) | instskip(SKIP_1) | instid1(VALU_DEP_2)
	v_mbcnt_lo_u32_b32 v54, v0, 0
	v_cmp_ne_u32_e64 s13, 0, v0
	v_cmp_eq_u32_e32 vcc_lo, 0, v54
	s_delay_alu instid0(VALU_DEP_2) | instskip(NEXT) | instid1(SALU_CYCLE_1)
	s_and_b32 s25, s13, vcc_lo
	s_and_saveexec_b32 s13, s25
	s_cbranch_execz .LBB118_14
; %bb.13:                               ;   in Loop: Header=BB118_4 Depth=2
	s_waitcnt lgkmcnt(0)
	v_bcnt_u32_b32 v0, v0, v53
	ds_store_b32 v55, v0
.LBB118_14:                             ;   in Loop: Header=BB118_4 Depth=2
	s_or_b32 exec_lo, exec_lo, s13
	v_lshrrev_b64 v[0:1], s22, v[14:15]
	; wave barrier
	s_delay_alu instid0(VALU_DEP_1)
	v_and_b32_e32 v2, 1, v0
	v_lshlrev_b32_e32 v3, 30, v0
	v_lshlrev_b32_e32 v4, 29, v0
	;; [unrolled: 1-line block ×4, first 2 shown]
	v_add_co_u32 v2, s13, v2, -1
	s_delay_alu instid0(VALU_DEP_1)
	v_cndmask_b32_e64 v6, 0, 1, s13
	v_not_b32_e32 v58, v3
	v_cmp_gt_i32_e64 s13, 0, v3
	v_not_b32_e32 v3, v4
	v_lshlrev_b32_e32 v56, 26, v0
	v_cmp_ne_u32_e32 vcc_lo, 0, v6
	v_ashrrev_i32_e32 v6, 31, v58
	v_lshlrev_b32_e32 v57, 25, v0
	v_ashrrev_i32_e32 v3, 31, v3
	v_and_b32_e32 v1, 0xff, v0
	v_xor_b32_e32 v2, vcc_lo, v2
	v_cmp_gt_i32_e32 vcc_lo, 0, v4
	v_not_b32_e32 v4, v5
	v_xor_b32_e32 v6, s13, v6
	v_cmp_gt_i32_e64 s13, 0, v5
	v_and_b32_e32 v2, exec_lo, v2
	v_not_b32_e32 v5, v7
	v_ashrrev_i32_e32 v4, 31, v4
	v_xor_b32_e32 v3, vcc_lo, v3
	v_cmp_gt_i32_e32 vcc_lo, 0, v7
	v_and_b32_e32 v2, v2, v6
	v_not_b32_e32 v6, v56
	v_ashrrev_i32_e32 v5, 31, v5
	v_xor_b32_e32 v4, s13, v4
	v_lshlrev_b32_e32 v0, 24, v0
	v_and_b32_e32 v2, v2, v3
	v_cmp_gt_i32_e64 s13, 0, v56
	v_not_b32_e32 v3, v57
	v_ashrrev_i32_e32 v6, 31, v6
	v_xor_b32_e32 v5, vcc_lo, v5
	v_and_b32_e32 v2, v2, v4
	v_cmp_gt_i32_e32 vcc_lo, 0, v57
	v_not_b32_e32 v4, v0
	v_ashrrev_i32_e32 v3, 31, v3
	v_xor_b32_e32 v6, s13, v6
	v_and_b32_e32 v2, v2, v5
	v_mul_u32_u24_e32 v1, 6, v1
	v_cmp_gt_i32_e64 s13, 0, v0
	v_ashrrev_i32_e32 v0, 31, v4
	v_xor_b32_e32 v3, vcc_lo, v3
	v_and_b32_e32 v2, v2, v6
	v_add_lshl_u32 v1, v1, v45, 2
	s_delay_alu instid0(VALU_DEP_4) | instskip(NEXT) | instid1(VALU_DEP_3)
	v_xor_b32_e32 v0, s13, v0
	v_and_b32_e32 v2, v2, v3
	ds_load_b32 v56, v1 offset:24
	v_add_nc_u32_e32 v58, 24, v1
	; wave barrier
	v_and_b32_e32 v0, v2, v0
	s_delay_alu instid0(VALU_DEP_1) | instskip(SKIP_1) | instid1(VALU_DEP_2)
	v_mbcnt_lo_u32_b32 v57, v0, 0
	v_cmp_ne_u32_e64 s13, 0, v0
	v_cmp_eq_u32_e32 vcc_lo, 0, v57
	s_delay_alu instid0(VALU_DEP_2) | instskip(NEXT) | instid1(SALU_CYCLE_1)
	s_and_b32 s25, s13, vcc_lo
	s_and_saveexec_b32 s13, s25
	s_cbranch_execz .LBB118_16
; %bb.15:                               ;   in Loop: Header=BB118_4 Depth=2
	s_waitcnt lgkmcnt(0)
	v_bcnt_u32_b32 v0, v0, v56
	ds_store_b32 v58, v0
.LBB118_16:                             ;   in Loop: Header=BB118_4 Depth=2
	s_or_b32 exec_lo, exec_lo, s13
	v_lshrrev_b64 v[0:1], s22, v[12:13]
	; wave barrier
	s_delay_alu instid0(VALU_DEP_1)
	v_and_b32_e32 v2, 1, v0
	v_lshlrev_b32_e32 v3, 30, v0
	v_lshlrev_b32_e32 v4, 29, v0
	;; [unrolled: 1-line block ×4, first 2 shown]
	v_add_co_u32 v2, s13, v2, -1
	s_delay_alu instid0(VALU_DEP_1)
	v_cndmask_b32_e64 v6, 0, 1, s13
	v_not_b32_e32 v61, v3
	v_cmp_gt_i32_e64 s13, 0, v3
	v_not_b32_e32 v3, v4
	v_lshlrev_b32_e32 v59, 26, v0
	v_cmp_ne_u32_e32 vcc_lo, 0, v6
	v_ashrrev_i32_e32 v6, 31, v61
	v_lshlrev_b32_e32 v60, 25, v0
	v_ashrrev_i32_e32 v3, 31, v3
	v_and_b32_e32 v1, 0xff, v0
	v_xor_b32_e32 v2, vcc_lo, v2
	v_cmp_gt_i32_e32 vcc_lo, 0, v4
	v_not_b32_e32 v4, v5
	v_xor_b32_e32 v6, s13, v6
	v_cmp_gt_i32_e64 s13, 0, v5
	v_and_b32_e32 v2, exec_lo, v2
	v_not_b32_e32 v5, v7
	v_ashrrev_i32_e32 v4, 31, v4
	v_xor_b32_e32 v3, vcc_lo, v3
	v_cmp_gt_i32_e32 vcc_lo, 0, v7
	v_and_b32_e32 v2, v2, v6
	v_not_b32_e32 v6, v59
	v_ashrrev_i32_e32 v5, 31, v5
	v_xor_b32_e32 v4, s13, v4
	v_lshlrev_b32_e32 v0, 24, v0
	v_and_b32_e32 v2, v2, v3
	v_cmp_gt_i32_e64 s13, 0, v59
	v_not_b32_e32 v3, v60
	v_ashrrev_i32_e32 v6, 31, v6
	v_xor_b32_e32 v5, vcc_lo, v5
	v_and_b32_e32 v2, v2, v4
	v_cmp_gt_i32_e32 vcc_lo, 0, v60
	v_not_b32_e32 v4, v0
	v_ashrrev_i32_e32 v3, 31, v3
	v_xor_b32_e32 v6, s13, v6
	v_and_b32_e32 v2, v2, v5
	v_mul_u32_u24_e32 v1, 6, v1
	v_cmp_gt_i32_e64 s13, 0, v0
	v_ashrrev_i32_e32 v0, 31, v4
	v_xor_b32_e32 v3, vcc_lo, v3
	v_and_b32_e32 v2, v2, v6
	v_add_lshl_u32 v1, v1, v45, 2
	s_delay_alu instid0(VALU_DEP_4) | instskip(NEXT) | instid1(VALU_DEP_3)
	v_xor_b32_e32 v0, s13, v0
	v_and_b32_e32 v2, v2, v3
	ds_load_b32 v59, v1 offset:24
	v_add_nc_u32_e32 v61, 24, v1
	; wave barrier
	v_and_b32_e32 v0, v2, v0
	s_delay_alu instid0(VALU_DEP_1) | instskip(SKIP_1) | instid1(VALU_DEP_2)
	v_mbcnt_lo_u32_b32 v60, v0, 0
	v_cmp_ne_u32_e64 s13, 0, v0
	v_cmp_eq_u32_e32 vcc_lo, 0, v60
	s_delay_alu instid0(VALU_DEP_2) | instskip(NEXT) | instid1(SALU_CYCLE_1)
	s_and_b32 s25, s13, vcc_lo
	s_and_saveexec_b32 s13, s25
	s_cbranch_execz .LBB118_18
; %bb.17:                               ;   in Loop: Header=BB118_4 Depth=2
	s_waitcnt lgkmcnt(0)
	v_bcnt_u32_b32 v0, v0, v59
	ds_store_b32 v61, v0
.LBB118_18:                             ;   in Loop: Header=BB118_4 Depth=2
	s_or_b32 exec_lo, exec_lo, s13
	v_lshrrev_b64 v[0:1], s22, v[10:11]
	; wave barrier
	s_delay_alu instid0(VALU_DEP_1)
	v_and_b32_e32 v2, 1, v0
	v_lshlrev_b32_e32 v3, 30, v0
	v_lshlrev_b32_e32 v4, 29, v0
	;; [unrolled: 1-line block ×4, first 2 shown]
	v_add_co_u32 v2, s13, v2, -1
	s_delay_alu instid0(VALU_DEP_1)
	v_cndmask_b32_e64 v6, 0, 1, s13
	v_not_b32_e32 v64, v3
	v_cmp_gt_i32_e64 s13, 0, v3
	v_not_b32_e32 v3, v4
	v_lshlrev_b32_e32 v62, 26, v0
	v_cmp_ne_u32_e32 vcc_lo, 0, v6
	v_ashrrev_i32_e32 v6, 31, v64
	v_lshlrev_b32_e32 v63, 25, v0
	v_ashrrev_i32_e32 v3, 31, v3
	v_and_b32_e32 v1, 0xff, v0
	v_xor_b32_e32 v2, vcc_lo, v2
	v_cmp_gt_i32_e32 vcc_lo, 0, v4
	v_not_b32_e32 v4, v5
	v_xor_b32_e32 v6, s13, v6
	v_cmp_gt_i32_e64 s13, 0, v5
	v_and_b32_e32 v2, exec_lo, v2
	v_not_b32_e32 v5, v7
	v_ashrrev_i32_e32 v4, 31, v4
	v_xor_b32_e32 v3, vcc_lo, v3
	v_cmp_gt_i32_e32 vcc_lo, 0, v7
	v_and_b32_e32 v2, v2, v6
	v_not_b32_e32 v6, v62
	v_ashrrev_i32_e32 v5, 31, v5
	v_xor_b32_e32 v4, s13, v4
	v_lshlrev_b32_e32 v0, 24, v0
	v_and_b32_e32 v2, v2, v3
	v_cmp_gt_i32_e64 s13, 0, v62
	v_not_b32_e32 v3, v63
	v_ashrrev_i32_e32 v6, 31, v6
	v_xor_b32_e32 v5, vcc_lo, v5
	v_and_b32_e32 v2, v2, v4
	v_cmp_gt_i32_e32 vcc_lo, 0, v63
	v_not_b32_e32 v4, v0
	v_ashrrev_i32_e32 v3, 31, v3
	v_xor_b32_e32 v6, s13, v6
	v_and_b32_e32 v2, v2, v5
	v_mul_u32_u24_e32 v1, 6, v1
	v_cmp_gt_i32_e64 s13, 0, v0
	v_ashrrev_i32_e32 v0, 31, v4
	v_xor_b32_e32 v3, vcc_lo, v3
	v_and_b32_e32 v2, v2, v6
	v_add_lshl_u32 v1, v1, v45, 2
	s_delay_alu instid0(VALU_DEP_4) | instskip(NEXT) | instid1(VALU_DEP_3)
	v_xor_b32_e32 v0, s13, v0
	v_and_b32_e32 v2, v2, v3
	ds_load_b32 v62, v1 offset:24
	v_add_nc_u32_e32 v64, 24, v1
	; wave barrier
	v_and_b32_e32 v0, v2, v0
	s_delay_alu instid0(VALU_DEP_1) | instskip(SKIP_1) | instid1(VALU_DEP_2)
	v_mbcnt_lo_u32_b32 v63, v0, 0
	v_cmp_ne_u32_e64 s13, 0, v0
	v_cmp_eq_u32_e32 vcc_lo, 0, v63
	s_delay_alu instid0(VALU_DEP_2) | instskip(NEXT) | instid1(SALU_CYCLE_1)
	s_and_b32 s25, s13, vcc_lo
	s_and_saveexec_b32 s13, s25
	s_cbranch_execz .LBB118_20
; %bb.19:                               ;   in Loop: Header=BB118_4 Depth=2
	s_waitcnt lgkmcnt(0)
	v_bcnt_u32_b32 v0, v0, v62
	ds_store_b32 v64, v0
.LBB118_20:                             ;   in Loop: Header=BB118_4 Depth=2
	s_or_b32 exec_lo, exec_lo, s13
	; wave barrier
	s_waitcnt lgkmcnt(0)
	s_barrier
	buffer_gl0_inv
	ds_load_2addr_b64 v[4:7], v40 offset0:3 offset1:4
	ds_load_2addr_b64 v[0:3], v44 offset0:2 offset1:3
	s_waitcnt lgkmcnt(1)
	v_add_nc_u32_e32 v65, v5, v4
	s_delay_alu instid0(VALU_DEP_1) | instskip(SKIP_1) | instid1(VALU_DEP_1)
	v_add3_u32 v65, v65, v6, v7
	s_waitcnt lgkmcnt(0)
	v_add3_u32 v65, v65, v0, v1
	s_delay_alu instid0(VALU_DEP_1) | instskip(NEXT) | instid1(VALU_DEP_1)
	v_add3_u32 v3, v65, v2, v3
	v_mov_b32_dpp v65, v3 row_shr:1 row_mask:0xf bank_mask:0xf
	s_delay_alu instid0(VALU_DEP_1) | instskip(NEXT) | instid1(VALU_DEP_1)
	v_cndmask_b32_e64 v65, v65, 0, s0
	v_add_nc_u32_e32 v3, v65, v3
	s_delay_alu instid0(VALU_DEP_1) | instskip(NEXT) | instid1(VALU_DEP_1)
	v_mov_b32_dpp v65, v3 row_shr:2 row_mask:0xf bank_mask:0xf
	v_cndmask_b32_e64 v65, 0, v65, s1
	s_delay_alu instid0(VALU_DEP_1) | instskip(NEXT) | instid1(VALU_DEP_1)
	v_add_nc_u32_e32 v3, v3, v65
	v_mov_b32_dpp v65, v3 row_shr:4 row_mask:0xf bank_mask:0xf
	s_delay_alu instid0(VALU_DEP_1) | instskip(NEXT) | instid1(VALU_DEP_1)
	v_cndmask_b32_e64 v65, 0, v65, s2
	v_add_nc_u32_e32 v3, v3, v65
	s_delay_alu instid0(VALU_DEP_1) | instskip(NEXT) | instid1(VALU_DEP_1)
	v_mov_b32_dpp v65, v3 row_shr:8 row_mask:0xf bank_mask:0xf
	v_cndmask_b32_e64 v65, 0, v65, s3
	s_delay_alu instid0(VALU_DEP_1) | instskip(SKIP_3) | instid1(VALU_DEP_1)
	v_add_nc_u32_e32 v3, v3, v65
	ds_swizzle_b32 v65, v3 offset:swizzle(BROADCAST,32,15)
	s_waitcnt lgkmcnt(0)
	v_cndmask_b32_e64 v65, v65, 0, s4
	v_add_nc_u32_e32 v3, v3, v65
	s_and_saveexec_b32 s13, s5
	s_cbranch_execz .LBB118_22
; %bb.21:                               ;   in Loop: Header=BB118_4 Depth=2
	ds_store_b32 v47, v3
.LBB118_22:                             ;   in Loop: Header=BB118_4 Depth=2
	s_or_b32 exec_lo, exec_lo, s13
	s_waitcnt lgkmcnt(0)
	s_barrier
	buffer_gl0_inv
	s_and_saveexec_b32 s13, s6
	s_cbranch_execz .LBB118_24
; %bb.23:                               ;   in Loop: Header=BB118_4 Depth=2
	ds_load_b32 v65, v50
	s_waitcnt lgkmcnt(0)
	v_mov_b32_dpp v66, v65 row_shr:1 row_mask:0xf bank_mask:0xf
	s_delay_alu instid0(VALU_DEP_1) | instskip(NEXT) | instid1(VALU_DEP_1)
	v_cndmask_b32_e64 v66, v66, 0, s10
	v_add_nc_u32_e32 v65, v66, v65
	s_delay_alu instid0(VALU_DEP_1) | instskip(NEXT) | instid1(VALU_DEP_1)
	v_mov_b32_dpp v66, v65 row_shr:2 row_mask:0xf bank_mask:0xf
	v_cndmask_b32_e64 v66, 0, v66, s11
	s_delay_alu instid0(VALU_DEP_1) | instskip(NEXT) | instid1(VALU_DEP_1)
	v_add_nc_u32_e32 v65, v65, v66
	v_mov_b32_dpp v66, v65 row_shr:4 row_mask:0xf bank_mask:0xf
	s_delay_alu instid0(VALU_DEP_1) | instskip(NEXT) | instid1(VALU_DEP_1)
	v_cndmask_b32_e64 v66, 0, v66, s12
	v_add_nc_u32_e32 v65, v65, v66
	ds_store_b32 v50, v65
.LBB118_24:                             ;   in Loop: Header=BB118_4 Depth=2
	s_or_b32 exec_lo, exec_lo, s13
	v_mov_b32_e32 v65, 0
	s_waitcnt lgkmcnt(0)
	s_barrier
	buffer_gl0_inv
	s_and_saveexec_b32 s13, s7
	s_cbranch_execz .LBB118_26
; %bb.25:                               ;   in Loop: Header=BB118_4 Depth=2
	ds_load_b32 v65, v48
.LBB118_26:                             ;   in Loop: Header=BB118_4 Depth=2
	s_or_b32 exec_lo, exec_lo, s13
	s_waitcnt lgkmcnt(0)
	v_add_nc_u32_e32 v3, v65, v3
	s_cmp_gt_u32 s22, 55
	ds_bpermute_b32 v3, v46, v3
	s_waitcnt lgkmcnt(0)
	v_cndmask_b32_e64 v3, v3, v65, s8
	s_delay_alu instid0(VALU_DEP_1) | instskip(NEXT) | instid1(VALU_DEP_1)
	v_cndmask_b32_e64 v3, v3, 0, s9
	v_add_nc_u32_e32 v4, v3, v4
	s_delay_alu instid0(VALU_DEP_1) | instskip(NEXT) | instid1(VALU_DEP_1)
	v_add_nc_u32_e32 v5, v4, v5
	v_add_nc_u32_e32 v6, v5, v6
	s_delay_alu instid0(VALU_DEP_1) | instskip(NEXT) | instid1(VALU_DEP_1)
	v_add_nc_u32_e32 v65, v6, v7
	v_add_nc_u32_e32 v66, v65, v0
	s_delay_alu instid0(VALU_DEP_1) | instskip(NEXT) | instid1(VALU_DEP_1)
	v_add_nc_u32_e32 v0, v66, v1
	v_add_nc_u32_e32 v1, v0, v2
	ds_store_2addr_b64 v40, v[3:4], v[5:6] offset0:3 offset1:4
	ds_store_2addr_b64 v44, v[65:66], v[0:1] offset0:2 offset1:3
	s_waitcnt lgkmcnt(0)
	s_barrier
	buffer_gl0_inv
	ds_load_b32 v0, v26
	ds_load_b32 v1, v29
	;; [unrolled: 1-line block ×8, first 2 shown]
	s_waitcnt lgkmcnt(7)
	v_add_nc_u32_e32 v55, v0, v16
	s_waitcnt lgkmcnt(6)
	v_add3_u32 v58, v28, v27, v1
	s_waitcnt lgkmcnt(5)
	v_add3_u32 v61, v31, v30, v2
	;; [unrolled: 2-line block ×7, first 2 shown]
	s_cbranch_scc0 .LBB118_3
; %bb.27:                               ;   in Loop: Header=BB118_2 Depth=1
                                        ; implicit-def: $vgpr30_vgpr31
                                        ; implicit-def: $vgpr28_vgpr29
                                        ; implicit-def: $vgpr26_vgpr27
                                        ; implicit-def: $vgpr6_vgpr7
                                        ; implicit-def: $vgpr4_vgpr5
                                        ; implicit-def: $vgpr2_vgpr3
                                        ; implicit-def: $vgpr0_vgpr1
                                        ; implicit-def: $vgpr32_vgpr33
                                        ; implicit-def: $sgpr22_sgpr23
	s_branch .LBB118_1
.LBB118_28:
	v_lshlrev_b32_e32 v0, 3, v17
	s_add_u32 s0, s18, s14
	s_addc_u32 s1, s19, s15
	s_delay_alu instid0(VALU_DEP_1) | instskip(NEXT) | instid1(VALU_DEP_1)
	v_add_co_u32 v19, s2, s0, v0
	v_add_co_ci_u32_e64 v20, null, s1, 0, s2
	s_delay_alu instid0(VALU_DEP_2) | instskip(NEXT) | instid1(VALU_DEP_2)
	v_add_co_u32 v17, vcc_lo, 0x1000, v19
	v_add_co_ci_u32_e32 v18, vcc_lo, 0, v20, vcc_lo
	v_add_co_u32 v19, vcc_lo, 0x2000, v19
	v_add_co_ci_u32_e32 v20, vcc_lo, 0, v20, vcc_lo
	s_clause 0x7
	global_store_b64 v0, v[13:14], s[0:1]
	global_store_b64 v0, v[15:16], s[0:1] offset:1536
	global_store_b64 v0, v[9:10], s[0:1] offset:3072
	global_store_b64 v[17:18], v[11:12], off offset:512
	global_store_b64 v[17:18], v[5:6], off offset:2048
	;; [unrolled: 1-line block ×5, first 2 shown]
	s_nop 0
	s_sendmsg sendmsg(MSG_DEALLOC_VGPRS)
	s_endpgm
	.section	.rodata,"a",@progbits
	.p2align	6, 0x0
	.amdhsa_kernel _Z16sort_keys_kernelI22helper_blocked_blockedxLj192ELj8ELj10EEvPKT0_PS1_
		.amdhsa_group_segment_fixed_size 12672
		.amdhsa_private_segment_fixed_size 0
		.amdhsa_kernarg_size 272
		.amdhsa_user_sgpr_count 15
		.amdhsa_user_sgpr_dispatch_ptr 0
		.amdhsa_user_sgpr_queue_ptr 0
		.amdhsa_user_sgpr_kernarg_segment_ptr 1
		.amdhsa_user_sgpr_dispatch_id 0
		.amdhsa_user_sgpr_private_segment_size 0
		.amdhsa_wavefront_size32 1
		.amdhsa_uses_dynamic_stack 0
		.amdhsa_enable_private_segment 0
		.amdhsa_system_sgpr_workgroup_id_x 1
		.amdhsa_system_sgpr_workgroup_id_y 0
		.amdhsa_system_sgpr_workgroup_id_z 0
		.amdhsa_system_sgpr_workgroup_info 0
		.amdhsa_system_vgpr_workitem_id 2
		.amdhsa_next_free_vgpr 67
		.amdhsa_next_free_sgpr 26
		.amdhsa_reserve_vcc 1
		.amdhsa_float_round_mode_32 0
		.amdhsa_float_round_mode_16_64 0
		.amdhsa_float_denorm_mode_32 3
		.amdhsa_float_denorm_mode_16_64 3
		.amdhsa_dx10_clamp 1
		.amdhsa_ieee_mode 1
		.amdhsa_fp16_overflow 0
		.amdhsa_workgroup_processor_mode 1
		.amdhsa_memory_ordered 1
		.amdhsa_forward_progress 0
		.amdhsa_shared_vgpr_count 0
		.amdhsa_exception_fp_ieee_invalid_op 0
		.amdhsa_exception_fp_denorm_src 0
		.amdhsa_exception_fp_ieee_div_zero 0
		.amdhsa_exception_fp_ieee_overflow 0
		.amdhsa_exception_fp_ieee_underflow 0
		.amdhsa_exception_fp_ieee_inexact 0
		.amdhsa_exception_int_div_zero 0
	.end_amdhsa_kernel
	.section	.text._Z16sort_keys_kernelI22helper_blocked_blockedxLj192ELj8ELj10EEvPKT0_PS1_,"axG",@progbits,_Z16sort_keys_kernelI22helper_blocked_blockedxLj192ELj8ELj10EEvPKT0_PS1_,comdat
.Lfunc_end118:
	.size	_Z16sort_keys_kernelI22helper_blocked_blockedxLj192ELj8ELj10EEvPKT0_PS1_, .Lfunc_end118-_Z16sort_keys_kernelI22helper_blocked_blockedxLj192ELj8ELj10EEvPKT0_PS1_
                                        ; -- End function
	.section	.AMDGPU.csdata,"",@progbits
; Kernel info:
; codeLenInByte = 5180
; NumSgprs: 28
; NumVgprs: 67
; ScratchSize: 0
; MemoryBound: 0
; FloatMode: 240
; IeeeMode: 1
; LDSByteSize: 12672 bytes/workgroup (compile time only)
; SGPRBlocks: 3
; VGPRBlocks: 8
; NumSGPRsForWavesPerEU: 28
; NumVGPRsForWavesPerEU: 67
; Occupancy: 15
; WaveLimiterHint : 1
; COMPUTE_PGM_RSRC2:SCRATCH_EN: 0
; COMPUTE_PGM_RSRC2:USER_SGPR: 15
; COMPUTE_PGM_RSRC2:TRAP_HANDLER: 0
; COMPUTE_PGM_RSRC2:TGID_X_EN: 1
; COMPUTE_PGM_RSRC2:TGID_Y_EN: 0
; COMPUTE_PGM_RSRC2:TGID_Z_EN: 0
; COMPUTE_PGM_RSRC2:TIDIG_COMP_CNT: 2
	.section	.text._Z17sort_pairs_kernelI22helper_blocked_blockedxLj192ELj8ELj10EEvPKT0_PS1_,"axG",@progbits,_Z17sort_pairs_kernelI22helper_blocked_blockedxLj192ELj8ELj10EEvPKT0_PS1_,comdat
	.protected	_Z17sort_pairs_kernelI22helper_blocked_blockedxLj192ELj8ELj10EEvPKT0_PS1_ ; -- Begin function _Z17sort_pairs_kernelI22helper_blocked_blockedxLj192ELj8ELj10EEvPKT0_PS1_
	.globl	_Z17sort_pairs_kernelI22helper_blocked_blockedxLj192ELj8ELj10EEvPKT0_PS1_
	.p2align	8
	.type	_Z17sort_pairs_kernelI22helper_blocked_blockedxLj192ELj8ELj10EEvPKT0_PS1_,@function
_Z17sort_pairs_kernelI22helper_blocked_blockedxLj192ELj8ELj10EEvPKT0_PS1_: ; @_Z17sort_pairs_kernelI22helper_blocked_blockedxLj192ELj8ELj10EEvPKT0_PS1_
; %bb.0:
	s_clause 0x1
	s_load_b128 s[16:19], s[0:1], 0x0
	s_load_b32 s12, s[0:1], 0x1c
	v_mbcnt_lo_u32_b32 v18, -1, 0
	s_mov_b32 s21, 0
	s_mul_i32 s20, s15, 0x600
	v_bfe_u32 v19, v0, 10, 10
	s_lshl_b64 s[14:15], s[20:21], 3
	v_add_nc_u32_e32 v22, -1, v18
	v_and_b32_e32 v33, 0x3ff, v0
	v_and_b32_e32 v20, 15, v18
	;; [unrolled: 1-line block ×4, first 2 shown]
	v_bfe_u32 v0, v0, 20, 10
	v_lshlrev_b32_e32 v17, 3, v33
	v_cmp_lt_u32_e64 s3, 3, v20
	v_cmp_lt_u32_e64 s4, 7, v20
	v_cmp_eq_u32_e64 s5, 0, v21
	v_cmp_eq_u32_e64 s9, 0, v23
	v_and_b32_e32 v25, 0x700, v17
	v_cmp_lt_u32_e64 s10, 1, v23
	s_waitcnt lgkmcnt(0)
	s_add_u32 s0, s16, s14
	s_addc_u32 s1, s17, s15
	v_add_co_u32 v3, s2, s0, v17
	s_delay_alu instid0(VALU_DEP_1)
	v_add_co_ci_u32_e64 v4, null, s1, 0, s2
	s_clause 0x1
	global_load_b64 v[13:14], v17, s[0:1]
	global_load_b64 v[15:16], v17, s[0:1] offset:1536
	v_add_co_u32 v1, vcc_lo, 0x1000, v3
	v_add_co_ci_u32_e32 v2, vcc_lo, 0, v4, vcc_lo
	v_add_co_u32 v3, vcc_lo, 0x2000, v3
	s_clause 0x2
	global_load_b64 v[9:10], v17, s[0:1] offset:3072
	global_load_b64 v[11:12], v[1:2], off offset:512
	global_load_b64 v[5:6], v[1:2], off offset:2048
	v_add_co_ci_u32_e32 v4, vcc_lo, 0, v4, vcc_lo
	s_clause 0x2
	global_load_b64 v[7:8], v[1:2], off offset:3584
	global_load_b64 v[1:2], v[3:4], off offset:1024
	;; [unrolled: 1-line block ×3, first 2 shown]
	v_cmp_gt_i32_e32 vcc_lo, 0, v22
	v_cmp_eq_u32_e64 s1, 0, v20
	v_cmp_lt_u32_e64 s2, 1, v20
	v_cmp_lt_u32_e64 s11, 3, v23
	v_or_b32_e32 v26, 0x60, v25
	v_cndmask_b32_e32 v20, v22, v18, vcc_lo
	v_and_b32_e32 v24, 0xe0, v33
	v_lshrrev_b32_e32 v21, 3, v33
	v_lshrrev_b32_e32 v22, 2, v33
	v_or_b32_e32 v27, 0x80, v25
	v_lshlrev_b32_e32 v68, 2, v20
	v_or_b32_e32 v23, v18, v24
	v_and_b32_e32 v69, 28, v21
	v_or_b32_e32 v21, 32, v25
	v_add_lshl_u32 v70, v22, v17, 3
	v_or_b32_e32 v22, 64, v25
	v_lshlrev_b32_e32 v17, 1, v23
	v_min_u32_e32 v24, 0xa0, v24
	v_or_b32_e32 v20, v18, v25
	v_lshrrev_b32_e32 v21, 5, v21
	v_lshrrev_b32_e32 v22, 5, v22
	v_and_b32_e32 v17, 0x1f8, v17
	v_or_b32_e32 v24, 31, v24
	v_cmp_eq_u32_e64 s0, 0, v18
	v_add_lshl_u32 v74, v21, v20, 3
	v_lshrrev_b32_e32 v18, 5, v25
	v_or_b32_e32 v28, 0xa0, v25
	v_or_b32_e32 v29, 0xc0, v25
	;; [unrolled: 1-line block ×3, first 2 shown]
	v_add_lshl_u32 v75, v22, v20, 3
	s_lshr_b32 s13, s12, 16
	v_lshrrev_b32_e32 v26, 5, v26
	v_lshl_add_u32 v73, v23, 6, v17
	v_lshrrev_b32_e32 v27, 5, v27
	v_mul_i32_i24_e32 v34, 0xffffffe4, v33
	s_and_b32 s16, s12, 0xffff
	v_mad_u32_u24 v0, v0, s13, v19
	v_cmp_eq_u32_e64 s12, v24, v33
	v_lshrrev_b32_e32 v28, 5, v28
	v_lshrrev_b32_e32 v19, 5, v25
	;; [unrolled: 1-line block ×3, first 2 shown]
	v_add_lshl_u32 v76, v26, v20, 3
	v_add_lshl_u32 v77, v27, v20, 3
	;; [unrolled: 1-line block ×3, first 2 shown]
	v_mad_u64_u32 v[17:18], null, v0, s16, v[33:34]
	v_add_lshl_u32 v78, v28, v20, 3
	v_add_lshl_u32 v79, v29, v20, 3
	v_lshlrev_b32_e32 v66, 5, v33
	v_add_lshl_u32 v80, v19, v20, 3
	v_cmp_gt_u32_e64 s6, 6, v33
	v_cmp_lt_u32_e64 s7, 31, v33
	v_lshrrev_b32_e32 v81, 5, v17
	v_cmp_eq_u32_e64 s8, 0, v33
	v_or_b32_e32 v67, 24, v66
	v_add_nc_u32_e32 v71, -4, v69
	v_add_nc_u32_e32 v82, v66, v34
	s_mov_b32 s20, s21
	s_mov_b32 s16, s21
	;; [unrolled: 1-line block ×4, first 2 shown]
	s_waitcnt vmcnt(7)
	v_add_co_u32 v21, vcc_lo, v13, 1
	v_add_co_ci_u32_e32 v22, vcc_lo, 0, v14, vcc_lo
	s_waitcnt vmcnt(6)
	v_add_co_u32 v23, vcc_lo, v15, 1
	v_add_co_ci_u32_e32 v24, vcc_lo, 0, v16, vcc_lo
	;; [unrolled: 3-line block ×8, first 2 shown]
	s_branch .LBB119_2
.LBB119_1:                              ;   in Loop: Header=BB119_2 Depth=1
	v_lshrrev_b32_e32 v1, 2, v88
	v_lshrrev_b32_e32 v2, 2, v89
	;; [unrolled: 1-line block ×5, first 2 shown]
	v_and_b32_e32 v1, 0x3ffffff8, v1
	v_and_b32_e32 v2, 0x3ffffff8, v2
	;; [unrolled: 1-line block ×3, first 2 shown]
	v_lshrrev_b32_e32 v5, 2, v86
	v_and_b32_e32 v3, 0x3ffffff8, v3
	v_lshl_add_u32 v42, v88, 3, v1
	v_lshrrev_b32_e32 v1, 2, v32
	v_lshl_add_u32 v43, v89, 3, v2
	v_lshrrev_b32_e32 v2, 2, v83
	v_lshl_add_u32 v0, v87, 3, v0
	v_and_b32_e32 v4, 0x3ffffff8, v4
	v_and_b32_e32 v1, 0x3ffffff8, v1
	;; [unrolled: 1-line block ×4, first 2 shown]
	s_barrier
	buffer_gl0_inv
	ds_store_b64 v0, v[18:19]
	ds_store_b64 v42, v[22:23]
	;; [unrolled: 1-line block ×3, first 2 shown]
	v_lshl_add_u32 v18, v32, 3, v1
	v_lshl_add_u32 v19, v83, 3, v2
	;; [unrolled: 1-line block ×5, first 2 shown]
	ds_store_b64 v18, v[16:17]
	ds_store_b64 v19, v[14:15]
	;; [unrolled: 1-line block ×5, first 2 shown]
	s_waitcnt lgkmcnt(0)
	s_barrier
	buffer_gl0_inv
	ds_load_2addr_b64 v[13:16], v70 offset1:1
	ds_load_2addr_b64 v[9:12], v70 offset0:2 offset1:3
	ds_load_2addr_b64 v[5:8], v70 offset0:4 offset1:5
	;; [unrolled: 1-line block ×3, first 2 shown]
	s_waitcnt lgkmcnt(0)
	s_barrier
	buffer_gl0_inv
	ds_store_b64 v0, v[40:41]
	ds_store_b64 v42, v[38:39]
	;; [unrolled: 1-line block ×8, first 2 shown]
	s_waitcnt lgkmcnt(0)
	s_barrier
	buffer_gl0_inv
	ds_load_2addr_b64 v[21:24], v70 offset1:1
	ds_load_2addr_b64 v[25:28], v70 offset0:2 offset1:3
	ds_load_2addr_b64 v[29:32], v70 offset0:4 offset1:5
	;; [unrolled: 1-line block ×3, first 2 shown]
	s_add_i32 s24, s24, 1
	s_delay_alu instid0(SALU_CYCLE_1)
	s_cmp_eq_u32 s24, 10
	v_xor_b32_e32 v14, 0x80000000, v14
	v_xor_b32_e32 v16, 0x80000000, v16
	;; [unrolled: 1-line block ×8, first 2 shown]
	s_cbranch_scc1 .LBB119_28
.LBB119_2:                              ; =>This Loop Header: Depth=1
                                        ;     Child Loop BB119_4 Depth 2
	v_xor_b32_e32 v14, 0x80000000, v14
	v_xor_b32_e32 v16, 0x80000000, v16
	;; [unrolled: 1-line block ×8, first 2 shown]
	ds_store_2addr_b64 v73, v[13:14], v[15:16] offset1:1
	ds_store_2addr_b64 v73, v[9:10], v[11:12] offset0:2 offset1:3
	ds_store_2addr_b64 v73, v[5:6], v[7:8] offset0:4 offset1:5
	;; [unrolled: 1-line block ×3, first 2 shown]
	; wave barrier
	ds_load_b64 v[60:61], v72
	ds_load_b64 v[50:51], v74 offset:256
	ds_load_b64 v[52:53], v75 offset:512
	;; [unrolled: 1-line block ×7, first 2 shown]
	; wave barrier
	s_waitcnt lgkmcnt(15)
	ds_store_2addr_b64 v73, v[21:22], v[23:24] offset1:1
	s_waitcnt lgkmcnt(15)
	ds_store_2addr_b64 v73, v[25:26], v[27:28] offset0:2 offset1:3
	s_waitcnt lgkmcnt(15)
	ds_store_2addr_b64 v73, v[29:30], v[31:32] offset0:4 offset1:5
	;; [unrolled: 2-line block ×3, first 2 shown]
	; wave barrier
	ds_load_b64 v[0:1], v72
	ds_load_b64 v[2:3], v74 offset:256
	ds_load_b64 v[4:5], v75 offset:512
	;; [unrolled: 1-line block ×7, first 2 shown]
	s_mov_b64 s[22:23], 0
	s_waitcnt lgkmcnt(0)
	s_barrier
	s_branch .LBB119_4
.LBB119_3:                              ;   in Loop: Header=BB119_4 Depth=2
	v_lshrrev_b32_e32 v0, 2, v87
	v_lshrrev_b32_e32 v3, 2, v32
	;; [unrolled: 1-line block ×8, first 2 shown]
	v_and_b32_e32 v0, 0x3ffffff8, v0
	v_and_b32_e32 v3, 0x3ffffff8, v3
	;; [unrolled: 1-line block ×8, first 2 shown]
	v_lshl_add_u32 v0, v87, 3, v0
	v_lshl_add_u32 v3, v32, 3, v3
	;; [unrolled: 1-line block ×8, first 2 shown]
	s_barrier
	buffer_gl0_inv
	ds_store_b64 v0, v[18:19]
	ds_store_b64 v1, v[22:23]
	;; [unrolled: 1-line block ×8, first 2 shown]
	s_waitcnt lgkmcnt(0)
	s_barrier
	buffer_gl0_inv
	ds_load_b64 v[60:61], v72
	ds_load_b64 v[50:51], v74 offset:256
	ds_load_b64 v[52:53], v75 offset:512
	;; [unrolled: 1-line block ×7, first 2 shown]
	s_waitcnt lgkmcnt(0)
	s_barrier
	buffer_gl0_inv
	ds_store_b64 v0, v[40:41]
	ds_store_b64 v1, v[38:39]
	;; [unrolled: 1-line block ×8, first 2 shown]
	s_waitcnt lgkmcnt(0)
	s_barrier
	buffer_gl0_inv
	ds_load_b64 v[0:1], v72
	ds_load_b64 v[2:3], v74 offset:256
	ds_load_b64 v[4:5], v75 offset:512
	;; [unrolled: 1-line block ×7, first 2 shown]
	s_add_u32 s22, s22, 8
	s_addc_u32 s23, s23, 0
	s_waitcnt lgkmcnt(0)
	s_barrier
	s_cbranch_execz .LBB119_1
.LBB119_4:                              ;   Parent Loop BB119_2 Depth=1
                                        ; =>  This Inner Loop Header: Depth=2
	v_dual_mov_b32 v18, v60 :: v_dual_mov_b32 v19, v61
	v_dual_mov_b32 v8, v64 :: v_dual_mov_b32 v9, v65
	;; [unrolled: 1-line block ×3, first 2 shown]
	s_delay_alu instid0(VALU_DEP_3) | instskip(SKIP_3) | instid1(VALU_DEP_4)
	v_lshrrev_b64 v[60:61], s22, v[18:19]
	v_dual_mov_b32 v12, v58 :: v_dual_mov_b32 v13, v59
	v_dual_mov_b32 v14, v56 :: v_dual_mov_b32 v15, v57
	;; [unrolled: 1-line block ×3, first 2 shown]
	v_and_b32_e32 v24, 1, v60
	v_lshlrev_b32_e32 v25, 30, v60
	v_lshlrev_b32_e32 v26, 29, v60
	;; [unrolled: 1-line block ×4, first 2 shown]
	v_add_co_u32 v24, s13, v24, -1
	s_delay_alu instid0(VALU_DEP_1)
	v_cndmask_b32_e64 v28, 0, 1, s13
	v_not_b32_e32 v32, v25
	v_cmp_gt_i32_e64 s13, 0, v25
	v_not_b32_e32 v25, v26
	v_lshlrev_b32_e32 v30, 26, v60
	v_cmp_ne_u32_e32 vcc_lo, 0, v28
	v_ashrrev_i32_e32 v32, 31, v32
	v_lshlrev_b32_e32 v31, 25, v60
	v_ashrrev_i32_e32 v25, 31, v25
	v_lshlrev_b32_e32 v28, 24, v60
	v_xor_b32_e32 v24, vcc_lo, v24
	v_cmp_gt_i32_e32 vcc_lo, 0, v26
	v_not_b32_e32 v26, v27
	v_xor_b32_e32 v32, s13, v32
	v_cmp_gt_i32_e64 s13, 0, v27
	v_and_b32_e32 v24, exec_lo, v24
	v_not_b32_e32 v27, v29
	v_ashrrev_i32_e32 v26, 31, v26
	v_xor_b32_e32 v25, vcc_lo, v25
	v_cmp_gt_i32_e32 vcc_lo, 0, v29
	v_dual_mov_b32 v37, v5 :: v_dual_and_b32 v24, v24, v32
	v_not_b32_e32 v29, v30
	v_ashrrev_i32_e32 v27, 31, v27
	v_xor_b32_e32 v26, s13, v26
	s_delay_alu instid0(VALU_DEP_4) | instskip(SKIP_3) | instid1(VALU_DEP_4)
	v_dual_mov_b32 v39, v3 :: v_dual_and_b32 v24, v24, v25
	v_cmp_gt_i32_e64 s13, 0, v30
	v_ashrrev_i32_e32 v29, 31, v29
	v_xor_b32_e32 v27, vcc_lo, v27
	v_and_b32_e32 v24, v24, v26
	v_mov_b32_e32 v36, v4
	v_mov_b32_e32 v38, v2
	v_xor_b32_e32 v29, s13, v29
	v_mov_b32_e32 v3, s20
	v_and_b32_e32 v27, v24, v27
	v_not_b32_e32 v26, v28
	v_cmp_gt_i32_e64 s13, 0, v28
	v_mov_b32_e32 v4, s21
	v_dual_mov_b32 v20, v52 :: v_dual_mov_b32 v21, v53
	v_dual_mov_b32 v28, v44 :: v_dual_and_b32 v35, v27, v29
	v_not_b32_e32 v25, v31
	v_cmp_gt_i32_e32 vcc_lo, 0, v31
	v_ashrrev_i32_e32 v32, 31, v26
	v_mov_b32_e32 v26, v46
	v_dual_mov_b32 v22, v50 :: v_dual_mov_b32 v23, v51
	v_ashrrev_i32_e32 v30, 31, v25
	s_delay_alu instid0(VALU_DEP_4) | instskip(SKIP_2) | instid1(VALU_DEP_4)
	v_xor_b32_e32 v32, s13, v32
	v_dual_mov_b32 v24, v48 :: v_dual_mov_b32 v25, v49
	v_mov_b32_e32 v27, v47
	v_xor_b32_e32 v34, vcc_lo, v30
	v_dual_mov_b32 v30, v42 :: v_dual_mov_b32 v29, v45
	v_mov_b32_e32 v31, v43
	buffer_gl0_inv
	v_and_b32_e32 v40, v35, v34
	v_dual_mov_b32 v35, v7 :: v_dual_mov_b32 v34, v6
	v_dual_mov_b32 v5, s16 :: v_dual_mov_b32 v6, s17
	s_delay_alu instid0(VALU_DEP_3)
	v_dual_mov_b32 v41, v1 :: v_dual_and_b32 v2, v40, v32
	v_mov_b32_e32 v40, v0
	v_and_b32_e32 v0, 0xff, v60
	ds_store_2addr_b64 v66, v[3:4], v[5:6] offset0:3 offset1:4
	ds_store_2addr_b64 v67, v[3:4], v[5:6] offset0:2 offset1:3
	v_mbcnt_lo_u32_b32 v32, v2, 0
	v_cmp_ne_u32_e64 s13, 0, v2
	s_waitcnt lgkmcnt(0)
	v_mad_u32_u24 v0, v0, 6, v81
	s_barrier
	v_cmp_eq_u32_e32 vcc_lo, 0, v32
	buffer_gl0_inv
	v_lshl_add_u32 v42, v0, 2, 24
	; wave barrier
	s_and_b32 s25, s13, vcc_lo
	s_delay_alu instid0(SALU_CYCLE_1)
	s_and_saveexec_b32 s13, s25
	s_cbranch_execz .LBB119_6
; %bb.5:                                ;   in Loop: Header=BB119_4 Depth=2
	v_bcnt_u32_b32 v0, v2, 0
	ds_store_b32 v42, v0
.LBB119_6:                              ;   in Loop: Header=BB119_4 Depth=2
	s_or_b32 exec_lo, exec_lo, s13
	v_lshrrev_b64 v[0:1], s22, v[22:23]
	; wave barrier
	s_delay_alu instid0(VALU_DEP_1)
	v_and_b32_e32 v2, 1, v0
	v_lshlrev_b32_e32 v3, 30, v0
	v_lshlrev_b32_e32 v4, 29, v0
	v_lshlrev_b32_e32 v5, 28, v0
	v_lshlrev_b32_e32 v7, 27, v0
	v_add_co_u32 v2, s13, v2, -1
	s_delay_alu instid0(VALU_DEP_1)
	v_cndmask_b32_e64 v6, 0, 1, s13
	v_not_b32_e32 v45, v3
	v_cmp_gt_i32_e64 s13, 0, v3
	v_not_b32_e32 v3, v4
	v_lshlrev_b32_e32 v43, 26, v0
	v_cmp_ne_u32_e32 vcc_lo, 0, v6
	v_ashrrev_i32_e32 v6, 31, v45
	v_lshlrev_b32_e32 v44, 25, v0
	v_ashrrev_i32_e32 v3, 31, v3
	v_and_b32_e32 v1, 0xff, v0
	v_xor_b32_e32 v2, vcc_lo, v2
	v_cmp_gt_i32_e32 vcc_lo, 0, v4
	v_not_b32_e32 v4, v5
	v_xor_b32_e32 v6, s13, v6
	v_cmp_gt_i32_e64 s13, 0, v5
	v_and_b32_e32 v2, exec_lo, v2
	v_not_b32_e32 v5, v7
	v_ashrrev_i32_e32 v4, 31, v4
	v_xor_b32_e32 v3, vcc_lo, v3
	v_cmp_gt_i32_e32 vcc_lo, 0, v7
	v_and_b32_e32 v2, v2, v6
	v_not_b32_e32 v6, v43
	v_ashrrev_i32_e32 v5, 31, v5
	v_xor_b32_e32 v4, s13, v4
	v_lshlrev_b32_e32 v0, 24, v0
	v_and_b32_e32 v2, v2, v3
	v_cmp_gt_i32_e64 s13, 0, v43
	v_not_b32_e32 v3, v44
	v_ashrrev_i32_e32 v6, 31, v6
	v_xor_b32_e32 v5, vcc_lo, v5
	v_and_b32_e32 v2, v2, v4
	v_cmp_gt_i32_e32 vcc_lo, 0, v44
	v_not_b32_e32 v4, v0
	v_ashrrev_i32_e32 v3, 31, v3
	v_xor_b32_e32 v6, s13, v6
	v_and_b32_e32 v2, v2, v5
	v_mul_u32_u24_e32 v1, 6, v1
	v_cmp_gt_i32_e64 s13, 0, v0
	v_ashrrev_i32_e32 v0, 31, v4
	v_xor_b32_e32 v3, vcc_lo, v3
	v_and_b32_e32 v2, v2, v6
	v_add_lshl_u32 v1, v1, v81, 2
	s_delay_alu instid0(VALU_DEP_4) | instskip(NEXT) | instid1(VALU_DEP_3)
	v_xor_b32_e32 v0, s13, v0
	v_and_b32_e32 v2, v2, v3
	ds_load_b32 v43, v1 offset:24
	v_add_nc_u32_e32 v45, 24, v1
	; wave barrier
	v_and_b32_e32 v0, v2, v0
	s_delay_alu instid0(VALU_DEP_1) | instskip(SKIP_1) | instid1(VALU_DEP_2)
	v_mbcnt_lo_u32_b32 v44, v0, 0
	v_cmp_ne_u32_e64 s13, 0, v0
	v_cmp_eq_u32_e32 vcc_lo, 0, v44
	s_delay_alu instid0(VALU_DEP_2) | instskip(NEXT) | instid1(SALU_CYCLE_1)
	s_and_b32 s25, s13, vcc_lo
	s_and_saveexec_b32 s13, s25
	s_cbranch_execz .LBB119_8
; %bb.7:                                ;   in Loop: Header=BB119_4 Depth=2
	s_waitcnt lgkmcnt(0)
	v_bcnt_u32_b32 v0, v0, v43
	ds_store_b32 v45, v0
.LBB119_8:                              ;   in Loop: Header=BB119_4 Depth=2
	s_or_b32 exec_lo, exec_lo, s13
	v_lshrrev_b64 v[0:1], s22, v[20:21]
	; wave barrier
	s_delay_alu instid0(VALU_DEP_1)
	v_and_b32_e32 v2, 1, v0
	v_lshlrev_b32_e32 v3, 30, v0
	v_lshlrev_b32_e32 v4, 29, v0
	;; [unrolled: 1-line block ×4, first 2 shown]
	v_add_co_u32 v2, s13, v2, -1
	s_delay_alu instid0(VALU_DEP_1)
	v_cndmask_b32_e64 v6, 0, 1, s13
	v_not_b32_e32 v48, v3
	v_cmp_gt_i32_e64 s13, 0, v3
	v_not_b32_e32 v3, v4
	v_lshlrev_b32_e32 v46, 26, v0
	v_cmp_ne_u32_e32 vcc_lo, 0, v6
	v_ashrrev_i32_e32 v6, 31, v48
	v_lshlrev_b32_e32 v47, 25, v0
	v_ashrrev_i32_e32 v3, 31, v3
	v_and_b32_e32 v1, 0xff, v0
	v_xor_b32_e32 v2, vcc_lo, v2
	v_cmp_gt_i32_e32 vcc_lo, 0, v4
	v_not_b32_e32 v4, v5
	v_xor_b32_e32 v6, s13, v6
	v_cmp_gt_i32_e64 s13, 0, v5
	v_and_b32_e32 v2, exec_lo, v2
	v_not_b32_e32 v5, v7
	v_ashrrev_i32_e32 v4, 31, v4
	v_xor_b32_e32 v3, vcc_lo, v3
	v_cmp_gt_i32_e32 vcc_lo, 0, v7
	v_and_b32_e32 v2, v2, v6
	v_not_b32_e32 v6, v46
	v_ashrrev_i32_e32 v5, 31, v5
	v_xor_b32_e32 v4, s13, v4
	v_lshlrev_b32_e32 v0, 24, v0
	v_and_b32_e32 v2, v2, v3
	v_cmp_gt_i32_e64 s13, 0, v46
	v_not_b32_e32 v3, v47
	v_ashrrev_i32_e32 v6, 31, v6
	v_xor_b32_e32 v5, vcc_lo, v5
	v_and_b32_e32 v2, v2, v4
	v_cmp_gt_i32_e32 vcc_lo, 0, v47
	v_not_b32_e32 v4, v0
	v_ashrrev_i32_e32 v3, 31, v3
	v_xor_b32_e32 v6, s13, v6
	v_and_b32_e32 v2, v2, v5
	v_mul_u32_u24_e32 v1, 6, v1
	v_cmp_gt_i32_e64 s13, 0, v0
	v_ashrrev_i32_e32 v0, 31, v4
	v_xor_b32_e32 v3, vcc_lo, v3
	v_and_b32_e32 v2, v2, v6
	v_add_lshl_u32 v1, v1, v81, 2
	s_delay_alu instid0(VALU_DEP_4) | instskip(NEXT) | instid1(VALU_DEP_3)
	v_xor_b32_e32 v0, s13, v0
	v_and_b32_e32 v2, v2, v3
	ds_load_b32 v46, v1 offset:24
	v_add_nc_u32_e32 v48, 24, v1
	; wave barrier
	v_and_b32_e32 v0, v2, v0
	s_delay_alu instid0(VALU_DEP_1) | instskip(SKIP_1) | instid1(VALU_DEP_2)
	v_mbcnt_lo_u32_b32 v47, v0, 0
	v_cmp_ne_u32_e64 s13, 0, v0
	v_cmp_eq_u32_e32 vcc_lo, 0, v47
	s_delay_alu instid0(VALU_DEP_2) | instskip(NEXT) | instid1(SALU_CYCLE_1)
	s_and_b32 s25, s13, vcc_lo
	s_and_saveexec_b32 s13, s25
	s_cbranch_execz .LBB119_10
; %bb.9:                                ;   in Loop: Header=BB119_4 Depth=2
	s_waitcnt lgkmcnt(0)
	v_bcnt_u32_b32 v0, v0, v46
	ds_store_b32 v48, v0
.LBB119_10:                             ;   in Loop: Header=BB119_4 Depth=2
	s_or_b32 exec_lo, exec_lo, s13
	v_lshrrev_b64 v[0:1], s22, v[16:17]
	; wave barrier
	s_delay_alu instid0(VALU_DEP_1)
	v_and_b32_e32 v2, 1, v0
	v_lshlrev_b32_e32 v3, 30, v0
	v_lshlrev_b32_e32 v4, 29, v0
	v_lshlrev_b32_e32 v5, 28, v0
	v_lshlrev_b32_e32 v7, 27, v0
	v_add_co_u32 v2, s13, v2, -1
	s_delay_alu instid0(VALU_DEP_1)
	v_cndmask_b32_e64 v6, 0, 1, s13
	v_not_b32_e32 v51, v3
	v_cmp_gt_i32_e64 s13, 0, v3
	v_not_b32_e32 v3, v4
	v_lshlrev_b32_e32 v49, 26, v0
	v_cmp_ne_u32_e32 vcc_lo, 0, v6
	v_ashrrev_i32_e32 v6, 31, v51
	v_lshlrev_b32_e32 v50, 25, v0
	v_ashrrev_i32_e32 v3, 31, v3
	v_and_b32_e32 v1, 0xff, v0
	v_xor_b32_e32 v2, vcc_lo, v2
	v_cmp_gt_i32_e32 vcc_lo, 0, v4
	v_not_b32_e32 v4, v5
	v_xor_b32_e32 v6, s13, v6
	v_cmp_gt_i32_e64 s13, 0, v5
	v_and_b32_e32 v2, exec_lo, v2
	v_not_b32_e32 v5, v7
	v_ashrrev_i32_e32 v4, 31, v4
	v_xor_b32_e32 v3, vcc_lo, v3
	v_cmp_gt_i32_e32 vcc_lo, 0, v7
	v_and_b32_e32 v2, v2, v6
	v_not_b32_e32 v6, v49
	v_ashrrev_i32_e32 v5, 31, v5
	v_xor_b32_e32 v4, s13, v4
	v_lshlrev_b32_e32 v0, 24, v0
	v_and_b32_e32 v2, v2, v3
	v_cmp_gt_i32_e64 s13, 0, v49
	v_not_b32_e32 v3, v50
	v_ashrrev_i32_e32 v6, 31, v6
	v_xor_b32_e32 v5, vcc_lo, v5
	v_and_b32_e32 v2, v2, v4
	v_cmp_gt_i32_e32 vcc_lo, 0, v50
	v_not_b32_e32 v4, v0
	v_ashrrev_i32_e32 v3, 31, v3
	v_xor_b32_e32 v6, s13, v6
	v_and_b32_e32 v2, v2, v5
	v_mul_u32_u24_e32 v1, 6, v1
	v_cmp_gt_i32_e64 s13, 0, v0
	v_ashrrev_i32_e32 v0, 31, v4
	v_xor_b32_e32 v3, vcc_lo, v3
	v_and_b32_e32 v2, v2, v6
	v_add_lshl_u32 v1, v1, v81, 2
	s_delay_alu instid0(VALU_DEP_4) | instskip(NEXT) | instid1(VALU_DEP_3)
	v_xor_b32_e32 v0, s13, v0
	v_and_b32_e32 v2, v2, v3
	ds_load_b32 v49, v1 offset:24
	v_add_nc_u32_e32 v51, 24, v1
	; wave barrier
	v_and_b32_e32 v0, v2, v0
	s_delay_alu instid0(VALU_DEP_1) | instskip(SKIP_1) | instid1(VALU_DEP_2)
	v_mbcnt_lo_u32_b32 v50, v0, 0
	v_cmp_ne_u32_e64 s13, 0, v0
	v_cmp_eq_u32_e32 vcc_lo, 0, v50
	s_delay_alu instid0(VALU_DEP_2) | instskip(NEXT) | instid1(SALU_CYCLE_1)
	s_and_b32 s25, s13, vcc_lo
	s_and_saveexec_b32 s13, s25
	s_cbranch_execz .LBB119_12
; %bb.11:                               ;   in Loop: Header=BB119_4 Depth=2
	s_waitcnt lgkmcnt(0)
	v_bcnt_u32_b32 v0, v0, v49
	ds_store_b32 v51, v0
.LBB119_12:                             ;   in Loop: Header=BB119_4 Depth=2
	s_or_b32 exec_lo, exec_lo, s13
	v_lshrrev_b64 v[0:1], s22, v[14:15]
	; wave barrier
	s_delay_alu instid0(VALU_DEP_1)
	v_and_b32_e32 v2, 1, v0
	v_lshlrev_b32_e32 v3, 30, v0
	v_lshlrev_b32_e32 v4, 29, v0
	;; [unrolled: 1-line block ×4, first 2 shown]
	v_add_co_u32 v2, s13, v2, -1
	s_delay_alu instid0(VALU_DEP_1)
	v_cndmask_b32_e64 v6, 0, 1, s13
	v_not_b32_e32 v54, v3
	v_cmp_gt_i32_e64 s13, 0, v3
	v_not_b32_e32 v3, v4
	v_lshlrev_b32_e32 v52, 26, v0
	v_cmp_ne_u32_e32 vcc_lo, 0, v6
	v_ashrrev_i32_e32 v6, 31, v54
	v_lshlrev_b32_e32 v53, 25, v0
	v_ashrrev_i32_e32 v3, 31, v3
	v_and_b32_e32 v1, 0xff, v0
	v_xor_b32_e32 v2, vcc_lo, v2
	v_cmp_gt_i32_e32 vcc_lo, 0, v4
	v_not_b32_e32 v4, v5
	v_xor_b32_e32 v6, s13, v6
	v_cmp_gt_i32_e64 s13, 0, v5
	v_and_b32_e32 v2, exec_lo, v2
	v_not_b32_e32 v5, v7
	v_ashrrev_i32_e32 v4, 31, v4
	v_xor_b32_e32 v3, vcc_lo, v3
	v_cmp_gt_i32_e32 vcc_lo, 0, v7
	v_and_b32_e32 v2, v2, v6
	v_not_b32_e32 v6, v52
	v_ashrrev_i32_e32 v5, 31, v5
	v_xor_b32_e32 v4, s13, v4
	v_lshlrev_b32_e32 v0, 24, v0
	v_and_b32_e32 v2, v2, v3
	v_cmp_gt_i32_e64 s13, 0, v52
	v_not_b32_e32 v3, v53
	v_ashrrev_i32_e32 v6, 31, v6
	v_xor_b32_e32 v5, vcc_lo, v5
	v_and_b32_e32 v2, v2, v4
	v_cmp_gt_i32_e32 vcc_lo, 0, v53
	v_not_b32_e32 v4, v0
	v_ashrrev_i32_e32 v3, 31, v3
	v_xor_b32_e32 v6, s13, v6
	v_and_b32_e32 v2, v2, v5
	v_mul_u32_u24_e32 v1, 6, v1
	v_cmp_gt_i32_e64 s13, 0, v0
	v_ashrrev_i32_e32 v0, 31, v4
	v_xor_b32_e32 v3, vcc_lo, v3
	v_and_b32_e32 v2, v2, v6
	v_add_lshl_u32 v1, v1, v81, 2
	s_delay_alu instid0(VALU_DEP_4) | instskip(NEXT) | instid1(VALU_DEP_3)
	v_xor_b32_e32 v0, s13, v0
	v_and_b32_e32 v2, v2, v3
	ds_load_b32 v52, v1 offset:24
	v_add_nc_u32_e32 v54, 24, v1
	; wave barrier
	v_and_b32_e32 v0, v2, v0
	s_delay_alu instid0(VALU_DEP_1) | instskip(SKIP_1) | instid1(VALU_DEP_2)
	v_mbcnt_lo_u32_b32 v53, v0, 0
	v_cmp_ne_u32_e64 s13, 0, v0
	v_cmp_eq_u32_e32 vcc_lo, 0, v53
	s_delay_alu instid0(VALU_DEP_2) | instskip(NEXT) | instid1(SALU_CYCLE_1)
	s_and_b32 s25, s13, vcc_lo
	s_and_saveexec_b32 s13, s25
	s_cbranch_execz .LBB119_14
; %bb.13:                               ;   in Loop: Header=BB119_4 Depth=2
	s_waitcnt lgkmcnt(0)
	v_bcnt_u32_b32 v0, v0, v52
	ds_store_b32 v54, v0
.LBB119_14:                             ;   in Loop: Header=BB119_4 Depth=2
	s_or_b32 exec_lo, exec_lo, s13
	v_lshrrev_b64 v[0:1], s22, v[12:13]
	; wave barrier
	s_delay_alu instid0(VALU_DEP_1)
	v_and_b32_e32 v2, 1, v0
	v_lshlrev_b32_e32 v3, 30, v0
	v_lshlrev_b32_e32 v4, 29, v0
	;; [unrolled: 1-line block ×4, first 2 shown]
	v_add_co_u32 v2, s13, v2, -1
	s_delay_alu instid0(VALU_DEP_1)
	v_cndmask_b32_e64 v6, 0, 1, s13
	v_not_b32_e32 v57, v3
	v_cmp_gt_i32_e64 s13, 0, v3
	v_not_b32_e32 v3, v4
	v_lshlrev_b32_e32 v55, 26, v0
	v_cmp_ne_u32_e32 vcc_lo, 0, v6
	v_ashrrev_i32_e32 v6, 31, v57
	v_lshlrev_b32_e32 v56, 25, v0
	v_ashrrev_i32_e32 v3, 31, v3
	v_and_b32_e32 v1, 0xff, v0
	v_xor_b32_e32 v2, vcc_lo, v2
	v_cmp_gt_i32_e32 vcc_lo, 0, v4
	v_not_b32_e32 v4, v5
	v_xor_b32_e32 v6, s13, v6
	v_cmp_gt_i32_e64 s13, 0, v5
	v_and_b32_e32 v2, exec_lo, v2
	v_not_b32_e32 v5, v7
	v_ashrrev_i32_e32 v4, 31, v4
	v_xor_b32_e32 v3, vcc_lo, v3
	v_cmp_gt_i32_e32 vcc_lo, 0, v7
	v_and_b32_e32 v2, v2, v6
	v_not_b32_e32 v6, v55
	v_ashrrev_i32_e32 v5, 31, v5
	v_xor_b32_e32 v4, s13, v4
	v_lshlrev_b32_e32 v0, 24, v0
	v_and_b32_e32 v2, v2, v3
	v_cmp_gt_i32_e64 s13, 0, v55
	v_not_b32_e32 v3, v56
	v_ashrrev_i32_e32 v6, 31, v6
	v_xor_b32_e32 v5, vcc_lo, v5
	v_and_b32_e32 v2, v2, v4
	v_cmp_gt_i32_e32 vcc_lo, 0, v56
	v_not_b32_e32 v4, v0
	v_ashrrev_i32_e32 v3, 31, v3
	v_xor_b32_e32 v6, s13, v6
	v_and_b32_e32 v2, v2, v5
	v_mul_u32_u24_e32 v1, 6, v1
	v_cmp_gt_i32_e64 s13, 0, v0
	v_ashrrev_i32_e32 v0, 31, v4
	v_xor_b32_e32 v3, vcc_lo, v3
	v_and_b32_e32 v2, v2, v6
	v_add_lshl_u32 v1, v1, v81, 2
	s_delay_alu instid0(VALU_DEP_4) | instskip(NEXT) | instid1(VALU_DEP_3)
	v_xor_b32_e32 v0, s13, v0
	v_and_b32_e32 v2, v2, v3
	ds_load_b32 v55, v1 offset:24
	v_add_nc_u32_e32 v57, 24, v1
	; wave barrier
	v_and_b32_e32 v0, v2, v0
	s_delay_alu instid0(VALU_DEP_1) | instskip(SKIP_1) | instid1(VALU_DEP_2)
	v_mbcnt_lo_u32_b32 v56, v0, 0
	v_cmp_ne_u32_e64 s13, 0, v0
	v_cmp_eq_u32_e32 vcc_lo, 0, v56
	s_delay_alu instid0(VALU_DEP_2) | instskip(NEXT) | instid1(SALU_CYCLE_1)
	s_and_b32 s25, s13, vcc_lo
	s_and_saveexec_b32 s13, s25
	s_cbranch_execz .LBB119_16
; %bb.15:                               ;   in Loop: Header=BB119_4 Depth=2
	s_waitcnt lgkmcnt(0)
	v_bcnt_u32_b32 v0, v0, v55
	ds_store_b32 v57, v0
.LBB119_16:                             ;   in Loop: Header=BB119_4 Depth=2
	s_or_b32 exec_lo, exec_lo, s13
	v_lshrrev_b64 v[0:1], s22, v[10:11]
	; wave barrier
	s_delay_alu instid0(VALU_DEP_1)
	v_and_b32_e32 v2, 1, v0
	v_lshlrev_b32_e32 v3, 30, v0
	v_lshlrev_b32_e32 v4, 29, v0
	;; [unrolled: 1-line block ×4, first 2 shown]
	v_add_co_u32 v2, s13, v2, -1
	s_delay_alu instid0(VALU_DEP_1)
	v_cndmask_b32_e64 v6, 0, 1, s13
	v_not_b32_e32 v60, v3
	v_cmp_gt_i32_e64 s13, 0, v3
	v_not_b32_e32 v3, v4
	v_lshlrev_b32_e32 v58, 26, v0
	v_cmp_ne_u32_e32 vcc_lo, 0, v6
	v_ashrrev_i32_e32 v6, 31, v60
	v_lshlrev_b32_e32 v59, 25, v0
	v_ashrrev_i32_e32 v3, 31, v3
	v_and_b32_e32 v1, 0xff, v0
	v_xor_b32_e32 v2, vcc_lo, v2
	v_cmp_gt_i32_e32 vcc_lo, 0, v4
	v_not_b32_e32 v4, v5
	v_xor_b32_e32 v6, s13, v6
	v_cmp_gt_i32_e64 s13, 0, v5
	v_and_b32_e32 v2, exec_lo, v2
	v_not_b32_e32 v5, v7
	v_ashrrev_i32_e32 v4, 31, v4
	v_xor_b32_e32 v3, vcc_lo, v3
	v_cmp_gt_i32_e32 vcc_lo, 0, v7
	v_and_b32_e32 v2, v2, v6
	v_not_b32_e32 v6, v58
	v_ashrrev_i32_e32 v5, 31, v5
	v_xor_b32_e32 v4, s13, v4
	v_lshlrev_b32_e32 v0, 24, v0
	v_and_b32_e32 v2, v2, v3
	v_cmp_gt_i32_e64 s13, 0, v58
	v_not_b32_e32 v3, v59
	v_ashrrev_i32_e32 v6, 31, v6
	v_xor_b32_e32 v5, vcc_lo, v5
	v_and_b32_e32 v2, v2, v4
	v_cmp_gt_i32_e32 vcc_lo, 0, v59
	v_not_b32_e32 v4, v0
	v_ashrrev_i32_e32 v3, 31, v3
	v_xor_b32_e32 v6, s13, v6
	v_and_b32_e32 v2, v2, v5
	v_mul_u32_u24_e32 v1, 6, v1
	v_cmp_gt_i32_e64 s13, 0, v0
	v_ashrrev_i32_e32 v0, 31, v4
	v_xor_b32_e32 v3, vcc_lo, v3
	v_and_b32_e32 v2, v2, v6
	v_add_lshl_u32 v1, v1, v81, 2
	s_delay_alu instid0(VALU_DEP_4) | instskip(NEXT) | instid1(VALU_DEP_3)
	v_xor_b32_e32 v0, s13, v0
	v_and_b32_e32 v2, v2, v3
	ds_load_b32 v58, v1 offset:24
	v_add_nc_u32_e32 v60, 24, v1
	; wave barrier
	v_and_b32_e32 v0, v2, v0
	s_delay_alu instid0(VALU_DEP_1) | instskip(SKIP_1) | instid1(VALU_DEP_2)
	v_mbcnt_lo_u32_b32 v59, v0, 0
	v_cmp_ne_u32_e64 s13, 0, v0
	v_cmp_eq_u32_e32 vcc_lo, 0, v59
	s_delay_alu instid0(VALU_DEP_2) | instskip(NEXT) | instid1(SALU_CYCLE_1)
	s_and_b32 s25, s13, vcc_lo
	s_and_saveexec_b32 s13, s25
	s_cbranch_execz .LBB119_18
; %bb.17:                               ;   in Loop: Header=BB119_4 Depth=2
	s_waitcnt lgkmcnt(0)
	v_bcnt_u32_b32 v0, v0, v58
	ds_store_b32 v60, v0
.LBB119_18:                             ;   in Loop: Header=BB119_4 Depth=2
	s_or_b32 exec_lo, exec_lo, s13
	v_lshrrev_b64 v[0:1], s22, v[8:9]
	; wave barrier
	s_delay_alu instid0(VALU_DEP_1)
	v_and_b32_e32 v2, 1, v0
	v_lshlrev_b32_e32 v3, 30, v0
	v_lshlrev_b32_e32 v4, 29, v0
	v_lshlrev_b32_e32 v5, 28, v0
	v_lshlrev_b32_e32 v7, 27, v0
	v_add_co_u32 v2, s13, v2, -1
	s_delay_alu instid0(VALU_DEP_1)
	v_cndmask_b32_e64 v6, 0, 1, s13
	v_not_b32_e32 v63, v3
	v_cmp_gt_i32_e64 s13, 0, v3
	v_not_b32_e32 v3, v4
	v_lshlrev_b32_e32 v61, 26, v0
	v_cmp_ne_u32_e32 vcc_lo, 0, v6
	v_ashrrev_i32_e32 v6, 31, v63
	v_lshlrev_b32_e32 v62, 25, v0
	v_ashrrev_i32_e32 v3, 31, v3
	v_and_b32_e32 v1, 0xff, v0
	v_xor_b32_e32 v2, vcc_lo, v2
	v_cmp_gt_i32_e32 vcc_lo, 0, v4
	v_not_b32_e32 v4, v5
	v_xor_b32_e32 v6, s13, v6
	v_cmp_gt_i32_e64 s13, 0, v5
	v_and_b32_e32 v2, exec_lo, v2
	v_not_b32_e32 v5, v7
	v_ashrrev_i32_e32 v4, 31, v4
	v_xor_b32_e32 v3, vcc_lo, v3
	v_cmp_gt_i32_e32 vcc_lo, 0, v7
	v_and_b32_e32 v2, v2, v6
	v_not_b32_e32 v6, v61
	v_ashrrev_i32_e32 v5, 31, v5
	v_xor_b32_e32 v4, s13, v4
	v_lshlrev_b32_e32 v0, 24, v0
	v_and_b32_e32 v2, v2, v3
	v_cmp_gt_i32_e64 s13, 0, v61
	v_not_b32_e32 v3, v62
	v_ashrrev_i32_e32 v6, 31, v6
	v_xor_b32_e32 v5, vcc_lo, v5
	v_and_b32_e32 v2, v2, v4
	v_cmp_gt_i32_e32 vcc_lo, 0, v62
	v_not_b32_e32 v4, v0
	v_ashrrev_i32_e32 v3, 31, v3
	v_xor_b32_e32 v6, s13, v6
	v_and_b32_e32 v2, v2, v5
	v_mul_u32_u24_e32 v1, 6, v1
	v_cmp_gt_i32_e64 s13, 0, v0
	v_ashrrev_i32_e32 v0, 31, v4
	v_xor_b32_e32 v3, vcc_lo, v3
	v_and_b32_e32 v2, v2, v6
	v_add_lshl_u32 v1, v1, v81, 2
	s_delay_alu instid0(VALU_DEP_4) | instskip(NEXT) | instid1(VALU_DEP_3)
	v_xor_b32_e32 v0, s13, v0
	v_and_b32_e32 v2, v2, v3
	ds_load_b32 v61, v1 offset:24
	v_add_nc_u32_e32 v63, 24, v1
	; wave barrier
	v_and_b32_e32 v0, v2, v0
	s_delay_alu instid0(VALU_DEP_1) | instskip(SKIP_1) | instid1(VALU_DEP_2)
	v_mbcnt_lo_u32_b32 v62, v0, 0
	v_cmp_ne_u32_e64 s13, 0, v0
	v_cmp_eq_u32_e32 vcc_lo, 0, v62
	s_delay_alu instid0(VALU_DEP_2) | instskip(NEXT) | instid1(SALU_CYCLE_1)
	s_and_b32 s25, s13, vcc_lo
	s_and_saveexec_b32 s13, s25
	s_cbranch_execz .LBB119_20
; %bb.19:                               ;   in Loop: Header=BB119_4 Depth=2
	s_waitcnt lgkmcnt(0)
	v_bcnt_u32_b32 v0, v0, v61
	ds_store_b32 v63, v0
.LBB119_20:                             ;   in Loop: Header=BB119_4 Depth=2
	s_or_b32 exec_lo, exec_lo, s13
	; wave barrier
	s_waitcnt lgkmcnt(0)
	s_barrier
	buffer_gl0_inv
	ds_load_2addr_b64 v[4:7], v66 offset0:3 offset1:4
	ds_load_2addr_b64 v[0:3], v67 offset0:2 offset1:3
	s_waitcnt lgkmcnt(1)
	v_add_nc_u32_e32 v64, v5, v4
	s_delay_alu instid0(VALU_DEP_1) | instskip(SKIP_1) | instid1(VALU_DEP_1)
	v_add3_u32 v64, v64, v6, v7
	s_waitcnt lgkmcnt(0)
	v_add3_u32 v64, v64, v0, v1
	s_delay_alu instid0(VALU_DEP_1) | instskip(NEXT) | instid1(VALU_DEP_1)
	v_add3_u32 v3, v64, v2, v3
	v_mov_b32_dpp v64, v3 row_shr:1 row_mask:0xf bank_mask:0xf
	s_delay_alu instid0(VALU_DEP_1) | instskip(NEXT) | instid1(VALU_DEP_1)
	v_cndmask_b32_e64 v64, v64, 0, s1
	v_add_nc_u32_e32 v3, v64, v3
	s_delay_alu instid0(VALU_DEP_1) | instskip(NEXT) | instid1(VALU_DEP_1)
	v_mov_b32_dpp v64, v3 row_shr:2 row_mask:0xf bank_mask:0xf
	v_cndmask_b32_e64 v64, 0, v64, s2
	s_delay_alu instid0(VALU_DEP_1) | instskip(NEXT) | instid1(VALU_DEP_1)
	v_add_nc_u32_e32 v3, v3, v64
	v_mov_b32_dpp v64, v3 row_shr:4 row_mask:0xf bank_mask:0xf
	s_delay_alu instid0(VALU_DEP_1) | instskip(NEXT) | instid1(VALU_DEP_1)
	v_cndmask_b32_e64 v64, 0, v64, s3
	v_add_nc_u32_e32 v3, v3, v64
	s_delay_alu instid0(VALU_DEP_1) | instskip(NEXT) | instid1(VALU_DEP_1)
	v_mov_b32_dpp v64, v3 row_shr:8 row_mask:0xf bank_mask:0xf
	v_cndmask_b32_e64 v64, 0, v64, s4
	s_delay_alu instid0(VALU_DEP_1) | instskip(SKIP_3) | instid1(VALU_DEP_1)
	v_add_nc_u32_e32 v3, v3, v64
	ds_swizzle_b32 v64, v3 offset:swizzle(BROADCAST,32,15)
	s_waitcnt lgkmcnt(0)
	v_cndmask_b32_e64 v64, v64, 0, s5
	v_add_nc_u32_e32 v3, v3, v64
	s_and_saveexec_b32 s13, s12
	s_cbranch_execz .LBB119_22
; %bb.21:                               ;   in Loop: Header=BB119_4 Depth=2
	ds_store_b32 v69, v3
.LBB119_22:                             ;   in Loop: Header=BB119_4 Depth=2
	s_or_b32 exec_lo, exec_lo, s13
	s_waitcnt lgkmcnt(0)
	s_barrier
	buffer_gl0_inv
	s_and_saveexec_b32 s13, s6
	s_cbranch_execz .LBB119_24
; %bb.23:                               ;   in Loop: Header=BB119_4 Depth=2
	ds_load_b32 v64, v82
	s_waitcnt lgkmcnt(0)
	v_mov_b32_dpp v65, v64 row_shr:1 row_mask:0xf bank_mask:0xf
	s_delay_alu instid0(VALU_DEP_1) | instskip(NEXT) | instid1(VALU_DEP_1)
	v_cndmask_b32_e64 v65, v65, 0, s9
	v_add_nc_u32_e32 v64, v65, v64
	s_delay_alu instid0(VALU_DEP_1) | instskip(NEXT) | instid1(VALU_DEP_1)
	v_mov_b32_dpp v65, v64 row_shr:2 row_mask:0xf bank_mask:0xf
	v_cndmask_b32_e64 v65, 0, v65, s10
	s_delay_alu instid0(VALU_DEP_1) | instskip(NEXT) | instid1(VALU_DEP_1)
	v_add_nc_u32_e32 v64, v64, v65
	v_mov_b32_dpp v65, v64 row_shr:4 row_mask:0xf bank_mask:0xf
	s_delay_alu instid0(VALU_DEP_1) | instskip(NEXT) | instid1(VALU_DEP_1)
	v_cndmask_b32_e64 v65, 0, v65, s11
	v_add_nc_u32_e32 v64, v64, v65
	ds_store_b32 v82, v64
.LBB119_24:                             ;   in Loop: Header=BB119_4 Depth=2
	s_or_b32 exec_lo, exec_lo, s13
	v_mov_b32_e32 v64, 0
	s_waitcnt lgkmcnt(0)
	s_barrier
	buffer_gl0_inv
	s_and_saveexec_b32 s13, s7
	s_cbranch_execz .LBB119_26
; %bb.25:                               ;   in Loop: Header=BB119_4 Depth=2
	ds_load_b32 v64, v71
.LBB119_26:                             ;   in Loop: Header=BB119_4 Depth=2
	s_or_b32 exec_lo, exec_lo, s13
	s_waitcnt lgkmcnt(0)
	v_add_nc_u32_e32 v3, v64, v3
	s_cmp_gt_u32 s22, 55
	ds_bpermute_b32 v3, v68, v3
	s_waitcnt lgkmcnt(0)
	v_cndmask_b32_e64 v3, v3, v64, s0
	s_delay_alu instid0(VALU_DEP_1) | instskip(NEXT) | instid1(VALU_DEP_1)
	v_cndmask_b32_e64 v3, v3, 0, s8
	v_add_nc_u32_e32 v4, v3, v4
	s_delay_alu instid0(VALU_DEP_1) | instskip(NEXT) | instid1(VALU_DEP_1)
	v_add_nc_u32_e32 v5, v4, v5
	v_add_nc_u32_e32 v6, v5, v6
	s_delay_alu instid0(VALU_DEP_1) | instskip(NEXT) | instid1(VALU_DEP_1)
	v_add_nc_u32_e32 v64, v6, v7
	;; [unrolled: 3-line block ×3, first 2 shown]
	v_add_nc_u32_e32 v1, v0, v2
	ds_store_2addr_b64 v66, v[3:4], v[5:6] offset0:3 offset1:4
	ds_store_2addr_b64 v67, v[64:65], v[0:1] offset0:2 offset1:3
	s_waitcnt lgkmcnt(0)
	s_barrier
	buffer_gl0_inv
	ds_load_b32 v0, v42
	ds_load_b32 v1, v45
	;; [unrolled: 1-line block ×8, first 2 shown]
	s_waitcnt lgkmcnt(7)
	v_add_nc_u32_e32 v87, v0, v32
	s_waitcnt lgkmcnt(6)
	v_add3_u32 v88, v44, v43, v1
	s_waitcnt lgkmcnt(5)
	v_add3_u32 v89, v47, v46, v2
	;; [unrolled: 2-line block ×7, first 2 shown]
	s_cbranch_scc0 .LBB119_3
; %bb.27:                               ;   in Loop: Header=BB119_2 Depth=1
                                        ; implicit-def: $vgpr64_vgpr65
                                        ; implicit-def: $vgpr62_vgpr63
                                        ; implicit-def: $vgpr58_vgpr59
                                        ; implicit-def: $vgpr56_vgpr57
                                        ; implicit-def: $vgpr54_vgpr55
                                        ; implicit-def: $vgpr52_vgpr53
                                        ; implicit-def: $vgpr50_vgpr51
                                        ; implicit-def: $vgpr60_vgpr61
                                        ; implicit-def: $vgpr48_vgpr49
                                        ; implicit-def: $vgpr46_vgpr47
                                        ; implicit-def: $vgpr44_vgpr45
                                        ; implicit-def: $vgpr42_vgpr43
                                        ; implicit-def: $vgpr6_vgpr7
                                        ; implicit-def: $vgpr4_vgpr5
                                        ; implicit-def: $vgpr2_vgpr3
                                        ; implicit-def: $vgpr0_vgpr1
                                        ; implicit-def: $sgpr22_sgpr23
	s_branch .LBB119_1
.LBB119_28:
	s_waitcnt lgkmcnt(3)
	v_add_co_u32 v13, vcc_lo, v13, v21
	v_add_co_ci_u32_e32 v14, vcc_lo, v14, v22, vcc_lo
	v_add_co_u32 v15, vcc_lo, v15, v23
	v_add_co_ci_u32_e32 v16, vcc_lo, v16, v24, vcc_lo
	s_waitcnt lgkmcnt(2)
	v_add_co_u32 v9, vcc_lo, v9, v25
	v_add_co_ci_u32_e32 v10, vcc_lo, v10, v26, vcc_lo
	v_add_co_u32 v11, vcc_lo, v11, v27
	v_add_co_ci_u32_e32 v12, vcc_lo, v12, v28, vcc_lo
	s_waitcnt lgkmcnt(1)
	v_add_co_u32 v5, vcc_lo, v5, v29
	v_add_co_ci_u32_e32 v6, vcc_lo, v6, v30, vcc_lo
	v_lshlrev_b32_e32 v21, 3, v33
	v_add_co_u32 v7, vcc_lo, v7, v31
	v_add_co_ci_u32_e32 v8, vcc_lo, v8, v32, vcc_lo
	s_add_u32 s0, s18, s14
	s_waitcnt lgkmcnt(0)
	v_add_co_u32 v0, vcc_lo, v1, v17
	s_addc_u32 s1, s19, s15
	v_add_co_u32 v22, s2, s0, v21
	v_add_co_ci_u32_e32 v1, vcc_lo, v2, v18, vcc_lo
	v_add_co_ci_u32_e64 v23, null, s1, 0, s2
	v_add_co_u32 v2, vcc_lo, v3, v19
	v_add_co_ci_u32_e32 v3, vcc_lo, v4, v20, vcc_lo
	v_add_co_u32 v17, vcc_lo, 0x1000, v22
	s_delay_alu instid0(VALU_DEP_4)
	v_add_co_ci_u32_e32 v18, vcc_lo, 0, v23, vcc_lo
	v_add_co_u32 v19, vcc_lo, 0x2000, v22
	v_add_co_ci_u32_e32 v20, vcc_lo, 0, v23, vcc_lo
	s_clause 0x7
	global_store_b64 v21, v[13:14], s[0:1]
	global_store_b64 v21, v[15:16], s[0:1] offset:1536
	global_store_b64 v21, v[9:10], s[0:1] offset:3072
	global_store_b64 v[17:18], v[11:12], off offset:512
	global_store_b64 v[17:18], v[5:6], off offset:2048
	;; [unrolled: 1-line block ×5, first 2 shown]
	s_nop 0
	s_sendmsg sendmsg(MSG_DEALLOC_VGPRS)
	s_endpgm
	.section	.rodata,"a",@progbits
	.p2align	6, 0x0
	.amdhsa_kernel _Z17sort_pairs_kernelI22helper_blocked_blockedxLj192ELj8ELj10EEvPKT0_PS1_
		.amdhsa_group_segment_fixed_size 12672
		.amdhsa_private_segment_fixed_size 0
		.amdhsa_kernarg_size 272
		.amdhsa_user_sgpr_count 15
		.amdhsa_user_sgpr_dispatch_ptr 0
		.amdhsa_user_sgpr_queue_ptr 0
		.amdhsa_user_sgpr_kernarg_segment_ptr 1
		.amdhsa_user_sgpr_dispatch_id 0
		.amdhsa_user_sgpr_private_segment_size 0
		.amdhsa_wavefront_size32 1
		.amdhsa_uses_dynamic_stack 0
		.amdhsa_enable_private_segment 0
		.amdhsa_system_sgpr_workgroup_id_x 1
		.amdhsa_system_sgpr_workgroup_id_y 0
		.amdhsa_system_sgpr_workgroup_id_z 0
		.amdhsa_system_sgpr_workgroup_info 0
		.amdhsa_system_vgpr_workitem_id 2
		.amdhsa_next_free_vgpr 90
		.amdhsa_next_free_sgpr 26
		.amdhsa_reserve_vcc 1
		.amdhsa_float_round_mode_32 0
		.amdhsa_float_round_mode_16_64 0
		.amdhsa_float_denorm_mode_32 3
		.amdhsa_float_denorm_mode_16_64 3
		.amdhsa_dx10_clamp 1
		.amdhsa_ieee_mode 1
		.amdhsa_fp16_overflow 0
		.amdhsa_workgroup_processor_mode 1
		.amdhsa_memory_ordered 1
		.amdhsa_forward_progress 0
		.amdhsa_shared_vgpr_count 0
		.amdhsa_exception_fp_ieee_invalid_op 0
		.amdhsa_exception_fp_denorm_src 0
		.amdhsa_exception_fp_ieee_div_zero 0
		.amdhsa_exception_fp_ieee_overflow 0
		.amdhsa_exception_fp_ieee_underflow 0
		.amdhsa_exception_fp_ieee_inexact 0
		.amdhsa_exception_int_div_zero 0
	.end_amdhsa_kernel
	.section	.text._Z17sort_pairs_kernelI22helper_blocked_blockedxLj192ELj8ELj10EEvPKT0_PS1_,"axG",@progbits,_Z17sort_pairs_kernelI22helper_blocked_blockedxLj192ELj8ELj10EEvPKT0_PS1_,comdat
.Lfunc_end119:
	.size	_Z17sort_pairs_kernelI22helper_blocked_blockedxLj192ELj8ELj10EEvPKT0_PS1_, .Lfunc_end119-_Z17sort_pairs_kernelI22helper_blocked_blockedxLj192ELj8ELj10EEvPKT0_PS1_
                                        ; -- End function
	.section	.AMDGPU.csdata,"",@progbits
; Kernel info:
; codeLenInByte = 5800
; NumSgprs: 28
; NumVgprs: 90
; ScratchSize: 0
; MemoryBound: 0
; FloatMode: 240
; IeeeMode: 1
; LDSByteSize: 12672 bytes/workgroup (compile time only)
; SGPRBlocks: 3
; VGPRBlocks: 11
; NumSGPRsForWavesPerEU: 28
; NumVGPRsForWavesPerEU: 90
; Occupancy: 15
; WaveLimiterHint : 1
; COMPUTE_PGM_RSRC2:SCRATCH_EN: 0
; COMPUTE_PGM_RSRC2:USER_SGPR: 15
; COMPUTE_PGM_RSRC2:TRAP_HANDLER: 0
; COMPUTE_PGM_RSRC2:TGID_X_EN: 1
; COMPUTE_PGM_RSRC2:TGID_Y_EN: 0
; COMPUTE_PGM_RSRC2:TGID_Z_EN: 0
; COMPUTE_PGM_RSRC2:TIDIG_COMP_CNT: 2
	.section	.text._Z16sort_keys_kernelI22helper_blocked_blockedxLj256ELj1ELj10EEvPKT0_PS1_,"axG",@progbits,_Z16sort_keys_kernelI22helper_blocked_blockedxLj256ELj1ELj10EEvPKT0_PS1_,comdat
	.protected	_Z16sort_keys_kernelI22helper_blocked_blockedxLj256ELj1ELj10EEvPKT0_PS1_ ; -- Begin function _Z16sort_keys_kernelI22helper_blocked_blockedxLj256ELj1ELj10EEvPKT0_PS1_
	.globl	_Z16sort_keys_kernelI22helper_blocked_blockedxLj256ELj1ELj10EEvPKT0_PS1_
	.p2align	8
	.type	_Z16sort_keys_kernelI22helper_blocked_blockedxLj256ELj1ELj10EEvPKT0_PS1_,@function
_Z16sort_keys_kernelI22helper_blocked_blockedxLj256ELj1ELj10EEvPKT0_PS1_: ; @_Z16sort_keys_kernelI22helper_blocked_blockedxLj256ELj1ELj10EEvPKT0_PS1_
; %bb.0:
	s_clause 0x1
	s_load_b128 s[16:19], s[0:1], 0x0
	s_load_b32 s12, s[0:1], 0x1c
	v_and_b32_e32 v8, 0x3ff, v0
	s_mov_b32 s21, 0
	s_lshl_b32 s20, s15, 8
	v_mbcnt_lo_u32_b32 v5, -1, 0
	s_lshl_b64 s[14:15], s[20:21], 3
	v_lshlrev_b32_e32 v1, 3, v8
	v_bfe_u32 v3, v0, 10, 10
	v_bfe_u32 v0, v0, 20, 10
	s_mov_b32 s20, s21
	v_and_b32_e32 v6, 16, v5
	v_add_nc_u32_e32 v7, -1, v5
	v_dual_mov_b32 v11, s20 :: v_dual_and_b32 v4, 15, v5
	v_dual_mov_b32 v12, s21 :: v_dual_and_b32 v13, 7, v5
	s_delay_alu instid0(VALU_DEP_4) | instskip(NEXT) | instid1(VALU_DEP_4)
	v_cmp_eq_u32_e64 s5, 0, v6
	v_cmp_gt_i32_e32 vcc_lo, 0, v7
	s_delay_alu instid0(VALU_DEP_4)
	v_cmp_lt_u32_e64 s2, 1, v4
	s_waitcnt lgkmcnt(0)
	s_add_u32 s0, s16, s14
	s_addc_u32 s1, s17, s15
	s_lshr_b32 s13, s12, 16
	global_load_b64 v[1:2], v1, s[0:1]
	s_mov_b32 s1, s21
	s_mov_b32 s0, s21
	s_delay_alu instid0(SALU_CYCLE_1)
	v_dual_mov_b32 v10, s1 :: v_dual_mov_b32 v9, s0
	v_mad_u32_u24 v0, v0, s13, v3
	v_lshlrev_b32_e32 v15, 5, v8
	v_dual_cndmask_b32 v7, v7, v5 :: v_dual_and_b32 v6, 0xe0, v8
	v_lshrrev_b32_e32 v14, 3, v8
	s_and_b32 s12, s12, 0xffff
	v_cmp_eq_u32_e64 s1, 0, v4
	v_cmp_lt_u32_e64 s3, 3, v4
	v_cmp_lt_u32_e64 s4, 7, v4
	v_mad_u64_u32 v[3:4], null, v0, s12, v[8:9]
	v_cmp_eq_u32_e64 s9, 0, v13
	v_cmp_lt_u32_e64 s10, 1, v13
	v_cmp_lt_u32_e64 s11, 3, v13
	v_lshlrev_b32_e32 v13, 2, v8
	v_or_b32_e32 v20, 31, v6
	v_and_b32_e32 v17, 28, v14
	v_or_b32_e32 v0, v5, v6
	v_mad_i32_i24 v19, 0xffffffe4, v8, v15
	v_cmp_eq_u32_e64 s0, 0, v5
	v_cmp_gt_u32_e64 s6, 8, v8
	v_cmp_lt_u32_e64 s7, 31, v8
	v_cmp_eq_u32_e64 s8, 0, v8
	v_add_nc_u32_e32 v16, 32, v15
	v_lshlrev_b32_e32 v18, 2, v7
	v_cmp_eq_u32_e64 s12, v20, v8
	v_add_nc_u32_e32 v20, -4, v17
	v_lshlrev_b32_e32 v21, 3, v0
	v_lshrrev_b32_e32 v22, 5, v3
	v_add_nc_u32_e32 v23, v19, v13
	s_waitcnt vmcnt(0)
	v_xor_b32_e32 v2, 0x80000000, v2
	s_branch .LBB120_2
.LBB120_1:                              ;   in Loop: Header=BB120_2 Depth=1
	s_delay_alu instid0(VALU_DEP_1)
	v_lshlrev_b32_e32 v0, 3, v0
	s_barrier
	buffer_gl0_inv
	s_add_i32 s21, s21, 1
	ds_store_b64 v0, v[13:14]
	s_waitcnt lgkmcnt(0)
	s_barrier
	buffer_gl0_inv
	ds_load_b64 v[1:2], v23
	s_cmp_eq_u32 s21, 10
	s_cbranch_scc1 .LBB120_14
.LBB120_2:                              ; =>This Loop Header: Depth=1
                                        ;     Child Loop BB120_4 Depth 2
	s_mov_b64 s[16:17], 0
	s_branch .LBB120_4
.LBB120_3:                              ;   in Loop: Header=BB120_4 Depth=2
	s_delay_alu instid0(VALU_DEP_1)
	v_lshlrev_b32_e32 v1, 3, v0
	s_barrier
	buffer_gl0_inv
	s_add_u32 s16, s16, 8
	ds_store_b64 v1, v[13:14]
	s_waitcnt lgkmcnt(0)
	s_barrier
	buffer_gl0_inv
	ds_load_b64 v[1:2], v21
	s_addc_u32 s17, s17, 0
	s_waitcnt lgkmcnt(0)
	s_barrier
	buffer_gl0_inv
	s_cbranch_execz .LBB120_1
.LBB120_4:                              ;   Parent Loop BB120_2 Depth=1
                                        ; =>  This Inner Loop Header: Depth=2
	s_waitcnt lgkmcnt(0)
	v_dual_mov_b32 v14, v2 :: v_dual_mov_b32 v13, v1
	ds_store_2addr_b64 v15, v[11:12], v[9:10] offset0:4 offset1:5
	ds_store_2addr_b64 v16, v[11:12], v[9:10] offset0:2 offset1:3
	s_waitcnt lgkmcnt(0)
	s_barrier
	buffer_gl0_inv
	v_lshrrev_b64 v[1:2], s16, v[13:14]
	; wave barrier
	s_delay_alu instid0(VALU_DEP_1)
	v_and_b32_e32 v0, 1, v1
	v_lshlrev_b32_e32 v2, 30, v1
	v_lshlrev_b32_e32 v3, 29, v1
	;; [unrolled: 1-line block ×4, first 2 shown]
	v_add_co_u32 v0, s13, v0, -1
	s_delay_alu instid0(VALU_DEP_1)
	v_cndmask_b32_e64 v5, 0, 1, s13
	v_not_b32_e32 v25, v2
	v_cmp_gt_i32_e64 s13, 0, v2
	v_not_b32_e32 v2, v3
	v_lshlrev_b32_e32 v7, 26, v1
	v_cmp_ne_u32_e32 vcc_lo, 0, v5
	v_ashrrev_i32_e32 v25, 31, v25
	v_lshlrev_b32_e32 v24, 25, v1
	v_ashrrev_i32_e32 v2, 31, v2
	v_lshlrev_b32_e32 v5, 24, v1
	v_xor_b32_e32 v0, vcc_lo, v0
	v_cmp_gt_i32_e32 vcc_lo, 0, v3
	v_not_b32_e32 v3, v4
	v_xor_b32_e32 v25, s13, v25
	v_cmp_gt_i32_e64 s13, 0, v4
	v_and_b32_e32 v0, exec_lo, v0
	v_not_b32_e32 v4, v6
	v_ashrrev_i32_e32 v3, 31, v3
	v_xor_b32_e32 v2, vcc_lo, v2
	v_cmp_gt_i32_e32 vcc_lo, 0, v6
	v_and_b32_e32 v0, v0, v25
	v_not_b32_e32 v6, v7
	v_ashrrev_i32_e32 v4, 31, v4
	v_xor_b32_e32 v3, s13, v3
	v_cmp_gt_i32_e64 s13, 0, v7
	v_and_b32_e32 v0, v0, v2
	v_not_b32_e32 v2, v24
	v_ashrrev_i32_e32 v6, 31, v6
	v_xor_b32_e32 v4, vcc_lo, v4
	v_cmp_gt_i32_e32 vcc_lo, 0, v24
	v_and_b32_e32 v0, v0, v3
	v_not_b32_e32 v3, v5
	v_ashrrev_i32_e32 v2, 31, v2
	v_xor_b32_e32 v6, s13, v6
	v_cmp_gt_i32_e64 s13, 0, v5
	v_and_b32_e32 v0, v0, v4
	v_ashrrev_i32_e32 v3, 31, v3
	v_xor_b32_e32 v2, vcc_lo, v2
	v_and_b32_e32 v1, 0xff, v1
	s_delay_alu instid0(VALU_DEP_4) | instskip(NEXT) | instid1(VALU_DEP_4)
	v_and_b32_e32 v0, v0, v6
	v_xor_b32_e32 v3, s13, v3
	s_delay_alu instid0(VALU_DEP_3) | instskip(NEXT) | instid1(VALU_DEP_3)
	v_lshl_add_u32 v1, v1, 3, v22
	v_and_b32_e32 v0, v0, v2
	s_delay_alu instid0(VALU_DEP_2) | instskip(NEXT) | instid1(VALU_DEP_2)
	v_lshl_add_u32 v25, v1, 2, 32
	v_and_b32_e32 v0, v0, v3
	s_delay_alu instid0(VALU_DEP_1) | instskip(SKIP_1) | instid1(VALU_DEP_2)
	v_mbcnt_lo_u32_b32 v24, v0, 0
	v_cmp_ne_u32_e64 s13, 0, v0
	v_cmp_eq_u32_e32 vcc_lo, 0, v24
	s_delay_alu instid0(VALU_DEP_2) | instskip(NEXT) | instid1(SALU_CYCLE_1)
	s_and_b32 s20, s13, vcc_lo
	s_and_saveexec_b32 s13, s20
	s_cbranch_execz .LBB120_6
; %bb.5:                                ;   in Loop: Header=BB120_4 Depth=2
	v_bcnt_u32_b32 v0, v0, 0
	ds_store_b32 v25, v0
.LBB120_6:                              ;   in Loop: Header=BB120_4 Depth=2
	s_or_b32 exec_lo, exec_lo, s13
	; wave barrier
	s_waitcnt lgkmcnt(0)
	s_barrier
	buffer_gl0_inv
	ds_load_2addr_b64 v[4:7], v15 offset0:4 offset1:5
	ds_load_2addr_b64 v[0:3], v16 offset0:2 offset1:3
	s_waitcnt lgkmcnt(1)
	v_add_nc_u32_e32 v26, v5, v4
	s_delay_alu instid0(VALU_DEP_1) | instskip(SKIP_1) | instid1(VALU_DEP_1)
	v_add3_u32 v26, v26, v6, v7
	s_waitcnt lgkmcnt(0)
	v_add3_u32 v26, v26, v0, v1
	s_delay_alu instid0(VALU_DEP_1) | instskip(NEXT) | instid1(VALU_DEP_1)
	v_add3_u32 v3, v26, v2, v3
	v_mov_b32_dpp v26, v3 row_shr:1 row_mask:0xf bank_mask:0xf
	s_delay_alu instid0(VALU_DEP_1) | instskip(NEXT) | instid1(VALU_DEP_1)
	v_cndmask_b32_e64 v26, v26, 0, s1
	v_add_nc_u32_e32 v3, v26, v3
	s_delay_alu instid0(VALU_DEP_1) | instskip(NEXT) | instid1(VALU_DEP_1)
	v_mov_b32_dpp v26, v3 row_shr:2 row_mask:0xf bank_mask:0xf
	v_cndmask_b32_e64 v26, 0, v26, s2
	s_delay_alu instid0(VALU_DEP_1) | instskip(NEXT) | instid1(VALU_DEP_1)
	v_add_nc_u32_e32 v3, v3, v26
	v_mov_b32_dpp v26, v3 row_shr:4 row_mask:0xf bank_mask:0xf
	s_delay_alu instid0(VALU_DEP_1) | instskip(NEXT) | instid1(VALU_DEP_1)
	v_cndmask_b32_e64 v26, 0, v26, s3
	v_add_nc_u32_e32 v3, v3, v26
	s_delay_alu instid0(VALU_DEP_1) | instskip(NEXT) | instid1(VALU_DEP_1)
	v_mov_b32_dpp v26, v3 row_shr:8 row_mask:0xf bank_mask:0xf
	v_cndmask_b32_e64 v26, 0, v26, s4
	s_delay_alu instid0(VALU_DEP_1) | instskip(SKIP_3) | instid1(VALU_DEP_1)
	v_add_nc_u32_e32 v3, v3, v26
	ds_swizzle_b32 v26, v3 offset:swizzle(BROADCAST,32,15)
	s_waitcnt lgkmcnt(0)
	v_cndmask_b32_e64 v26, v26, 0, s5
	v_add_nc_u32_e32 v3, v3, v26
	s_and_saveexec_b32 s13, s12
	s_cbranch_execz .LBB120_8
; %bb.7:                                ;   in Loop: Header=BB120_4 Depth=2
	ds_store_b32 v17, v3
.LBB120_8:                              ;   in Loop: Header=BB120_4 Depth=2
	s_or_b32 exec_lo, exec_lo, s13
	s_waitcnt lgkmcnt(0)
	s_barrier
	buffer_gl0_inv
	s_and_saveexec_b32 s13, s6
	s_cbranch_execz .LBB120_10
; %bb.9:                                ;   in Loop: Header=BB120_4 Depth=2
	ds_load_b32 v26, v19
	s_waitcnt lgkmcnt(0)
	v_mov_b32_dpp v27, v26 row_shr:1 row_mask:0xf bank_mask:0xf
	s_delay_alu instid0(VALU_DEP_1) | instskip(NEXT) | instid1(VALU_DEP_1)
	v_cndmask_b32_e64 v27, v27, 0, s9
	v_add_nc_u32_e32 v26, v27, v26
	s_delay_alu instid0(VALU_DEP_1) | instskip(NEXT) | instid1(VALU_DEP_1)
	v_mov_b32_dpp v27, v26 row_shr:2 row_mask:0xf bank_mask:0xf
	v_cndmask_b32_e64 v27, 0, v27, s10
	s_delay_alu instid0(VALU_DEP_1) | instskip(NEXT) | instid1(VALU_DEP_1)
	v_add_nc_u32_e32 v26, v26, v27
	v_mov_b32_dpp v27, v26 row_shr:4 row_mask:0xf bank_mask:0xf
	s_delay_alu instid0(VALU_DEP_1) | instskip(NEXT) | instid1(VALU_DEP_1)
	v_cndmask_b32_e64 v27, 0, v27, s11
	v_add_nc_u32_e32 v26, v26, v27
	ds_store_b32 v19, v26
.LBB120_10:                             ;   in Loop: Header=BB120_4 Depth=2
	s_or_b32 exec_lo, exec_lo, s13
	v_mov_b32_e32 v26, 0
	s_waitcnt lgkmcnt(0)
	s_barrier
	buffer_gl0_inv
	s_and_saveexec_b32 s13, s7
	s_cbranch_execz .LBB120_12
; %bb.11:                               ;   in Loop: Header=BB120_4 Depth=2
	ds_load_b32 v26, v20
.LBB120_12:                             ;   in Loop: Header=BB120_4 Depth=2
	s_or_b32 exec_lo, exec_lo, s13
	s_waitcnt lgkmcnt(0)
	v_add_nc_u32_e32 v3, v26, v3
	s_cmp_gt_u32 s16, 55
	ds_bpermute_b32 v3, v18, v3
	s_waitcnt lgkmcnt(0)
	v_cndmask_b32_e64 v3, v3, v26, s0
	s_delay_alu instid0(VALU_DEP_1) | instskip(NEXT) | instid1(VALU_DEP_1)
	v_cndmask_b32_e64 v3, v3, 0, s8
	v_add_nc_u32_e32 v4, v3, v4
	s_delay_alu instid0(VALU_DEP_1) | instskip(NEXT) | instid1(VALU_DEP_1)
	v_add_nc_u32_e32 v5, v4, v5
	v_add_nc_u32_e32 v6, v5, v6
	s_delay_alu instid0(VALU_DEP_1) | instskip(NEXT) | instid1(VALU_DEP_1)
	v_add_nc_u32_e32 v26, v6, v7
	;; [unrolled: 3-line block ×3, first 2 shown]
	v_add_nc_u32_e32 v1, v0, v2
	ds_store_2addr_b64 v15, v[3:4], v[5:6] offset0:4 offset1:5
	ds_store_2addr_b64 v16, v[26:27], v[0:1] offset0:2 offset1:3
	s_waitcnt lgkmcnt(0)
	s_barrier
	buffer_gl0_inv
	ds_load_b32 v0, v25
	s_waitcnt lgkmcnt(0)
	v_add_nc_u32_e32 v0, v0, v24
	s_cbranch_scc0 .LBB120_3
; %bb.13:                               ;   in Loop: Header=BB120_2 Depth=1
                                        ; implicit-def: $vgpr1_vgpr2
                                        ; implicit-def: $sgpr16_sgpr17
	s_branch .LBB120_1
.LBB120_14:
	s_waitcnt lgkmcnt(0)
	v_xor_b32_e32 v2, 0x80000000, v2
	v_lshlrev_b32_e32 v0, 3, v8
	s_add_u32 s0, s18, s14
	s_addc_u32 s1, s19, s15
	global_store_b64 v0, v[1:2], s[0:1]
	s_nop 0
	s_sendmsg sendmsg(MSG_DEALLOC_VGPRS)
	s_endpgm
	.section	.rodata,"a",@progbits
	.p2align	6, 0x0
	.amdhsa_kernel _Z16sort_keys_kernelI22helper_blocked_blockedxLj256ELj1ELj10EEvPKT0_PS1_
		.amdhsa_group_segment_fixed_size 8224
		.amdhsa_private_segment_fixed_size 0
		.amdhsa_kernarg_size 272
		.amdhsa_user_sgpr_count 15
		.amdhsa_user_sgpr_dispatch_ptr 0
		.amdhsa_user_sgpr_queue_ptr 0
		.amdhsa_user_sgpr_kernarg_segment_ptr 1
		.amdhsa_user_sgpr_dispatch_id 0
		.amdhsa_user_sgpr_private_segment_size 0
		.amdhsa_wavefront_size32 1
		.amdhsa_uses_dynamic_stack 0
		.amdhsa_enable_private_segment 0
		.amdhsa_system_sgpr_workgroup_id_x 1
		.amdhsa_system_sgpr_workgroup_id_y 0
		.amdhsa_system_sgpr_workgroup_id_z 0
		.amdhsa_system_sgpr_workgroup_info 0
		.amdhsa_system_vgpr_workitem_id 2
		.amdhsa_next_free_vgpr 28
		.amdhsa_next_free_sgpr 22
		.amdhsa_reserve_vcc 1
		.amdhsa_float_round_mode_32 0
		.amdhsa_float_round_mode_16_64 0
		.amdhsa_float_denorm_mode_32 3
		.amdhsa_float_denorm_mode_16_64 3
		.amdhsa_dx10_clamp 1
		.amdhsa_ieee_mode 1
		.amdhsa_fp16_overflow 0
		.amdhsa_workgroup_processor_mode 1
		.amdhsa_memory_ordered 1
		.amdhsa_forward_progress 0
		.amdhsa_shared_vgpr_count 0
		.amdhsa_exception_fp_ieee_invalid_op 0
		.amdhsa_exception_fp_denorm_src 0
		.amdhsa_exception_fp_ieee_div_zero 0
		.amdhsa_exception_fp_ieee_overflow 0
		.amdhsa_exception_fp_ieee_underflow 0
		.amdhsa_exception_fp_ieee_inexact 0
		.amdhsa_exception_int_div_zero 0
	.end_amdhsa_kernel
	.section	.text._Z16sort_keys_kernelI22helper_blocked_blockedxLj256ELj1ELj10EEvPKT0_PS1_,"axG",@progbits,_Z16sort_keys_kernelI22helper_blocked_blockedxLj256ELj1ELj10EEvPKT0_PS1_,comdat
.Lfunc_end120:
	.size	_Z16sort_keys_kernelI22helper_blocked_blockedxLj256ELj1ELj10EEvPKT0_PS1_, .Lfunc_end120-_Z16sort_keys_kernelI22helper_blocked_blockedxLj256ELj1ELj10EEvPKT0_PS1_
                                        ; -- End function
	.section	.AMDGPU.csdata,"",@progbits
; Kernel info:
; codeLenInByte = 1464
; NumSgprs: 24
; NumVgprs: 28
; ScratchSize: 0
; MemoryBound: 0
; FloatMode: 240
; IeeeMode: 1
; LDSByteSize: 8224 bytes/workgroup (compile time only)
; SGPRBlocks: 2
; VGPRBlocks: 3
; NumSGPRsForWavesPerEU: 24
; NumVGPRsForWavesPerEU: 28
; Occupancy: 16
; WaveLimiterHint : 0
; COMPUTE_PGM_RSRC2:SCRATCH_EN: 0
; COMPUTE_PGM_RSRC2:USER_SGPR: 15
; COMPUTE_PGM_RSRC2:TRAP_HANDLER: 0
; COMPUTE_PGM_RSRC2:TGID_X_EN: 1
; COMPUTE_PGM_RSRC2:TGID_Y_EN: 0
; COMPUTE_PGM_RSRC2:TGID_Z_EN: 0
; COMPUTE_PGM_RSRC2:TIDIG_COMP_CNT: 2
	.section	.text._Z17sort_pairs_kernelI22helper_blocked_blockedxLj256ELj1ELj10EEvPKT0_PS1_,"axG",@progbits,_Z17sort_pairs_kernelI22helper_blocked_blockedxLj256ELj1ELj10EEvPKT0_PS1_,comdat
	.protected	_Z17sort_pairs_kernelI22helper_blocked_blockedxLj256ELj1ELj10EEvPKT0_PS1_ ; -- Begin function _Z17sort_pairs_kernelI22helper_blocked_blockedxLj256ELj1ELj10EEvPKT0_PS1_
	.globl	_Z17sort_pairs_kernelI22helper_blocked_blockedxLj256ELj1ELj10EEvPKT0_PS1_
	.p2align	8
	.type	_Z17sort_pairs_kernelI22helper_blocked_blockedxLj256ELj1ELj10EEvPKT0_PS1_,@function
_Z17sort_pairs_kernelI22helper_blocked_blockedxLj256ELj1ELj10EEvPKT0_PS1_: ; @_Z17sort_pairs_kernelI22helper_blocked_blockedxLj256ELj1ELj10EEvPKT0_PS1_
; %bb.0:
	s_clause 0x1
	s_load_b128 s[16:19], s[0:1], 0x0
	s_load_b32 s12, s[0:1], 0x1c
	v_and_b32_e32 v8, 0x3ff, v0
	s_mov_b32 s21, 0
	s_lshl_b32 s20, s15, 8
	v_mbcnt_lo_u32_b32 v5, -1, 0
	s_lshl_b64 s[14:15], s[20:21], 3
	v_lshlrev_b32_e32 v1, 3, v8
	v_bfe_u32 v3, v0, 10, 10
	v_bfe_u32 v0, v0, 20, 10
	s_mov_b32 s20, s21
	s_delay_alu instid0(SALU_CYCLE_1) | instskip(SKIP_3) | instid1(VALU_DEP_4)
	v_dual_mov_b32 v11, s20 :: v_dual_and_b32 v4, 15, v5
	v_and_b32_e32 v6, 16, v5
	v_dual_mov_b32 v12, s21 :: v_dual_add_nc_u32 v7, -1, v5
	v_and_b32_e32 v13, 7, v5
	v_cmp_lt_u32_e64 s2, 1, v4
	v_cmp_lt_u32_e64 s3, 3, v4
	;; [unrolled: 1-line block ×3, first 2 shown]
	s_waitcnt lgkmcnt(0)
	s_add_u32 s0, s16, s14
	s_addc_u32 s1, s17, s15
	s_lshr_b32 s13, s12, 16
	global_load_b64 v[1:2], v1, s[0:1]
	s_mov_b32 s1, s21
	s_mov_b32 s0, s21
	s_delay_alu instid0(SALU_CYCLE_1)
	v_dual_mov_b32 v10, s1 :: v_dual_mov_b32 v9, s0
	v_mad_u32_u24 v0, v0, s13, v3
	s_and_b32 s12, s12, 0xffff
	v_lshlrev_b32_e32 v17, 5, v8
	v_cmp_eq_u32_e64 s1, 0, v4
	v_cmp_eq_u32_e64 s5, 0, v6
	v_cmp_gt_i32_e32 vcc_lo, 0, v7
	v_and_b32_e32 v6, 0xe0, v8
	v_lshrrev_b32_e32 v14, 3, v8
	v_mad_u64_u32 v[3:4], null, v0, s12, v[8:9]
	v_cndmask_b32_e32 v7, v7, v5, vcc_lo
	v_cmp_eq_u32_e64 s9, 0, v13
	v_cmp_lt_u32_e64 s10, 1, v13
	v_cmp_lt_u32_e64 s11, 3, v13
	v_lshlrev_b32_e32 v13, 2, v8
	v_or_b32_e32 v15, 31, v6
	v_and_b32_e32 v19, 28, v14
	v_or_b32_e32 v0, v5, v6
	v_mad_i32_i24 v21, 0xffffffe4, v8, v17
	v_lshrrev_b32_e32 v24, 5, v3
	v_cmp_eq_u32_e64 s0, 0, v5
	v_cmp_gt_u32_e64 s6, 8, v8
	v_cmp_lt_u32_e64 s7, 31, v8
	v_cmp_eq_u32_e64 s8, 0, v8
	v_add_nc_u32_e32 v18, 32, v17
	v_lshlrev_b32_e32 v20, 2, v7
	v_cmp_eq_u32_e64 s12, v15, v8
	v_add_nc_u32_e32 v22, -4, v19
	v_lshlrev_b32_e32 v23, 3, v0
	v_add_nc_u32_e32 v25, v21, v13
	s_waitcnt vmcnt(0)
	v_add_co_u32 v3, vcc_lo, v1, 1
	v_add_co_ci_u32_e32 v4, vcc_lo, 0, v2, vcc_lo
	v_xor_b32_e32 v2, 0x80000000, v2
	s_branch .LBB121_2
.LBB121_1:                              ;   in Loop: Header=BB121_2 Depth=1
	s_delay_alu instid0(VALU_DEP_1)
	v_lshlrev_b32_e32 v0, 3, v0
	s_barrier
	buffer_gl0_inv
	s_add_i32 s21, s21, 1
	ds_store_b64 v0, v[13:14]
	s_waitcnt lgkmcnt(0)
	s_barrier
	buffer_gl0_inv
	ds_load_b64 v[1:2], v25
	s_waitcnt lgkmcnt(0)
	s_barrier
	buffer_gl0_inv
	ds_store_b64 v0, v[15:16]
	s_waitcnt lgkmcnt(0)
	s_barrier
	buffer_gl0_inv
	ds_load_b64 v[3:4], v25
	s_cmp_lg_u32 s21, 10
	s_cbranch_scc0 .LBB121_14
.LBB121_2:                              ; =>This Loop Header: Depth=1
                                        ;     Child Loop BB121_4 Depth 2
	s_mov_b64 s[16:17], 0
	s_branch .LBB121_4
.LBB121_3:                              ;   in Loop: Header=BB121_4 Depth=2
	s_delay_alu instid0(VALU_DEP_1)
	v_lshlrev_b32_e32 v3, 3, v0
	s_barrier
	buffer_gl0_inv
	s_add_u32 s16, s16, 8
	ds_store_b64 v3, v[13:14]
	s_waitcnt lgkmcnt(0)
	s_barrier
	buffer_gl0_inv
	ds_load_b64 v[1:2], v23
	s_waitcnt lgkmcnt(0)
	s_barrier
	buffer_gl0_inv
	ds_store_b64 v3, v[15:16]
	s_waitcnt lgkmcnt(0)
	s_barrier
	buffer_gl0_inv
	ds_load_b64 v[3:4], v23
	s_addc_u32 s17, s17, 0
	s_waitcnt lgkmcnt(0)
	s_barrier
	buffer_gl0_inv
	s_cbranch_execz .LBB121_1
.LBB121_4:                              ;   Parent Loop BB121_2 Depth=1
                                        ; =>  This Inner Loop Header: Depth=2
	s_delay_alu instid0(VALU_DEP_1)
	v_dual_mov_b32 v14, v2 :: v_dual_mov_b32 v13, v1
	ds_store_2addr_b64 v17, v[11:12], v[9:10] offset0:4 offset1:5
	ds_store_2addr_b64 v18, v[11:12], v[9:10] offset0:2 offset1:3
	s_waitcnt lgkmcnt(0)
	s_barrier
	buffer_gl0_inv
	v_lshrrev_b64 v[1:2], s16, v[13:14]
	; wave barrier
	s_delay_alu instid0(VALU_DEP_1)
	v_and_b32_e32 v0, 1, v1
	v_lshlrev_b32_e32 v2, 30, v1
	v_lshlrev_b32_e32 v5, 29, v1
	;; [unrolled: 1-line block ×4, first 2 shown]
	v_add_co_u32 v0, s13, v0, -1
	s_delay_alu instid0(VALU_DEP_1)
	v_cndmask_b32_e64 v7, 0, 1, s13
	v_not_b32_e32 v27, v2
	v_cmp_gt_i32_e64 s13, 0, v2
	v_not_b32_e32 v2, v5
	v_lshlrev_b32_e32 v16, 26, v1
	v_cmp_ne_u32_e32 vcc_lo, 0, v7
	v_ashrrev_i32_e32 v27, 31, v27
	v_lshlrev_b32_e32 v26, 25, v1
	v_ashrrev_i32_e32 v2, 31, v2
	v_lshlrev_b32_e32 v7, 24, v1
	v_xor_b32_e32 v0, vcc_lo, v0
	v_cmp_gt_i32_e32 vcc_lo, 0, v5
	v_not_b32_e32 v5, v6
	v_xor_b32_e32 v27, s13, v27
	v_cmp_gt_i32_e64 s13, 0, v6
	v_and_b32_e32 v0, exec_lo, v0
	v_not_b32_e32 v6, v15
	v_ashrrev_i32_e32 v5, 31, v5
	v_xor_b32_e32 v2, vcc_lo, v2
	v_cmp_gt_i32_e32 vcc_lo, 0, v15
	v_and_b32_e32 v0, v0, v27
	v_not_b32_e32 v15, v16
	v_ashrrev_i32_e32 v6, 31, v6
	v_xor_b32_e32 v5, s13, v5
	v_cmp_gt_i32_e64 s13, 0, v16
	v_and_b32_e32 v0, v0, v2
	v_not_b32_e32 v2, v26
	v_ashrrev_i32_e32 v15, 31, v15
	v_xor_b32_e32 v6, vcc_lo, v6
	v_cmp_gt_i32_e32 vcc_lo, 0, v26
	v_and_b32_e32 v0, v0, v5
	v_not_b32_e32 v5, v7
	v_ashrrev_i32_e32 v2, 31, v2
	v_xor_b32_e32 v15, s13, v15
	v_cmp_gt_i32_e64 s13, 0, v7
	v_and_b32_e32 v0, v0, v6
	v_ashrrev_i32_e32 v5, 31, v5
	v_xor_b32_e32 v2, vcc_lo, v2
	v_and_b32_e32 v1, 0xff, v1
	s_delay_alu instid0(VALU_DEP_4) | instskip(SKIP_2) | instid1(VALU_DEP_4)
	v_and_b32_e32 v0, v0, v15
	v_mov_b32_e32 v16, v4
	v_xor_b32_e32 v5, s13, v5
	v_lshl_add_u32 v1, v1, 3, v24
	s_delay_alu instid0(VALU_DEP_4) | instskip(NEXT) | instid1(VALU_DEP_2)
	v_dual_mov_b32 v15, v3 :: v_dual_and_b32 v0, v0, v2
	v_lshl_add_u32 v27, v1, 2, 32
	s_delay_alu instid0(VALU_DEP_2) | instskip(NEXT) | instid1(VALU_DEP_1)
	v_and_b32_e32 v0, v0, v5
	v_mbcnt_lo_u32_b32 v26, v0, 0
	v_cmp_ne_u32_e64 s13, 0, v0
	s_delay_alu instid0(VALU_DEP_2) | instskip(NEXT) | instid1(VALU_DEP_2)
	v_cmp_eq_u32_e32 vcc_lo, 0, v26
	s_and_b32 s20, s13, vcc_lo
	s_delay_alu instid0(SALU_CYCLE_1)
	s_and_saveexec_b32 s13, s20
	s_cbranch_execz .LBB121_6
; %bb.5:                                ;   in Loop: Header=BB121_4 Depth=2
	v_bcnt_u32_b32 v0, v0, 0
	ds_store_b32 v27, v0
.LBB121_6:                              ;   in Loop: Header=BB121_4 Depth=2
	s_or_b32 exec_lo, exec_lo, s13
	; wave barrier
	s_waitcnt lgkmcnt(0)
	s_barrier
	buffer_gl0_inv
	ds_load_2addr_b64 v[4:7], v17 offset0:4 offset1:5
	ds_load_2addr_b64 v[0:3], v18 offset0:2 offset1:3
	s_waitcnt lgkmcnt(1)
	v_add_nc_u32_e32 v28, v5, v4
	s_delay_alu instid0(VALU_DEP_1) | instskip(SKIP_1) | instid1(VALU_DEP_1)
	v_add3_u32 v28, v28, v6, v7
	s_waitcnt lgkmcnt(0)
	v_add3_u32 v28, v28, v0, v1
	s_delay_alu instid0(VALU_DEP_1) | instskip(NEXT) | instid1(VALU_DEP_1)
	v_add3_u32 v3, v28, v2, v3
	v_mov_b32_dpp v28, v3 row_shr:1 row_mask:0xf bank_mask:0xf
	s_delay_alu instid0(VALU_DEP_1) | instskip(NEXT) | instid1(VALU_DEP_1)
	v_cndmask_b32_e64 v28, v28, 0, s1
	v_add_nc_u32_e32 v3, v28, v3
	s_delay_alu instid0(VALU_DEP_1) | instskip(NEXT) | instid1(VALU_DEP_1)
	v_mov_b32_dpp v28, v3 row_shr:2 row_mask:0xf bank_mask:0xf
	v_cndmask_b32_e64 v28, 0, v28, s2
	s_delay_alu instid0(VALU_DEP_1) | instskip(NEXT) | instid1(VALU_DEP_1)
	v_add_nc_u32_e32 v3, v3, v28
	v_mov_b32_dpp v28, v3 row_shr:4 row_mask:0xf bank_mask:0xf
	s_delay_alu instid0(VALU_DEP_1) | instskip(NEXT) | instid1(VALU_DEP_1)
	v_cndmask_b32_e64 v28, 0, v28, s3
	v_add_nc_u32_e32 v3, v3, v28
	s_delay_alu instid0(VALU_DEP_1) | instskip(NEXT) | instid1(VALU_DEP_1)
	v_mov_b32_dpp v28, v3 row_shr:8 row_mask:0xf bank_mask:0xf
	v_cndmask_b32_e64 v28, 0, v28, s4
	s_delay_alu instid0(VALU_DEP_1) | instskip(SKIP_3) | instid1(VALU_DEP_1)
	v_add_nc_u32_e32 v3, v3, v28
	ds_swizzle_b32 v28, v3 offset:swizzle(BROADCAST,32,15)
	s_waitcnt lgkmcnt(0)
	v_cndmask_b32_e64 v28, v28, 0, s5
	v_add_nc_u32_e32 v3, v3, v28
	s_and_saveexec_b32 s13, s12
	s_cbranch_execz .LBB121_8
; %bb.7:                                ;   in Loop: Header=BB121_4 Depth=2
	ds_store_b32 v19, v3
.LBB121_8:                              ;   in Loop: Header=BB121_4 Depth=2
	s_or_b32 exec_lo, exec_lo, s13
	s_waitcnt lgkmcnt(0)
	s_barrier
	buffer_gl0_inv
	s_and_saveexec_b32 s13, s6
	s_cbranch_execz .LBB121_10
; %bb.9:                                ;   in Loop: Header=BB121_4 Depth=2
	ds_load_b32 v28, v21
	s_waitcnt lgkmcnt(0)
	v_mov_b32_dpp v29, v28 row_shr:1 row_mask:0xf bank_mask:0xf
	s_delay_alu instid0(VALU_DEP_1) | instskip(NEXT) | instid1(VALU_DEP_1)
	v_cndmask_b32_e64 v29, v29, 0, s9
	v_add_nc_u32_e32 v28, v29, v28
	s_delay_alu instid0(VALU_DEP_1) | instskip(NEXT) | instid1(VALU_DEP_1)
	v_mov_b32_dpp v29, v28 row_shr:2 row_mask:0xf bank_mask:0xf
	v_cndmask_b32_e64 v29, 0, v29, s10
	s_delay_alu instid0(VALU_DEP_1) | instskip(NEXT) | instid1(VALU_DEP_1)
	v_add_nc_u32_e32 v28, v28, v29
	v_mov_b32_dpp v29, v28 row_shr:4 row_mask:0xf bank_mask:0xf
	s_delay_alu instid0(VALU_DEP_1) | instskip(NEXT) | instid1(VALU_DEP_1)
	v_cndmask_b32_e64 v29, 0, v29, s11
	v_add_nc_u32_e32 v28, v28, v29
	ds_store_b32 v21, v28
.LBB121_10:                             ;   in Loop: Header=BB121_4 Depth=2
	s_or_b32 exec_lo, exec_lo, s13
	v_mov_b32_e32 v28, 0
	s_waitcnt lgkmcnt(0)
	s_barrier
	buffer_gl0_inv
	s_and_saveexec_b32 s13, s7
	s_cbranch_execz .LBB121_12
; %bb.11:                               ;   in Loop: Header=BB121_4 Depth=2
	ds_load_b32 v28, v22
.LBB121_12:                             ;   in Loop: Header=BB121_4 Depth=2
	s_or_b32 exec_lo, exec_lo, s13
	s_waitcnt lgkmcnt(0)
	v_add_nc_u32_e32 v3, v28, v3
	s_cmp_gt_u32 s16, 55
	ds_bpermute_b32 v3, v20, v3
	s_waitcnt lgkmcnt(0)
	v_cndmask_b32_e64 v3, v3, v28, s0
	s_delay_alu instid0(VALU_DEP_1) | instskip(NEXT) | instid1(VALU_DEP_1)
	v_cndmask_b32_e64 v3, v3, 0, s8
	v_add_nc_u32_e32 v4, v3, v4
	s_delay_alu instid0(VALU_DEP_1) | instskip(NEXT) | instid1(VALU_DEP_1)
	v_add_nc_u32_e32 v5, v4, v5
	v_add_nc_u32_e32 v6, v5, v6
	s_delay_alu instid0(VALU_DEP_1) | instskip(NEXT) | instid1(VALU_DEP_1)
	v_add_nc_u32_e32 v28, v6, v7
	;; [unrolled: 3-line block ×3, first 2 shown]
	v_add_nc_u32_e32 v1, v0, v2
	ds_store_2addr_b64 v17, v[3:4], v[5:6] offset0:4 offset1:5
	ds_store_2addr_b64 v18, v[28:29], v[0:1] offset0:2 offset1:3
	s_waitcnt lgkmcnt(0)
	s_barrier
	buffer_gl0_inv
	ds_load_b32 v0, v27
	s_waitcnt lgkmcnt(0)
	v_add_nc_u32_e32 v0, v0, v26
	s_cbranch_scc0 .LBB121_3
; %bb.13:                               ;   in Loop: Header=BB121_2 Depth=1
                                        ; implicit-def: $vgpr3_vgpr4
                                        ; implicit-def: $vgpr1_vgpr2
                                        ; implicit-def: $sgpr16_sgpr17
	s_branch .LBB121_1
.LBB121_14:
	s_waitcnt lgkmcnt(0)
	v_add_co_u32 v0, vcc_lo, v3, v1
	v_add_co_ci_u32_e32 v1, vcc_lo, v4, v2, vcc_lo
	v_lshlrev_b32_e32 v2, 3, v8
	s_delay_alu instid0(VALU_DEP_3) | instskip(NEXT) | instid1(VALU_DEP_3)
	v_add_co_u32 v0, vcc_lo, v0, 0
	v_add_co_ci_u32_e32 v1, vcc_lo, 0x80000000, v1, vcc_lo
	s_add_u32 s0, s18, s14
	s_addc_u32 s1, s19, s15
	global_store_b64 v2, v[0:1], s[0:1]
	s_nop 0
	s_sendmsg sendmsg(MSG_DEALLOC_VGPRS)
	s_endpgm
	.section	.rodata,"a",@progbits
	.p2align	6, 0x0
	.amdhsa_kernel _Z17sort_pairs_kernelI22helper_blocked_blockedxLj256ELj1ELj10EEvPKT0_PS1_
		.amdhsa_group_segment_fixed_size 8224
		.amdhsa_private_segment_fixed_size 0
		.amdhsa_kernarg_size 272
		.amdhsa_user_sgpr_count 15
		.amdhsa_user_sgpr_dispatch_ptr 0
		.amdhsa_user_sgpr_queue_ptr 0
		.amdhsa_user_sgpr_kernarg_segment_ptr 1
		.amdhsa_user_sgpr_dispatch_id 0
		.amdhsa_user_sgpr_private_segment_size 0
		.amdhsa_wavefront_size32 1
		.amdhsa_uses_dynamic_stack 0
		.amdhsa_enable_private_segment 0
		.amdhsa_system_sgpr_workgroup_id_x 1
		.amdhsa_system_sgpr_workgroup_id_y 0
		.amdhsa_system_sgpr_workgroup_id_z 0
		.amdhsa_system_sgpr_workgroup_info 0
		.amdhsa_system_vgpr_workitem_id 2
		.amdhsa_next_free_vgpr 30
		.amdhsa_next_free_sgpr 22
		.amdhsa_reserve_vcc 1
		.amdhsa_float_round_mode_32 0
		.amdhsa_float_round_mode_16_64 0
		.amdhsa_float_denorm_mode_32 3
		.amdhsa_float_denorm_mode_16_64 3
		.amdhsa_dx10_clamp 1
		.amdhsa_ieee_mode 1
		.amdhsa_fp16_overflow 0
		.amdhsa_workgroup_processor_mode 1
		.amdhsa_memory_ordered 1
		.amdhsa_forward_progress 0
		.amdhsa_shared_vgpr_count 0
		.amdhsa_exception_fp_ieee_invalid_op 0
		.amdhsa_exception_fp_denorm_src 0
		.amdhsa_exception_fp_ieee_div_zero 0
		.amdhsa_exception_fp_ieee_overflow 0
		.amdhsa_exception_fp_ieee_underflow 0
		.amdhsa_exception_fp_ieee_inexact 0
		.amdhsa_exception_int_div_zero 0
	.end_amdhsa_kernel
	.section	.text._Z17sort_pairs_kernelI22helper_blocked_blockedxLj256ELj1ELj10EEvPKT0_PS1_,"axG",@progbits,_Z17sort_pairs_kernelI22helper_blocked_blockedxLj256ELj1ELj10EEvPKT0_PS1_,comdat
.Lfunc_end121:
	.size	_Z17sort_pairs_kernelI22helper_blocked_blockedxLj256ELj1ELj10EEvPKT0_PS1_, .Lfunc_end121-_Z17sort_pairs_kernelI22helper_blocked_blockedxLj256ELj1ELj10EEvPKT0_PS1_
                                        ; -- End function
	.section	.AMDGPU.csdata,"",@progbits
; Kernel info:
; codeLenInByte = 1600
; NumSgprs: 24
; NumVgprs: 30
; ScratchSize: 0
; MemoryBound: 0
; FloatMode: 240
; IeeeMode: 1
; LDSByteSize: 8224 bytes/workgroup (compile time only)
; SGPRBlocks: 2
; VGPRBlocks: 3
; NumSGPRsForWavesPerEU: 24
; NumVGPRsForWavesPerEU: 30
; Occupancy: 16
; WaveLimiterHint : 0
; COMPUTE_PGM_RSRC2:SCRATCH_EN: 0
; COMPUTE_PGM_RSRC2:USER_SGPR: 15
; COMPUTE_PGM_RSRC2:TRAP_HANDLER: 0
; COMPUTE_PGM_RSRC2:TGID_X_EN: 1
; COMPUTE_PGM_RSRC2:TGID_Y_EN: 0
; COMPUTE_PGM_RSRC2:TGID_Z_EN: 0
; COMPUTE_PGM_RSRC2:TIDIG_COMP_CNT: 2
	.section	.text._Z16sort_keys_kernelI22helper_blocked_blockedxLj256ELj3ELj10EEvPKT0_PS1_,"axG",@progbits,_Z16sort_keys_kernelI22helper_blocked_blockedxLj256ELj3ELj10EEvPKT0_PS1_,comdat
	.protected	_Z16sort_keys_kernelI22helper_blocked_blockedxLj256ELj3ELj10EEvPKT0_PS1_ ; -- Begin function _Z16sort_keys_kernelI22helper_blocked_blockedxLj256ELj3ELj10EEvPKT0_PS1_
	.globl	_Z16sort_keys_kernelI22helper_blocked_blockedxLj256ELj3ELj10EEvPKT0_PS1_
	.p2align	8
	.type	_Z16sort_keys_kernelI22helper_blocked_blockedxLj256ELj3ELj10EEvPKT0_PS1_,@function
_Z16sort_keys_kernelI22helper_blocked_blockedxLj256ELj3ELj10EEvPKT0_PS1_: ; @_Z16sort_keys_kernelI22helper_blocked_blockedxLj256ELj3ELj10EEvPKT0_PS1_
; %bb.0:
	s_clause 0x1
	s_load_b128 s[16:19], s[0:1], 0x0
	s_load_b32 s2, s[0:1], 0x1c
	s_mov_b32 s21, 0
	s_mul_i32 s20, s15, 0x300
	v_bfe_u32 v9, v0, 10, 10
	s_lshl_b64 s[14:15], s[20:21], 3
	s_mov_b32 s20, s21
	v_and_b32_e32 v8, 0x3ff, v0
	v_bfe_u32 v0, v0, 20, 10
	v_mbcnt_lo_u32_b32 v12, -1, 0
	s_delay_alu instid0(VALU_DEP_3) | instskip(NEXT) | instid1(VALU_DEP_2)
	v_lshlrev_b32_e32 v3, 3, v8
	v_cmp_eq_u32_e64 s8, 0, v12
	s_waitcnt lgkmcnt(0)
	s_add_u32 s0, s16, s14
	s_addc_u32 s1, s17, s15
	v_add_co_u32 v1, s3, s0, v3
	s_delay_alu instid0(VALU_DEP_1) | instskip(SKIP_1) | instid1(VALU_DEP_2)
	v_add_co_ci_u32_e64 v2, null, s1, 0, s3
	s_mov_b32 s16, s21
	v_add_co_u32 v5, vcc_lo, 0x1000, v1
	s_delay_alu instid0(VALU_DEP_2)
	v_add_co_ci_u32_e32 v6, vcc_lo, 0, v2, vcc_lo
	s_mov_b32 s17, s21
	s_clause 0x2
	global_load_b64 v[1:2], v3, s[0:1]
	global_load_b64 v[3:4], v3, s[0:1] offset:2048
	global_load_b64 v[5:6], v[5:6], off
	s_lshr_b32 s0, s2, 16
	s_delay_alu instid0(SALU_CYCLE_1)
	v_mad_u32_u24 v0, v0, s0, v9
	s_and_b32 s0, s2, 0xffff
	s_delay_alu instid0(VALU_DEP_1) | instid1(SALU_CYCLE_1)
	v_mad_u64_u32 v[9:10], null, v0, s0, v[8:9]
	v_and_b32_e32 v10, 15, v12
	s_delay_alu instid0(VALU_DEP_1) | instskip(NEXT) | instid1(VALU_DEP_3)
	v_cmp_eq_u32_e64 s0, 0, v10
	v_lshrrev_b32_e32 v23, 5, v9
	v_add_nc_u32_e32 v9, -1, v12
	v_cmp_lt_u32_e64 s1, 1, v10
	v_cmp_lt_u32_e64 s2, 3, v10
	;; [unrolled: 1-line block ×3, first 2 shown]
	s_delay_alu instid0(VALU_DEP_4) | instskip(SKIP_1) | instid1(VALU_DEP_1)
	v_cmp_gt_i32_e32 vcc_lo, 0, v9
	v_cndmask_b32_e32 v9, v9, v12, vcc_lo
	v_lshlrev_b32_e32 v24, 2, v9
	v_and_b32_e32 v9, 7, v12
	s_delay_alu instid0(VALU_DEP_1)
	v_cmp_eq_u32_e64 s10, 0, v9
	v_cmp_lt_u32_e64 s11, 1, v9
	v_cmp_lt_u32_e64 s12, 3, v9
	v_mov_b32_e32 v9, s20
	v_lshrrev_b32_e32 v7, 5, v8
	v_lshlrev_b32_e32 v19, 5, v8
	v_cmp_gt_u32_e64 s6, 8, v8
	v_cmp_lt_u32_e64 s7, 31, v8
	v_cmp_eq_u32_e64 s9, 0, v8
	v_mul_u32_u24_e32 v11, 0x60, v7
	v_lshlrev_b32_e32 v25, 2, v7
	v_mad_i32_i24 v26, 0xffffffe4, v8, v19
	v_add_nc_u32_e32 v22, 32, v19
	v_mov_b32_e32 v10, s21
	v_or_b32_e32 v0, v12, v11
	v_lshlrev_b32_e32 v13, 3, v11
	v_and_b32_e32 v11, 16, v12
	v_add_nc_u32_e32 v27, -4, v25
	s_delay_alu instid0(VALU_DEP_4) | instskip(SKIP_3) | instid1(VALU_DEP_3)
	v_lshlrev_b32_e32 v21, 3, v0
	v_and_b32_e32 v0, 0xe0, v8
	v_mad_u32_u24 v20, v12, 24, v13
	v_cmp_eq_u32_e64 s4, 0, v11
	v_or_b32_e32 v13, 31, v0
	v_mul_u32_u24_e32 v0, 3, v0
	s_delay_alu instid0(VALU_DEP_2) | instskip(NEXT) | instid1(VALU_DEP_2)
	v_cmp_eq_u32_e64 s5, v13, v8
	v_or_b32_e32 v0, v12, v0
	v_dual_mov_b32 v11, s16 :: v_dual_mov_b32 v12, s17
	s_delay_alu instid0(VALU_DEP_2) | instskip(SKIP_1) | instid1(VALU_DEP_1)
	v_lshlrev_b32_e32 v28, 3, v0
	v_mul_u32_u24_e32 v0, 20, v8
	v_add_nc_u32_e32 v29, v26, v0
	s_branch .LBB122_2
.LBB122_1:                              ;   in Loop: Header=BB122_2 Depth=1
	v_lshlrev_b32_e32 v0, 3, v30
	v_lshlrev_b32_e32 v1, 3, v7
	;; [unrolled: 1-line block ×3, first 2 shown]
	s_barrier
	buffer_gl0_inv
	ds_store_b64 v0, v[13:14]
	ds_store_b64 v1, v[17:18]
	;; [unrolled: 1-line block ×3, first 2 shown]
	s_waitcnt lgkmcnt(0)
	s_barrier
	buffer_gl0_inv
	ds_load_2addr_b64 v[1:4], v29 offset1:1
	ds_load_b64 v[5:6], v29 offset:16
	s_add_i32 s21, s21, 1
	s_delay_alu instid0(SALU_CYCLE_1)
	s_cmp_eq_u32 s21, 10
	s_waitcnt lgkmcnt(1)
	v_xor_b32_e32 v2, 0x80000000, v2
	v_xor_b32_e32 v4, 0x80000000, v4
	s_waitcnt lgkmcnt(0)
	v_xor_b32_e32 v6, 0x80000000, v6
	s_cbranch_scc1 .LBB122_18
.LBB122_2:                              ; =>This Loop Header: Depth=1
                                        ;     Child Loop BB122_4 Depth 2
	s_waitcnt vmcnt(2)
	v_xor_b32_e32 v2, 0x80000000, v2
	s_waitcnt vmcnt(1)
	v_xor_b32_e32 v4, 0x80000000, v4
	;; [unrolled: 2-line block ×3, first 2 shown]
	s_mov_b64 s[16:17], 0
	ds_store_2addr_b64 v20, v[1:2], v[3:4] offset1:1
	ds_store_b64 v20, v[5:6] offset:16
	; wave barrier
	ds_load_2addr_b64 v[0:3], v21 offset1:32
	ds_load_b64 v[4:5], v21 offset:512
	s_waitcnt lgkmcnt(0)
	s_barrier
	buffer_gl0_inv
	; wave barrier
	s_barrier
	s_branch .LBB122_4
.LBB122_3:                              ;   in Loop: Header=BB122_4 Depth=2
	v_lshlrev_b32_e32 v0, 3, v30
	v_lshlrev_b32_e32 v1, 3, v7
	s_delay_alu instid0(VALU_DEP_3)
	v_lshlrev_b32_e32 v2, 3, v6
	s_barrier
	buffer_gl0_inv
	ds_store_b64 v0, v[13:14]
	ds_store_b64 v1, v[17:18]
	;; [unrolled: 1-line block ×3, first 2 shown]
	s_waitcnt lgkmcnt(0)
	s_barrier
	buffer_gl0_inv
	ds_load_2addr_b64 v[0:3], v28 offset1:32
	ds_load_b64 v[4:5], v28 offset:512
	s_add_u32 s16, s16, 8
	s_addc_u32 s17, s17, 0
	s_waitcnt lgkmcnt(0)
	s_barrier
	s_cbranch_execz .LBB122_1
.LBB122_4:                              ;   Parent Loop BB122_2 Depth=1
                                        ; =>  This Inner Loop Header: Depth=2
	v_dual_mov_b32 v14, v1 :: v_dual_mov_b32 v13, v0
	buffer_gl0_inv
	ds_store_2addr_b64 v19, v[9:10], v[11:12] offset0:4 offset1:5
	ds_store_2addr_b64 v22, v[9:10], v[11:12] offset0:2 offset1:3
	s_waitcnt lgkmcnt(0)
	s_barrier
	v_lshrrev_b64 v[6:7], s16, v[13:14]
	buffer_gl0_inv
	; wave barrier
	v_and_b32_e32 v0, 1, v6
	v_lshlrev_b32_e32 v1, 30, v6
	v_lshlrev_b32_e32 v7, 29, v6
	;; [unrolled: 1-line block ×4, first 2 shown]
	v_add_co_u32 v0, s13, v0, -1
	s_delay_alu instid0(VALU_DEP_1)
	v_cndmask_b32_e64 v16, 0, 1, s13
	v_not_b32_e32 v31, v1
	v_cmp_gt_i32_e64 s13, 0, v1
	v_not_b32_e32 v1, v7
	v_lshlrev_b32_e32 v18, 26, v6
	v_cmp_ne_u32_e32 vcc_lo, 0, v16
	v_ashrrev_i32_e32 v31, 31, v31
	v_lshlrev_b32_e32 v30, 25, v6
	v_ashrrev_i32_e32 v1, 31, v1
	v_lshlrev_b32_e32 v16, 24, v6
	v_xor_b32_e32 v0, vcc_lo, v0
	v_cmp_gt_i32_e32 vcc_lo, 0, v7
	v_not_b32_e32 v7, v15
	v_xor_b32_e32 v31, s13, v31
	v_cmp_gt_i32_e64 s13, 0, v15
	v_and_b32_e32 v0, exec_lo, v0
	v_not_b32_e32 v15, v17
	v_ashrrev_i32_e32 v7, 31, v7
	v_xor_b32_e32 v1, vcc_lo, v1
	v_cmp_gt_i32_e32 vcc_lo, 0, v17
	v_and_b32_e32 v0, v0, v31
	v_not_b32_e32 v17, v18
	v_ashrrev_i32_e32 v15, 31, v15
	v_xor_b32_e32 v7, s13, v7
	v_cmp_gt_i32_e64 s13, 0, v18
	v_and_b32_e32 v0, v0, v1
	v_not_b32_e32 v1, v30
	v_ashrrev_i32_e32 v17, 31, v17
	v_xor_b32_e32 v15, vcc_lo, v15
	v_cmp_gt_i32_e32 vcc_lo, 0, v30
	v_and_b32_e32 v0, v0, v7
	v_not_b32_e32 v7, v16
	v_ashrrev_i32_e32 v1, 31, v1
	v_xor_b32_e32 v17, s13, v17
	v_cmp_gt_i32_e64 s13, 0, v16
	v_and_b32_e32 v0, v0, v15
	v_ashrrev_i32_e32 v7, 31, v7
	v_xor_b32_e32 v1, vcc_lo, v1
	v_dual_mov_b32 v16, v5 :: v_dual_mov_b32 v15, v4
	s_delay_alu instid0(VALU_DEP_4) | instskip(NEXT) | instid1(VALU_DEP_4)
	v_and_b32_e32 v0, v0, v17
	v_xor_b32_e32 v7, s13, v7
	v_dual_mov_b32 v18, v3 :: v_dual_mov_b32 v17, v2
	s_delay_alu instid0(VALU_DEP_3) | instskip(SKIP_1) | instid1(VALU_DEP_2)
	v_and_b32_e32 v0, v0, v1
	v_and_b32_e32 v1, 0xff, v6
	;; [unrolled: 1-line block ×3, first 2 shown]
	s_delay_alu instid0(VALU_DEP_2) | instskip(NEXT) | instid1(VALU_DEP_2)
	v_lshl_add_u32 v1, v1, 3, v23
	v_mbcnt_lo_u32_b32 v30, v0, 0
	v_cmp_ne_u32_e64 s13, 0, v0
	s_delay_alu instid0(VALU_DEP_3) | instskip(NEXT) | instid1(VALU_DEP_3)
	v_lshl_add_u32 v31, v1, 2, 32
	v_cmp_eq_u32_e32 vcc_lo, 0, v30
	s_delay_alu instid0(VALU_DEP_3) | instskip(NEXT) | instid1(SALU_CYCLE_1)
	s_and_b32 s20, s13, vcc_lo
	s_and_saveexec_b32 s13, s20
	s_cbranch_execz .LBB122_6
; %bb.5:                                ;   in Loop: Header=BB122_4 Depth=2
	v_bcnt_u32_b32 v0, v0, 0
	ds_store_b32 v31, v0
.LBB122_6:                              ;   in Loop: Header=BB122_4 Depth=2
	s_or_b32 exec_lo, exec_lo, s13
	v_lshrrev_b64 v[0:1], s16, v[17:18]
	; wave barrier
	s_delay_alu instid0(VALU_DEP_1)
	v_and_b32_e32 v2, 1, v0
	v_lshlrev_b32_e32 v3, 30, v0
	v_lshlrev_b32_e32 v4, 29, v0
	;; [unrolled: 1-line block ×4, first 2 shown]
	v_add_co_u32 v2, s13, v2, -1
	s_delay_alu instid0(VALU_DEP_1)
	v_cndmask_b32_e64 v6, 0, 1, s13
	v_not_b32_e32 v34, v3
	v_cmp_gt_i32_e64 s13, 0, v3
	v_not_b32_e32 v3, v4
	v_lshlrev_b32_e32 v32, 26, v0
	v_cmp_ne_u32_e32 vcc_lo, 0, v6
	v_ashrrev_i32_e32 v6, 31, v34
	v_lshlrev_b32_e32 v33, 25, v0
	v_ashrrev_i32_e32 v3, 31, v3
	v_and_b32_e32 v1, 0xff, v0
	v_xor_b32_e32 v2, vcc_lo, v2
	v_cmp_gt_i32_e32 vcc_lo, 0, v4
	v_not_b32_e32 v4, v5
	v_xor_b32_e32 v6, s13, v6
	v_cmp_gt_i32_e64 s13, 0, v5
	v_and_b32_e32 v2, exec_lo, v2
	v_not_b32_e32 v5, v7
	v_ashrrev_i32_e32 v4, 31, v4
	v_xor_b32_e32 v3, vcc_lo, v3
	v_cmp_gt_i32_e32 vcc_lo, 0, v7
	v_and_b32_e32 v2, v2, v6
	v_not_b32_e32 v6, v32
	v_ashrrev_i32_e32 v5, 31, v5
	v_xor_b32_e32 v4, s13, v4
	v_lshlrev_b32_e32 v0, 24, v0
	v_and_b32_e32 v2, v2, v3
	v_cmp_gt_i32_e64 s13, 0, v32
	v_not_b32_e32 v3, v33
	v_ashrrev_i32_e32 v6, 31, v6
	v_xor_b32_e32 v5, vcc_lo, v5
	v_and_b32_e32 v2, v2, v4
	v_cmp_gt_i32_e32 vcc_lo, 0, v33
	v_not_b32_e32 v4, v0
	v_ashrrev_i32_e32 v3, 31, v3
	v_xor_b32_e32 v6, s13, v6
	v_and_b32_e32 v2, v2, v5
	v_lshlrev_b32_e32 v1, 3, v1
	v_cmp_gt_i32_e64 s13, 0, v0
	v_ashrrev_i32_e32 v0, 31, v4
	v_xor_b32_e32 v3, vcc_lo, v3
	v_and_b32_e32 v2, v2, v6
	v_add_lshl_u32 v1, v1, v23, 2
	s_delay_alu instid0(VALU_DEP_4) | instskip(NEXT) | instid1(VALU_DEP_3)
	v_xor_b32_e32 v0, s13, v0
	v_and_b32_e32 v2, v2, v3
	ds_load_b32 v32, v1 offset:32
	v_add_nc_u32_e32 v34, 32, v1
	; wave barrier
	v_and_b32_e32 v0, v2, v0
	s_delay_alu instid0(VALU_DEP_1) | instskip(SKIP_1) | instid1(VALU_DEP_2)
	v_mbcnt_lo_u32_b32 v33, v0, 0
	v_cmp_ne_u32_e64 s13, 0, v0
	v_cmp_eq_u32_e32 vcc_lo, 0, v33
	s_delay_alu instid0(VALU_DEP_2) | instskip(NEXT) | instid1(SALU_CYCLE_1)
	s_and_b32 s20, s13, vcc_lo
	s_and_saveexec_b32 s13, s20
	s_cbranch_execz .LBB122_8
; %bb.7:                                ;   in Loop: Header=BB122_4 Depth=2
	s_waitcnt lgkmcnt(0)
	v_bcnt_u32_b32 v0, v0, v32
	ds_store_b32 v34, v0
.LBB122_8:                              ;   in Loop: Header=BB122_4 Depth=2
	s_or_b32 exec_lo, exec_lo, s13
	v_lshrrev_b64 v[0:1], s16, v[15:16]
	; wave barrier
	s_delay_alu instid0(VALU_DEP_1)
	v_and_b32_e32 v2, 1, v0
	v_lshlrev_b32_e32 v3, 30, v0
	v_lshlrev_b32_e32 v4, 29, v0
	;; [unrolled: 1-line block ×4, first 2 shown]
	v_add_co_u32 v2, s13, v2, -1
	s_delay_alu instid0(VALU_DEP_1)
	v_cndmask_b32_e64 v6, 0, 1, s13
	v_not_b32_e32 v37, v3
	v_cmp_gt_i32_e64 s13, 0, v3
	v_not_b32_e32 v3, v4
	v_lshlrev_b32_e32 v35, 26, v0
	v_cmp_ne_u32_e32 vcc_lo, 0, v6
	v_ashrrev_i32_e32 v6, 31, v37
	v_lshlrev_b32_e32 v36, 25, v0
	v_ashrrev_i32_e32 v3, 31, v3
	v_and_b32_e32 v1, 0xff, v0
	v_xor_b32_e32 v2, vcc_lo, v2
	v_cmp_gt_i32_e32 vcc_lo, 0, v4
	v_not_b32_e32 v4, v5
	v_xor_b32_e32 v6, s13, v6
	v_cmp_gt_i32_e64 s13, 0, v5
	v_and_b32_e32 v2, exec_lo, v2
	v_not_b32_e32 v5, v7
	v_ashrrev_i32_e32 v4, 31, v4
	v_xor_b32_e32 v3, vcc_lo, v3
	v_cmp_gt_i32_e32 vcc_lo, 0, v7
	v_and_b32_e32 v2, v2, v6
	v_not_b32_e32 v6, v35
	v_ashrrev_i32_e32 v5, 31, v5
	v_xor_b32_e32 v4, s13, v4
	v_lshlrev_b32_e32 v0, 24, v0
	v_and_b32_e32 v2, v2, v3
	v_cmp_gt_i32_e64 s13, 0, v35
	v_not_b32_e32 v3, v36
	v_ashrrev_i32_e32 v6, 31, v6
	v_xor_b32_e32 v5, vcc_lo, v5
	v_and_b32_e32 v2, v2, v4
	v_cmp_gt_i32_e32 vcc_lo, 0, v36
	v_not_b32_e32 v4, v0
	v_ashrrev_i32_e32 v3, 31, v3
	v_xor_b32_e32 v6, s13, v6
	v_and_b32_e32 v2, v2, v5
	v_lshlrev_b32_e32 v1, 3, v1
	v_cmp_gt_i32_e64 s13, 0, v0
	v_ashrrev_i32_e32 v0, 31, v4
	v_xor_b32_e32 v3, vcc_lo, v3
	v_and_b32_e32 v2, v2, v6
	v_add_lshl_u32 v1, v1, v23, 2
	s_delay_alu instid0(VALU_DEP_4) | instskip(NEXT) | instid1(VALU_DEP_3)
	v_xor_b32_e32 v0, s13, v0
	v_and_b32_e32 v2, v2, v3
	ds_load_b32 v35, v1 offset:32
	v_add_nc_u32_e32 v37, 32, v1
	; wave barrier
	v_and_b32_e32 v0, v2, v0
	s_delay_alu instid0(VALU_DEP_1) | instskip(SKIP_1) | instid1(VALU_DEP_2)
	v_mbcnt_lo_u32_b32 v36, v0, 0
	v_cmp_ne_u32_e64 s13, 0, v0
	v_cmp_eq_u32_e32 vcc_lo, 0, v36
	s_delay_alu instid0(VALU_DEP_2) | instskip(NEXT) | instid1(SALU_CYCLE_1)
	s_and_b32 s20, s13, vcc_lo
	s_and_saveexec_b32 s13, s20
	s_cbranch_execz .LBB122_10
; %bb.9:                                ;   in Loop: Header=BB122_4 Depth=2
	s_waitcnt lgkmcnt(0)
	v_bcnt_u32_b32 v0, v0, v35
	ds_store_b32 v37, v0
.LBB122_10:                             ;   in Loop: Header=BB122_4 Depth=2
	s_or_b32 exec_lo, exec_lo, s13
	; wave barrier
	s_waitcnt lgkmcnt(0)
	s_barrier
	buffer_gl0_inv
	ds_load_2addr_b64 v[4:7], v19 offset0:4 offset1:5
	ds_load_2addr_b64 v[0:3], v22 offset0:2 offset1:3
	s_waitcnt lgkmcnt(1)
	v_add_nc_u32_e32 v38, v5, v4
	s_delay_alu instid0(VALU_DEP_1) | instskip(SKIP_1) | instid1(VALU_DEP_1)
	v_add3_u32 v38, v38, v6, v7
	s_waitcnt lgkmcnt(0)
	v_add3_u32 v38, v38, v0, v1
	s_delay_alu instid0(VALU_DEP_1) | instskip(NEXT) | instid1(VALU_DEP_1)
	v_add3_u32 v3, v38, v2, v3
	v_mov_b32_dpp v38, v3 row_shr:1 row_mask:0xf bank_mask:0xf
	s_delay_alu instid0(VALU_DEP_1) | instskip(NEXT) | instid1(VALU_DEP_1)
	v_cndmask_b32_e64 v38, v38, 0, s0
	v_add_nc_u32_e32 v3, v38, v3
	s_delay_alu instid0(VALU_DEP_1) | instskip(NEXT) | instid1(VALU_DEP_1)
	v_mov_b32_dpp v38, v3 row_shr:2 row_mask:0xf bank_mask:0xf
	v_cndmask_b32_e64 v38, 0, v38, s1
	s_delay_alu instid0(VALU_DEP_1) | instskip(NEXT) | instid1(VALU_DEP_1)
	v_add_nc_u32_e32 v3, v3, v38
	v_mov_b32_dpp v38, v3 row_shr:4 row_mask:0xf bank_mask:0xf
	s_delay_alu instid0(VALU_DEP_1) | instskip(NEXT) | instid1(VALU_DEP_1)
	v_cndmask_b32_e64 v38, 0, v38, s2
	v_add_nc_u32_e32 v3, v3, v38
	s_delay_alu instid0(VALU_DEP_1) | instskip(NEXT) | instid1(VALU_DEP_1)
	v_mov_b32_dpp v38, v3 row_shr:8 row_mask:0xf bank_mask:0xf
	v_cndmask_b32_e64 v38, 0, v38, s3
	s_delay_alu instid0(VALU_DEP_1) | instskip(SKIP_3) | instid1(VALU_DEP_1)
	v_add_nc_u32_e32 v3, v3, v38
	ds_swizzle_b32 v38, v3 offset:swizzle(BROADCAST,32,15)
	s_waitcnt lgkmcnt(0)
	v_cndmask_b32_e64 v38, v38, 0, s4
	v_add_nc_u32_e32 v3, v3, v38
	s_and_saveexec_b32 s13, s5
	s_cbranch_execz .LBB122_12
; %bb.11:                               ;   in Loop: Header=BB122_4 Depth=2
	ds_store_b32 v25, v3
.LBB122_12:                             ;   in Loop: Header=BB122_4 Depth=2
	s_or_b32 exec_lo, exec_lo, s13
	s_waitcnt lgkmcnt(0)
	s_barrier
	buffer_gl0_inv
	s_and_saveexec_b32 s13, s6
	s_cbranch_execz .LBB122_14
; %bb.13:                               ;   in Loop: Header=BB122_4 Depth=2
	ds_load_b32 v38, v26
	s_waitcnt lgkmcnt(0)
	v_mov_b32_dpp v39, v38 row_shr:1 row_mask:0xf bank_mask:0xf
	s_delay_alu instid0(VALU_DEP_1) | instskip(NEXT) | instid1(VALU_DEP_1)
	v_cndmask_b32_e64 v39, v39, 0, s10
	v_add_nc_u32_e32 v38, v39, v38
	s_delay_alu instid0(VALU_DEP_1) | instskip(NEXT) | instid1(VALU_DEP_1)
	v_mov_b32_dpp v39, v38 row_shr:2 row_mask:0xf bank_mask:0xf
	v_cndmask_b32_e64 v39, 0, v39, s11
	s_delay_alu instid0(VALU_DEP_1) | instskip(NEXT) | instid1(VALU_DEP_1)
	v_add_nc_u32_e32 v38, v38, v39
	v_mov_b32_dpp v39, v38 row_shr:4 row_mask:0xf bank_mask:0xf
	s_delay_alu instid0(VALU_DEP_1) | instskip(NEXT) | instid1(VALU_DEP_1)
	v_cndmask_b32_e64 v39, 0, v39, s12
	v_add_nc_u32_e32 v38, v38, v39
	ds_store_b32 v26, v38
.LBB122_14:                             ;   in Loop: Header=BB122_4 Depth=2
	s_or_b32 exec_lo, exec_lo, s13
	v_mov_b32_e32 v38, 0
	s_waitcnt lgkmcnt(0)
	s_barrier
	buffer_gl0_inv
	s_and_saveexec_b32 s13, s7
	s_cbranch_execz .LBB122_16
; %bb.15:                               ;   in Loop: Header=BB122_4 Depth=2
	ds_load_b32 v38, v27
.LBB122_16:                             ;   in Loop: Header=BB122_4 Depth=2
	s_or_b32 exec_lo, exec_lo, s13
	s_waitcnt lgkmcnt(0)
	v_add_nc_u32_e32 v3, v38, v3
	s_cmp_gt_u32 s16, 55
	ds_bpermute_b32 v3, v24, v3
	s_waitcnt lgkmcnt(0)
	v_cndmask_b32_e64 v3, v3, v38, s8
	s_delay_alu instid0(VALU_DEP_1) | instskip(NEXT) | instid1(VALU_DEP_1)
	v_cndmask_b32_e64 v3, v3, 0, s9
	v_add_nc_u32_e32 v4, v3, v4
	s_delay_alu instid0(VALU_DEP_1) | instskip(NEXT) | instid1(VALU_DEP_1)
	v_add_nc_u32_e32 v5, v4, v5
	v_add_nc_u32_e32 v6, v5, v6
	s_delay_alu instid0(VALU_DEP_1) | instskip(NEXT) | instid1(VALU_DEP_1)
	v_add_nc_u32_e32 v38, v6, v7
	v_add_nc_u32_e32 v39, v38, v0
	s_delay_alu instid0(VALU_DEP_1) | instskip(NEXT) | instid1(VALU_DEP_1)
	v_add_nc_u32_e32 v0, v39, v1
	v_add_nc_u32_e32 v1, v0, v2
	ds_store_2addr_b64 v19, v[3:4], v[5:6] offset0:4 offset1:5
	ds_store_2addr_b64 v22, v[38:39], v[0:1] offset0:2 offset1:3
	s_waitcnt lgkmcnt(0)
	s_barrier
	buffer_gl0_inv
	ds_load_b32 v0, v31
	ds_load_b32 v1, v34
	;; [unrolled: 1-line block ×3, first 2 shown]
	s_waitcnt lgkmcnt(2)
	v_add_nc_u32_e32 v30, v0, v30
	s_waitcnt lgkmcnt(1)
	v_add3_u32 v7, v33, v32, v1
	s_waitcnt lgkmcnt(0)
	v_add3_u32 v6, v36, v35, v2
	s_cbranch_scc0 .LBB122_3
; %bb.17:                               ;   in Loop: Header=BB122_2 Depth=1
                                        ; implicit-def: $vgpr4_vgpr5
                                        ; implicit-def: $vgpr2_vgpr3
                                        ; implicit-def: $sgpr16_sgpr17
	s_branch .LBB122_1
.LBB122_18:
	v_lshlrev_b32_e32 v0, 3, v8
	s_add_u32 s0, s18, s14
	s_addc_u32 s1, s19, s15
	s_delay_alu instid0(VALU_DEP_1) | instskip(NEXT) | instid1(VALU_DEP_1)
	v_add_co_u32 v7, s2, s0, v0
	v_add_co_ci_u32_e64 v8, null, s1, 0, s2
	s_delay_alu instid0(VALU_DEP_2) | instskip(NEXT) | instid1(VALU_DEP_2)
	v_add_co_u32 v7, vcc_lo, 0x1000, v7
	v_add_co_ci_u32_e32 v8, vcc_lo, 0, v8, vcc_lo
	s_clause 0x2
	global_store_b64 v0, v[1:2], s[0:1]
	global_store_b64 v0, v[3:4], s[0:1] offset:2048
	global_store_b64 v[7:8], v[5:6], off
	s_nop 0
	s_sendmsg sendmsg(MSG_DEALLOC_VGPRS)
	s_endpgm
	.section	.rodata,"a",@progbits
	.p2align	6, 0x0
	.amdhsa_kernel _Z16sort_keys_kernelI22helper_blocked_blockedxLj256ELj3ELj10EEvPKT0_PS1_
		.amdhsa_group_segment_fixed_size 8224
		.amdhsa_private_segment_fixed_size 0
		.amdhsa_kernarg_size 272
		.amdhsa_user_sgpr_count 15
		.amdhsa_user_sgpr_dispatch_ptr 0
		.amdhsa_user_sgpr_queue_ptr 0
		.amdhsa_user_sgpr_kernarg_segment_ptr 1
		.amdhsa_user_sgpr_dispatch_id 0
		.amdhsa_user_sgpr_private_segment_size 0
		.amdhsa_wavefront_size32 1
		.amdhsa_uses_dynamic_stack 0
		.amdhsa_enable_private_segment 0
		.amdhsa_system_sgpr_workgroup_id_x 1
		.amdhsa_system_sgpr_workgroup_id_y 0
		.amdhsa_system_sgpr_workgroup_id_z 0
		.amdhsa_system_sgpr_workgroup_info 0
		.amdhsa_system_vgpr_workitem_id 2
		.amdhsa_next_free_vgpr 40
		.amdhsa_next_free_sgpr 22
		.amdhsa_reserve_vcc 1
		.amdhsa_float_round_mode_32 0
		.amdhsa_float_round_mode_16_64 0
		.amdhsa_float_denorm_mode_32 3
		.amdhsa_float_denorm_mode_16_64 3
		.amdhsa_dx10_clamp 1
		.amdhsa_ieee_mode 1
		.amdhsa_fp16_overflow 0
		.amdhsa_workgroup_processor_mode 1
		.amdhsa_memory_ordered 1
		.amdhsa_forward_progress 0
		.amdhsa_shared_vgpr_count 0
		.amdhsa_exception_fp_ieee_invalid_op 0
		.amdhsa_exception_fp_denorm_src 0
		.amdhsa_exception_fp_ieee_div_zero 0
		.amdhsa_exception_fp_ieee_overflow 0
		.amdhsa_exception_fp_ieee_underflow 0
		.amdhsa_exception_fp_ieee_inexact 0
		.amdhsa_exception_int_div_zero 0
	.end_amdhsa_kernel
	.section	.text._Z16sort_keys_kernelI22helper_blocked_blockedxLj256ELj3ELj10EEvPKT0_PS1_,"axG",@progbits,_Z16sort_keys_kernelI22helper_blocked_blockedxLj256ELj3ELj10EEvPKT0_PS1_,comdat
.Lfunc_end122:
	.size	_Z16sort_keys_kernelI22helper_blocked_blockedxLj256ELj3ELj10EEvPKT0_PS1_, .Lfunc_end122-_Z16sort_keys_kernelI22helper_blocked_blockedxLj256ELj3ELj10EEvPKT0_PS1_
                                        ; -- End function
	.section	.AMDGPU.csdata,"",@progbits
; Kernel info:
; codeLenInByte = 2516
; NumSgprs: 24
; NumVgprs: 40
; ScratchSize: 0
; MemoryBound: 0
; FloatMode: 240
; IeeeMode: 1
; LDSByteSize: 8224 bytes/workgroup (compile time only)
; SGPRBlocks: 2
; VGPRBlocks: 4
; NumSGPRsForWavesPerEU: 24
; NumVGPRsForWavesPerEU: 40
; Occupancy: 16
; WaveLimiterHint : 1
; COMPUTE_PGM_RSRC2:SCRATCH_EN: 0
; COMPUTE_PGM_RSRC2:USER_SGPR: 15
; COMPUTE_PGM_RSRC2:TRAP_HANDLER: 0
; COMPUTE_PGM_RSRC2:TGID_X_EN: 1
; COMPUTE_PGM_RSRC2:TGID_Y_EN: 0
; COMPUTE_PGM_RSRC2:TGID_Z_EN: 0
; COMPUTE_PGM_RSRC2:TIDIG_COMP_CNT: 2
	.section	.text._Z17sort_pairs_kernelI22helper_blocked_blockedxLj256ELj3ELj10EEvPKT0_PS1_,"axG",@progbits,_Z17sort_pairs_kernelI22helper_blocked_blockedxLj256ELj3ELj10EEvPKT0_PS1_,comdat
	.protected	_Z17sort_pairs_kernelI22helper_blocked_blockedxLj256ELj3ELj10EEvPKT0_PS1_ ; -- Begin function _Z17sort_pairs_kernelI22helper_blocked_blockedxLj256ELj3ELj10EEvPKT0_PS1_
	.globl	_Z17sort_pairs_kernelI22helper_blocked_blockedxLj256ELj3ELj10EEvPKT0_PS1_
	.p2align	8
	.type	_Z17sort_pairs_kernelI22helper_blocked_blockedxLj256ELj3ELj10EEvPKT0_PS1_,@function
_Z17sort_pairs_kernelI22helper_blocked_blockedxLj256ELj3ELj10EEvPKT0_PS1_: ; @_Z17sort_pairs_kernelI22helper_blocked_blockedxLj256ELj3ELj10EEvPKT0_PS1_
; %bb.0:
	s_clause 0x1
	s_load_b128 s[16:19], s[0:1], 0x0
	s_load_b32 s12, s[0:1], 0x1c
	v_and_b32_e32 v9, 0x3ff, v0
	s_mov_b32 s21, 0
	s_mul_i32 s20, s15, 0x300
	v_mbcnt_lo_u32_b32 v7, -1, 0
	s_lshl_b64 s[14:15], s[20:21], 3
	s_mov_b32 s20, s21
	s_delay_alu instid0(SALU_CYCLE_1) | instskip(NEXT) | instid1(VALU_DEP_2)
	v_dual_mov_b32 v12, s20 :: v_dual_lshlrev_b32 v3, 3, v9
	v_add_nc_u32_e32 v16, -1, v7
	v_dual_mov_b32 v13, s21 :: v_dual_and_b32 v8, 16, v7
	v_and_b32_e32 v17, 7, v7
	s_delay_alu instid0(VALU_DEP_2) | instskip(NEXT) | instid1(VALU_DEP_2)
	v_cmp_eq_u32_e64 s5, 0, v8
	v_cmp_eq_u32_e64 s9, 0, v17
	v_cmp_lt_u32_e64 s10, 1, v17
	s_waitcnt lgkmcnt(0)
	s_add_u32 s0, s16, s14
	s_addc_u32 s1, s17, s15
	v_add_co_u32 v4, s2, s0, v3
	s_delay_alu instid0(VALU_DEP_1)
	v_add_co_ci_u32_e64 v6, null, s1, 0, s2
	global_load_b64 v[1:2], v3, s[0:1]
	v_add_co_u32 v5, vcc_lo, 0x1000, v4
	v_add_co_ci_u32_e32 v6, vcc_lo, 0, v6, vcc_lo
	v_cmp_gt_i32_e32 vcc_lo, 0, v16
	s_lshr_b32 s13, s12, 16
	s_clause 0x1
	global_load_b64 v[3:4], v3, s[0:1] offset:2048
	global_load_b64 v[14:15], v[5:6], off
	s_mov_b32 s1, s21
	s_mov_b32 s0, s21
	v_dual_mov_b32 v11, s1 :: v_dual_and_b32 v6, 15, v7
	v_bfe_u32 v5, v0, 10, 10
	v_bfe_u32 v0, v0, 20, 10
	v_mov_b32_e32 v10, s0
	v_lshlrev_b32_e32 v30, 5, v9
	v_cmp_eq_u32_e64 s1, 0, v6
	v_cmp_lt_u32_e64 s2, 1, v6
	v_cmp_lt_u32_e64 s3, 3, v6
	;; [unrolled: 1-line block ×3, first 2 shown]
	v_and_b32_e32 v6, 0xe0, v9
	v_dual_cndmask_b32 v8, v16, v7 :: v_dual_add_nc_u32 v31, 32, v30
	v_mad_u32_u24 v0, v0, s13, v5
	v_lshrrev_b32_e32 v18, 5, v9
	s_and_b32 s12, s12, 0xffff
	v_cmp_lt_u32_e64 s11, 3, v17
	v_or_b32_e32 v17, 31, v6
	v_lshlrev_b32_e32 v32, 2, v8
	v_mul_u32_u24_e32 v8, 3, v6
	v_mad_u64_u32 v[5:6], null, v0, s12, v[9:10]
	v_mul_u32_u24_e32 v16, 0x60, v18
	v_lshlrev_b32_e32 v33, 2, v18
	s_delay_alu instid0(VALU_DEP_4)
	v_or_b32_e32 v6, v7, v8
	v_cmp_eq_u32_e64 s0, 0, v7
	v_mul_u32_u24_e32 v19, 20, v9
	v_lshlrev_b32_e32 v18, 3, v16
	v_lshrrev_b32_e32 v39, 5, v5
	v_lshlrev_b32_e32 v38, 3, v6
	v_mad_i32_i24 v34, 0xffffffe4, v9, v30
	v_or_b32_e32 v0, v7, v16
	v_mad_u32_u24 v36, v7, 24, v18
	v_cmp_gt_u32_e64 s6, 8, v9
	v_cmp_lt_u32_e64 s7, 31, v9
	v_cmp_eq_u32_e64 s8, 0, v9
	v_cmp_eq_u32_e64 s12, v17, v9
	v_add_nc_u32_e32 v35, -4, v33
	v_lshlrev_b32_e32 v37, 3, v0
	v_add_nc_u32_e32 v40, v34, v19
	s_waitcnt vmcnt(2)
	v_add_co_u32 v5, vcc_lo, v1, 1
	v_add_co_ci_u32_e32 v6, vcc_lo, 0, v2, vcc_lo
	s_waitcnt vmcnt(1)
	v_add_co_u32 v7, vcc_lo, v3, 1
	v_add_co_ci_u32_e32 v8, vcc_lo, 0, v4, vcc_lo
	;; [unrolled: 3-line block ×3, first 2 shown]
	s_branch .LBB123_2
.LBB123_1:                              ;   in Loop: Header=BB123_2 Depth=1
	v_lshlrev_b32_e32 v0, 3, v44
	v_lshlrev_b32_e32 v5, 3, v43
	;; [unrolled: 1-line block ×3, first 2 shown]
	s_barrier
	buffer_gl0_inv
	ds_store_b64 v0, v[14:15]
	ds_store_b64 v5, v[24:25]
	;; [unrolled: 1-line block ×3, first 2 shown]
	s_waitcnt lgkmcnt(0)
	s_barrier
	buffer_gl0_inv
	ds_load_2addr_b64 v[1:4], v40 offset1:1
	ds_load_b64 v[14:15], v40 offset:16
	s_waitcnt lgkmcnt(0)
	s_barrier
	buffer_gl0_inv
	ds_store_b64 v0, v[20:21]
	ds_store_b64 v5, v[18:19]
	;; [unrolled: 1-line block ×3, first 2 shown]
	s_waitcnt lgkmcnt(0)
	s_barrier
	buffer_gl0_inv
	ds_load_2addr_b64 v[5:8], v40 offset1:1
	ds_load_b64 v[16:17], v40 offset:16
	s_add_i32 s21, s21, 1
	s_delay_alu instid0(SALU_CYCLE_1)
	s_cmp_eq_u32 s21, 10
	v_xor_b32_e32 v2, 0x80000000, v2
	v_xor_b32_e32 v4, 0x80000000, v4
	;; [unrolled: 1-line block ×3, first 2 shown]
	s_cbranch_scc1 .LBB123_18
.LBB123_2:                              ; =>This Loop Header: Depth=1
                                        ;     Child Loop BB123_4 Depth 2
	s_delay_alu instid0(VALU_DEP_3) | instskip(NEXT) | instid1(VALU_DEP_3)
	v_xor_b32_e32 v2, 0x80000000, v2
	v_xor_b32_e32 v4, 0x80000000, v4
	s_delay_alu instid0(VALU_DEP_3)
	v_xor_b32_e32 v15, 0x80000000, v15
	s_mov_b64 s[16:17], 0
	ds_store_2addr_b64 v36, v[1:2], v[3:4] offset1:1
	ds_store_b64 v36, v[14:15] offset:16
	; wave barrier
	ds_load_2addr_b64 v[0:3], v37 offset1:32
	ds_load_b64 v[26:27], v37 offset:512
	; wave barrier
	s_waitcnt lgkmcnt(5)
	ds_store_2addr_b64 v36, v[5:6], v[7:8] offset1:1
	s_waitcnt lgkmcnt(5)
	ds_store_b64 v36, v[16:17] offset:16
	; wave barrier
	ds_load_2addr_b64 v[4:7], v37 offset1:32
	ds_load_b64 v[28:29], v37 offset:512
	s_waitcnt lgkmcnt(0)
	s_barrier
	s_branch .LBB123_4
.LBB123_3:                              ;   in Loop: Header=BB123_4 Depth=2
	v_lshlrev_b32_e32 v4, 3, v44
	v_lshlrev_b32_e32 v5, 3, v43
	s_delay_alu instid0(VALU_DEP_3)
	v_lshlrev_b32_e32 v6, 3, v8
	s_barrier
	buffer_gl0_inv
	ds_store_b64 v4, v[14:15]
	ds_store_b64 v5, v[24:25]
	;; [unrolled: 1-line block ×3, first 2 shown]
	s_waitcnt lgkmcnt(0)
	s_barrier
	buffer_gl0_inv
	ds_load_2addr_b64 v[0:3], v38 offset1:32
	ds_load_b64 v[26:27], v38 offset:512
	s_waitcnt lgkmcnt(0)
	s_barrier
	buffer_gl0_inv
	ds_store_b64 v4, v[20:21]
	ds_store_b64 v5, v[18:19]
	;; [unrolled: 1-line block ×3, first 2 shown]
	s_waitcnt lgkmcnt(0)
	s_barrier
	buffer_gl0_inv
	ds_load_2addr_b64 v[4:7], v38 offset1:32
	ds_load_b64 v[28:29], v38 offset:512
	s_add_u32 s16, s16, 8
	s_addc_u32 s17, s17, 0
	s_waitcnt lgkmcnt(0)
	s_barrier
	s_cbranch_execz .LBB123_1
.LBB123_4:                              ;   Parent Loop BB123_2 Depth=1
                                        ; =>  This Inner Loop Header: Depth=2
	v_dual_mov_b32 v15, v1 :: v_dual_mov_b32 v14, v0
	buffer_gl0_inv
	ds_store_2addr_b64 v30, v[12:13], v[10:11] offset0:4 offset1:5
	ds_store_2addr_b64 v31, v[12:13], v[10:11] offset0:2 offset1:3
	s_waitcnt lgkmcnt(0)
	s_barrier
	v_lshrrev_b64 v[41:42], s16, v[14:15]
	buffer_gl0_inv
	; wave barrier
	v_dual_mov_b32 v22, v26 :: v_dual_mov_b32 v25, v3
	v_dual_mov_b32 v23, v27 :: v_dual_and_b32 v0, 1, v41
	v_lshlrev_b32_e32 v1, 30, v41
	v_lshlrev_b32_e32 v8, 29, v41
	;; [unrolled: 1-line block ×3, first 2 shown]
	s_delay_alu instid0(VALU_DEP_4) | instskip(NEXT) | instid1(VALU_DEP_1)
	v_add_co_u32 v0, s13, v0, -1
	v_cndmask_b32_e64 v17, 0, 1, s13
	v_not_b32_e32 v21, v1
	v_cmp_gt_i32_e64 s13, 0, v1
	v_not_b32_e32 v1, v8
	v_lshlrev_b32_e32 v18, 27, v41
	v_cmp_ne_u32_e32 vcc_lo, 0, v17
	v_ashrrev_i32_e32 v21, 31, v21
	v_dual_mov_b32 v24, v2 :: v_dual_lshlrev_b32 v19, 26, v41
	v_ashrrev_i32_e32 v1, 31, v1
	v_xor_b32_e32 v0, vcc_lo, v0
	v_cmp_gt_i32_e32 vcc_lo, 0, v8
	v_not_b32_e32 v8, v16
	v_xor_b32_e32 v21, s13, v21
	v_cmp_gt_i32_e64 s13, 0, v16
	v_and_b32_e32 v0, exec_lo, v0
	v_not_b32_e32 v16, v18
	v_ashrrev_i32_e32 v8, 31, v8
	v_xor_b32_e32 v1, vcc_lo, v1
	v_cmp_gt_i32_e32 vcc_lo, 0, v18
	v_and_b32_e32 v0, v0, v21
	v_not_b32_e32 v18, v19
	v_ashrrev_i32_e32 v16, 31, v16
	v_xor_b32_e32 v8, s13, v8
	v_cmp_gt_i32_e64 s13, 0, v19
	v_and_b32_e32 v0, v0, v1
	v_ashrrev_i32_e32 v18, 31, v18
	v_xor_b32_e32 v16, vcc_lo, v16
	v_lshlrev_b32_e32 v20, 25, v41
	v_lshlrev_b32_e32 v17, 24, v41
	v_and_b32_e32 v0, v0, v8
	v_xor_b32_e32 v18, s13, v18
	s_delay_alu instid0(VALU_DEP_2) | instskip(NEXT) | instid1(VALU_DEP_1)
	v_and_b32_e32 v0, v0, v16
	v_dual_mov_b32 v19, v7 :: v_dual_and_b32 v0, v0, v18
	v_mov_b32_e32 v18, v6
	v_not_b32_e32 v1, v20
	v_cmp_gt_i32_e32 vcc_lo, 0, v20
	v_not_b32_e32 v8, v17
	v_cmp_gt_i32_e64 s13, 0, v17
	v_mov_b32_e32 v16, v28
	v_ashrrev_i32_e32 v1, 31, v1
	v_mov_b32_e32 v21, v5
	v_ashrrev_i32_e32 v8, 31, v8
	v_dual_mov_b32 v17, v29 :: v_dual_mov_b32 v20, v4
	s_delay_alu instid0(VALU_DEP_4) | instskip(NEXT) | instid1(VALU_DEP_3)
	v_xor_b32_e32 v1, vcc_lo, v1
	v_xor_b32_e32 v8, s13, v8
	s_delay_alu instid0(VALU_DEP_2) | instskip(SKIP_1) | instid1(VALU_DEP_2)
	v_and_b32_e32 v0, v0, v1
	v_and_b32_e32 v1, 0xff, v41
	;; [unrolled: 1-line block ×3, first 2 shown]
	s_delay_alu instid0(VALU_DEP_2) | instskip(NEXT) | instid1(VALU_DEP_2)
	v_lshl_add_u32 v1, v1, 3, v39
	v_mbcnt_lo_u32_b32 v8, v0, 0
	v_cmp_ne_u32_e64 s13, 0, v0
	s_delay_alu instid0(VALU_DEP_3) | instskip(NEXT) | instid1(VALU_DEP_3)
	v_lshl_add_u32 v26, v1, 2, 32
	v_cmp_eq_u32_e32 vcc_lo, 0, v8
	s_delay_alu instid0(VALU_DEP_3) | instskip(NEXT) | instid1(SALU_CYCLE_1)
	s_and_b32 s20, s13, vcc_lo
	s_and_saveexec_b32 s13, s20
	s_cbranch_execz .LBB123_6
; %bb.5:                                ;   in Loop: Header=BB123_4 Depth=2
	v_bcnt_u32_b32 v0, v0, 0
	ds_store_b32 v26, v0
.LBB123_6:                              ;   in Loop: Header=BB123_4 Depth=2
	s_or_b32 exec_lo, exec_lo, s13
	v_lshrrev_b64 v[0:1], s16, v[24:25]
	; wave barrier
	s_delay_alu instid0(VALU_DEP_1)
	v_and_b32_e32 v2, 1, v0
	v_lshlrev_b32_e32 v3, 30, v0
	v_lshlrev_b32_e32 v4, 29, v0
	;; [unrolled: 1-line block ×4, first 2 shown]
	v_add_co_u32 v2, s13, v2, -1
	s_delay_alu instid0(VALU_DEP_1)
	v_cndmask_b32_e64 v6, 0, 1, s13
	v_not_b32_e32 v29, v3
	v_cmp_gt_i32_e64 s13, 0, v3
	v_not_b32_e32 v3, v4
	v_lshlrev_b32_e32 v27, 26, v0
	v_cmp_ne_u32_e32 vcc_lo, 0, v6
	v_ashrrev_i32_e32 v6, 31, v29
	v_lshlrev_b32_e32 v28, 25, v0
	v_ashrrev_i32_e32 v3, 31, v3
	v_and_b32_e32 v1, 0xff, v0
	v_xor_b32_e32 v2, vcc_lo, v2
	v_cmp_gt_i32_e32 vcc_lo, 0, v4
	v_not_b32_e32 v4, v5
	v_xor_b32_e32 v6, s13, v6
	v_cmp_gt_i32_e64 s13, 0, v5
	v_and_b32_e32 v2, exec_lo, v2
	v_not_b32_e32 v5, v7
	v_ashrrev_i32_e32 v4, 31, v4
	v_xor_b32_e32 v3, vcc_lo, v3
	v_cmp_gt_i32_e32 vcc_lo, 0, v7
	v_and_b32_e32 v2, v2, v6
	v_not_b32_e32 v6, v27
	v_ashrrev_i32_e32 v5, 31, v5
	v_xor_b32_e32 v4, s13, v4
	v_lshlrev_b32_e32 v0, 24, v0
	v_and_b32_e32 v2, v2, v3
	v_cmp_gt_i32_e64 s13, 0, v27
	v_not_b32_e32 v3, v28
	v_ashrrev_i32_e32 v6, 31, v6
	v_xor_b32_e32 v5, vcc_lo, v5
	v_and_b32_e32 v2, v2, v4
	v_cmp_gt_i32_e32 vcc_lo, 0, v28
	v_not_b32_e32 v4, v0
	v_ashrrev_i32_e32 v3, 31, v3
	v_xor_b32_e32 v6, s13, v6
	v_and_b32_e32 v2, v2, v5
	v_lshlrev_b32_e32 v1, 3, v1
	v_cmp_gt_i32_e64 s13, 0, v0
	v_ashrrev_i32_e32 v0, 31, v4
	v_xor_b32_e32 v3, vcc_lo, v3
	v_and_b32_e32 v2, v2, v6
	v_add_lshl_u32 v1, v1, v39, 2
	s_delay_alu instid0(VALU_DEP_4) | instskip(NEXT) | instid1(VALU_DEP_3)
	v_xor_b32_e32 v0, s13, v0
	v_and_b32_e32 v2, v2, v3
	ds_load_b32 v27, v1 offset:32
	v_add_nc_u32_e32 v29, 32, v1
	; wave barrier
	v_and_b32_e32 v0, v2, v0
	s_delay_alu instid0(VALU_DEP_1) | instskip(SKIP_1) | instid1(VALU_DEP_2)
	v_mbcnt_lo_u32_b32 v28, v0, 0
	v_cmp_ne_u32_e64 s13, 0, v0
	v_cmp_eq_u32_e32 vcc_lo, 0, v28
	s_delay_alu instid0(VALU_DEP_2) | instskip(NEXT) | instid1(SALU_CYCLE_1)
	s_and_b32 s20, s13, vcc_lo
	s_and_saveexec_b32 s13, s20
	s_cbranch_execz .LBB123_8
; %bb.7:                                ;   in Loop: Header=BB123_4 Depth=2
	s_waitcnt lgkmcnt(0)
	v_bcnt_u32_b32 v0, v0, v27
	ds_store_b32 v29, v0
.LBB123_8:                              ;   in Loop: Header=BB123_4 Depth=2
	s_or_b32 exec_lo, exec_lo, s13
	v_lshrrev_b64 v[0:1], s16, v[22:23]
	; wave barrier
	s_delay_alu instid0(VALU_DEP_1)
	v_and_b32_e32 v2, 1, v0
	v_lshlrev_b32_e32 v3, 30, v0
	v_lshlrev_b32_e32 v4, 29, v0
	;; [unrolled: 1-line block ×4, first 2 shown]
	v_add_co_u32 v2, s13, v2, -1
	s_delay_alu instid0(VALU_DEP_1)
	v_cndmask_b32_e64 v6, 0, 1, s13
	v_not_b32_e32 v43, v3
	v_cmp_gt_i32_e64 s13, 0, v3
	v_not_b32_e32 v3, v4
	v_lshlrev_b32_e32 v41, 26, v0
	v_cmp_ne_u32_e32 vcc_lo, 0, v6
	v_ashrrev_i32_e32 v6, 31, v43
	v_lshlrev_b32_e32 v42, 25, v0
	v_ashrrev_i32_e32 v3, 31, v3
	v_and_b32_e32 v1, 0xff, v0
	v_xor_b32_e32 v2, vcc_lo, v2
	v_cmp_gt_i32_e32 vcc_lo, 0, v4
	v_not_b32_e32 v4, v5
	v_xor_b32_e32 v6, s13, v6
	v_cmp_gt_i32_e64 s13, 0, v5
	v_and_b32_e32 v2, exec_lo, v2
	v_not_b32_e32 v5, v7
	v_ashrrev_i32_e32 v4, 31, v4
	v_xor_b32_e32 v3, vcc_lo, v3
	v_cmp_gt_i32_e32 vcc_lo, 0, v7
	v_and_b32_e32 v2, v2, v6
	v_not_b32_e32 v6, v41
	v_ashrrev_i32_e32 v5, 31, v5
	v_xor_b32_e32 v4, s13, v4
	v_lshlrev_b32_e32 v0, 24, v0
	v_and_b32_e32 v2, v2, v3
	v_cmp_gt_i32_e64 s13, 0, v41
	v_not_b32_e32 v3, v42
	v_ashrrev_i32_e32 v6, 31, v6
	v_xor_b32_e32 v5, vcc_lo, v5
	v_and_b32_e32 v2, v2, v4
	v_cmp_gt_i32_e32 vcc_lo, 0, v42
	v_not_b32_e32 v4, v0
	v_ashrrev_i32_e32 v3, 31, v3
	v_xor_b32_e32 v6, s13, v6
	v_and_b32_e32 v2, v2, v5
	v_lshlrev_b32_e32 v1, 3, v1
	v_cmp_gt_i32_e64 s13, 0, v0
	v_ashrrev_i32_e32 v0, 31, v4
	v_xor_b32_e32 v3, vcc_lo, v3
	v_and_b32_e32 v2, v2, v6
	v_add_lshl_u32 v1, v1, v39, 2
	s_delay_alu instid0(VALU_DEP_4) | instskip(NEXT) | instid1(VALU_DEP_3)
	v_xor_b32_e32 v0, s13, v0
	v_and_b32_e32 v2, v2, v3
	ds_load_b32 v41, v1 offset:32
	v_add_nc_u32_e32 v43, 32, v1
	; wave barrier
	v_and_b32_e32 v0, v2, v0
	s_delay_alu instid0(VALU_DEP_1) | instskip(SKIP_1) | instid1(VALU_DEP_2)
	v_mbcnt_lo_u32_b32 v42, v0, 0
	v_cmp_ne_u32_e64 s13, 0, v0
	v_cmp_eq_u32_e32 vcc_lo, 0, v42
	s_delay_alu instid0(VALU_DEP_2) | instskip(NEXT) | instid1(SALU_CYCLE_1)
	s_and_b32 s20, s13, vcc_lo
	s_and_saveexec_b32 s13, s20
	s_cbranch_execz .LBB123_10
; %bb.9:                                ;   in Loop: Header=BB123_4 Depth=2
	s_waitcnt lgkmcnt(0)
	v_bcnt_u32_b32 v0, v0, v41
	ds_store_b32 v43, v0
.LBB123_10:                             ;   in Loop: Header=BB123_4 Depth=2
	s_or_b32 exec_lo, exec_lo, s13
	; wave barrier
	s_waitcnt lgkmcnt(0)
	s_barrier
	buffer_gl0_inv
	ds_load_2addr_b64 v[4:7], v30 offset0:4 offset1:5
	ds_load_2addr_b64 v[0:3], v31 offset0:2 offset1:3
	s_waitcnt lgkmcnt(1)
	v_add_nc_u32_e32 v44, v5, v4
	s_delay_alu instid0(VALU_DEP_1) | instskip(SKIP_1) | instid1(VALU_DEP_1)
	v_add3_u32 v44, v44, v6, v7
	s_waitcnt lgkmcnt(0)
	v_add3_u32 v44, v44, v0, v1
	s_delay_alu instid0(VALU_DEP_1) | instskip(NEXT) | instid1(VALU_DEP_1)
	v_add3_u32 v3, v44, v2, v3
	v_mov_b32_dpp v44, v3 row_shr:1 row_mask:0xf bank_mask:0xf
	s_delay_alu instid0(VALU_DEP_1) | instskip(NEXT) | instid1(VALU_DEP_1)
	v_cndmask_b32_e64 v44, v44, 0, s1
	v_add_nc_u32_e32 v3, v44, v3
	s_delay_alu instid0(VALU_DEP_1) | instskip(NEXT) | instid1(VALU_DEP_1)
	v_mov_b32_dpp v44, v3 row_shr:2 row_mask:0xf bank_mask:0xf
	v_cndmask_b32_e64 v44, 0, v44, s2
	s_delay_alu instid0(VALU_DEP_1) | instskip(NEXT) | instid1(VALU_DEP_1)
	v_add_nc_u32_e32 v3, v3, v44
	v_mov_b32_dpp v44, v3 row_shr:4 row_mask:0xf bank_mask:0xf
	s_delay_alu instid0(VALU_DEP_1) | instskip(NEXT) | instid1(VALU_DEP_1)
	v_cndmask_b32_e64 v44, 0, v44, s3
	v_add_nc_u32_e32 v3, v3, v44
	s_delay_alu instid0(VALU_DEP_1) | instskip(NEXT) | instid1(VALU_DEP_1)
	v_mov_b32_dpp v44, v3 row_shr:8 row_mask:0xf bank_mask:0xf
	v_cndmask_b32_e64 v44, 0, v44, s4
	s_delay_alu instid0(VALU_DEP_1) | instskip(SKIP_3) | instid1(VALU_DEP_1)
	v_add_nc_u32_e32 v3, v3, v44
	ds_swizzle_b32 v44, v3 offset:swizzle(BROADCAST,32,15)
	s_waitcnt lgkmcnt(0)
	v_cndmask_b32_e64 v44, v44, 0, s5
	v_add_nc_u32_e32 v3, v3, v44
	s_and_saveexec_b32 s13, s12
	s_cbranch_execz .LBB123_12
; %bb.11:                               ;   in Loop: Header=BB123_4 Depth=2
	ds_store_b32 v33, v3
.LBB123_12:                             ;   in Loop: Header=BB123_4 Depth=2
	s_or_b32 exec_lo, exec_lo, s13
	s_waitcnt lgkmcnt(0)
	s_barrier
	buffer_gl0_inv
	s_and_saveexec_b32 s13, s6
	s_cbranch_execz .LBB123_14
; %bb.13:                               ;   in Loop: Header=BB123_4 Depth=2
	ds_load_b32 v44, v34
	s_waitcnt lgkmcnt(0)
	v_mov_b32_dpp v45, v44 row_shr:1 row_mask:0xf bank_mask:0xf
	s_delay_alu instid0(VALU_DEP_1) | instskip(NEXT) | instid1(VALU_DEP_1)
	v_cndmask_b32_e64 v45, v45, 0, s9
	v_add_nc_u32_e32 v44, v45, v44
	s_delay_alu instid0(VALU_DEP_1) | instskip(NEXT) | instid1(VALU_DEP_1)
	v_mov_b32_dpp v45, v44 row_shr:2 row_mask:0xf bank_mask:0xf
	v_cndmask_b32_e64 v45, 0, v45, s10
	s_delay_alu instid0(VALU_DEP_1) | instskip(NEXT) | instid1(VALU_DEP_1)
	v_add_nc_u32_e32 v44, v44, v45
	v_mov_b32_dpp v45, v44 row_shr:4 row_mask:0xf bank_mask:0xf
	s_delay_alu instid0(VALU_DEP_1) | instskip(NEXT) | instid1(VALU_DEP_1)
	v_cndmask_b32_e64 v45, 0, v45, s11
	v_add_nc_u32_e32 v44, v44, v45
	ds_store_b32 v34, v44
.LBB123_14:                             ;   in Loop: Header=BB123_4 Depth=2
	s_or_b32 exec_lo, exec_lo, s13
	v_mov_b32_e32 v44, 0
	s_waitcnt lgkmcnt(0)
	s_barrier
	buffer_gl0_inv
	s_and_saveexec_b32 s13, s7
	s_cbranch_execz .LBB123_16
; %bb.15:                               ;   in Loop: Header=BB123_4 Depth=2
	ds_load_b32 v44, v35
.LBB123_16:                             ;   in Loop: Header=BB123_4 Depth=2
	s_or_b32 exec_lo, exec_lo, s13
	s_waitcnt lgkmcnt(0)
	v_add_nc_u32_e32 v3, v44, v3
	s_cmp_gt_u32 s16, 55
	ds_bpermute_b32 v3, v32, v3
	s_waitcnt lgkmcnt(0)
	v_cndmask_b32_e64 v3, v3, v44, s0
	s_delay_alu instid0(VALU_DEP_1) | instskip(NEXT) | instid1(VALU_DEP_1)
	v_cndmask_b32_e64 v3, v3, 0, s8
	v_add_nc_u32_e32 v4, v3, v4
	s_delay_alu instid0(VALU_DEP_1) | instskip(NEXT) | instid1(VALU_DEP_1)
	v_add_nc_u32_e32 v5, v4, v5
	v_add_nc_u32_e32 v6, v5, v6
	s_delay_alu instid0(VALU_DEP_1) | instskip(NEXT) | instid1(VALU_DEP_1)
	v_add_nc_u32_e32 v44, v6, v7
	;; [unrolled: 3-line block ×3, first 2 shown]
	v_add_nc_u32_e32 v1, v0, v2
	ds_store_2addr_b64 v30, v[3:4], v[5:6] offset0:4 offset1:5
	ds_store_2addr_b64 v31, v[44:45], v[0:1] offset0:2 offset1:3
	s_waitcnt lgkmcnt(0)
	s_barrier
	buffer_gl0_inv
	ds_load_b32 v0, v26
	ds_load_b32 v1, v29
	;; [unrolled: 1-line block ×3, first 2 shown]
	s_waitcnt lgkmcnt(2)
	v_add_nc_u32_e32 v44, v0, v8
	s_waitcnt lgkmcnt(1)
	v_add3_u32 v43, v28, v27, v1
	s_waitcnt lgkmcnt(0)
	v_add3_u32 v8, v42, v41, v2
	s_cbranch_scc0 .LBB123_3
; %bb.17:                               ;   in Loop: Header=BB123_2 Depth=1
                                        ; implicit-def: $vgpr26_vgpr27
                                        ; implicit-def: $vgpr2_vgpr3
                                        ; implicit-def: $vgpr28_vgpr29
                                        ; implicit-def: $vgpr6_vgpr7
                                        ; implicit-def: $sgpr16_sgpr17
	s_branch .LBB123_1
.LBB123_18:
	v_lshlrev_b32_e32 v9, 3, v9
	s_waitcnt lgkmcnt(1)
	v_add_co_u32 v0, vcc_lo, v1, v5
	v_add_co_ci_u32_e32 v1, vcc_lo, v2, v6, vcc_lo
	s_add_u32 s0, s18, s14
	v_add_co_u32 v2, vcc_lo, v3, v7
	s_addc_u32 s1, s19, s15
	v_add_co_u32 v6, s2, s0, v9
	v_add_co_ci_u32_e32 v3, vcc_lo, v4, v8, vcc_lo
	v_add_co_ci_u32_e64 v7, null, s1, 0, s2
	s_waitcnt lgkmcnt(0)
	v_add_co_u32 v4, vcc_lo, v14, v16
	v_add_co_ci_u32_e32 v5, vcc_lo, v15, v17, vcc_lo
	v_add_co_u32 v6, vcc_lo, 0x1000, v6
	v_add_co_ci_u32_e32 v7, vcc_lo, 0, v7, vcc_lo
	s_clause 0x2
	global_store_b64 v9, v[0:1], s[0:1]
	global_store_b64 v9, v[2:3], s[0:1] offset:2048
	global_store_b64 v[6:7], v[4:5], off
	s_nop 0
	s_sendmsg sendmsg(MSG_DEALLOC_VGPRS)
	s_endpgm
	.section	.rodata,"a",@progbits
	.p2align	6, 0x0
	.amdhsa_kernel _Z17sort_pairs_kernelI22helper_blocked_blockedxLj256ELj3ELj10EEvPKT0_PS1_
		.amdhsa_group_segment_fixed_size 8224
		.amdhsa_private_segment_fixed_size 0
		.amdhsa_kernarg_size 272
		.amdhsa_user_sgpr_count 15
		.amdhsa_user_sgpr_dispatch_ptr 0
		.amdhsa_user_sgpr_queue_ptr 0
		.amdhsa_user_sgpr_kernarg_segment_ptr 1
		.amdhsa_user_sgpr_dispatch_id 0
		.amdhsa_user_sgpr_private_segment_size 0
		.amdhsa_wavefront_size32 1
		.amdhsa_uses_dynamic_stack 0
		.amdhsa_enable_private_segment 0
		.amdhsa_system_sgpr_workgroup_id_x 1
		.amdhsa_system_sgpr_workgroup_id_y 0
		.amdhsa_system_sgpr_workgroup_id_z 0
		.amdhsa_system_sgpr_workgroup_info 0
		.amdhsa_system_vgpr_workitem_id 2
		.amdhsa_next_free_vgpr 46
		.amdhsa_next_free_sgpr 22
		.amdhsa_reserve_vcc 1
		.amdhsa_float_round_mode_32 0
		.amdhsa_float_round_mode_16_64 0
		.amdhsa_float_denorm_mode_32 3
		.amdhsa_float_denorm_mode_16_64 3
		.amdhsa_dx10_clamp 1
		.amdhsa_ieee_mode 1
		.amdhsa_fp16_overflow 0
		.amdhsa_workgroup_processor_mode 1
		.amdhsa_memory_ordered 1
		.amdhsa_forward_progress 0
		.amdhsa_shared_vgpr_count 0
		.amdhsa_exception_fp_ieee_invalid_op 0
		.amdhsa_exception_fp_denorm_src 0
		.amdhsa_exception_fp_ieee_div_zero 0
		.amdhsa_exception_fp_ieee_overflow 0
		.amdhsa_exception_fp_ieee_underflow 0
		.amdhsa_exception_fp_ieee_inexact 0
		.amdhsa_exception_int_div_zero 0
	.end_amdhsa_kernel
	.section	.text._Z17sort_pairs_kernelI22helper_blocked_blockedxLj256ELj3ELj10EEvPKT0_PS1_,"axG",@progbits,_Z17sort_pairs_kernelI22helper_blocked_blockedxLj256ELj3ELj10EEvPKT0_PS1_,comdat
.Lfunc_end123:
	.size	_Z17sort_pairs_kernelI22helper_blocked_blockedxLj256ELj3ELj10EEvPKT0_PS1_, .Lfunc_end123-_Z17sort_pairs_kernelI22helper_blocked_blockedxLj256ELj3ELj10EEvPKT0_PS1_
                                        ; -- End function
	.section	.AMDGPU.csdata,"",@progbits
; Kernel info:
; codeLenInByte = 2760
; NumSgprs: 24
; NumVgprs: 46
; ScratchSize: 0
; MemoryBound: 0
; FloatMode: 240
; IeeeMode: 1
; LDSByteSize: 8224 bytes/workgroup (compile time only)
; SGPRBlocks: 2
; VGPRBlocks: 5
; NumSGPRsForWavesPerEU: 24
; NumVGPRsForWavesPerEU: 46
; Occupancy: 16
; WaveLimiterHint : 1
; COMPUTE_PGM_RSRC2:SCRATCH_EN: 0
; COMPUTE_PGM_RSRC2:USER_SGPR: 15
; COMPUTE_PGM_RSRC2:TRAP_HANDLER: 0
; COMPUTE_PGM_RSRC2:TGID_X_EN: 1
; COMPUTE_PGM_RSRC2:TGID_Y_EN: 0
; COMPUTE_PGM_RSRC2:TGID_Z_EN: 0
; COMPUTE_PGM_RSRC2:TIDIG_COMP_CNT: 2
	.section	.text._Z16sort_keys_kernelI22helper_blocked_blockedxLj256ELj4ELj10EEvPKT0_PS1_,"axG",@progbits,_Z16sort_keys_kernelI22helper_blocked_blockedxLj256ELj4ELj10EEvPKT0_PS1_,comdat
	.protected	_Z16sort_keys_kernelI22helper_blocked_blockedxLj256ELj4ELj10EEvPKT0_PS1_ ; -- Begin function _Z16sort_keys_kernelI22helper_blocked_blockedxLj256ELj4ELj10EEvPKT0_PS1_
	.globl	_Z16sort_keys_kernelI22helper_blocked_blockedxLj256ELj4ELj10EEvPKT0_PS1_
	.p2align	8
	.type	_Z16sort_keys_kernelI22helper_blocked_blockedxLj256ELj4ELj10EEvPKT0_PS1_,@function
_Z16sort_keys_kernelI22helper_blocked_blockedxLj256ELj4ELj10EEvPKT0_PS1_: ; @_Z16sort_keys_kernelI22helper_blocked_blockedxLj256ELj4ELj10EEvPKT0_PS1_
; %bb.0:
	s_clause 0x1
	s_load_b128 s[16:19], s[0:1], 0x0
	s_load_b32 s2, s[0:1], 0x1c
	s_mov_b32 s23, 0
	s_lshl_b32 s22, s15, 10
	v_mbcnt_lo_u32_b32 v12, -1, 0
	s_lshl_b64 s[20:21], s[22:23], 3
	s_mov_b32 s22, s23
	v_and_b32_e32 v9, 0x3ff, v0
	v_bfe_u32 v10, v0, 10, 10
	v_bfe_u32 v0, v0, 20, 10
	v_and_b32_e32 v13, 3, v12
	v_and_b32_e32 v22, 28, v12
	v_lshlrev_b32_e32 v1, 3, v9
	v_cmp_eq_u32_e64 s11, 0, v12
	s_waitcnt lgkmcnt(0)
	s_add_u32 s0, s16, s20
	s_addc_u32 s1, s17, s21
	v_add_co_u32 v2, s3, s0, v1
	s_delay_alu instid0(VALU_DEP_1) | instskip(SKIP_1) | instid1(VALU_DEP_2)
	v_add_co_ci_u32_e64 v4, null, s1, 0, s3
	s_mov_b32 s16, s23
	v_add_co_u32 v3, vcc_lo, 0x1000, v2
	s_delay_alu instid0(VALU_DEP_2)
	v_add_co_ci_u32_e32 v4, vcc_lo, 0, v4, vcc_lo
	s_mov_b32 s17, s23
	s_clause 0x3
	global_load_b64 v[5:6], v1, s[0:1]
	global_load_b64 v[7:8], v1, s[0:1] offset:2048
	global_load_b64 v[1:2], v[3:4], off
	global_load_b64 v[3:4], v[3:4], off offset:2048
	s_lshr_b32 s1, s2, 16
	s_and_b32 s2, s2, 0xffff
	v_mad_u32_u24 v0, v0, s1, v10
	v_cmp_eq_u32_e64 s0, 3, v13
	v_cmp_eq_u32_e64 s1, 2, v13
	s_delay_alu instid0(VALU_DEP_3) | instskip(SKIP_3) | instid1(VALU_DEP_3)
	v_mad_u64_u32 v[10:11], null, v0, s2, v[9:10]
	v_and_b32_e32 v0, 15, v12
	v_and_b32_e32 v11, 16, v12
	v_cmp_eq_u32_e64 s2, 1, v13
	v_cmp_eq_u32_e64 s3, 0, v0
	v_lshrrev_b32_e32 v28, 5, v10
	v_add_nc_u32_e32 v10, -1, v12
	v_cmp_lt_u32_e64 s4, 1, v0
	v_cmp_lt_u32_e64 s5, 3, v0
	;; [unrolled: 1-line block ×3, first 2 shown]
	v_cmp_eq_u32_e64 s7, 0, v11
	v_cmp_gt_i32_e32 vcc_lo, 0, v10
	v_and_b32_e32 v11, 7, v12
	v_cndmask_b32_e32 v0, v10, v12, vcc_lo
	v_lshlrev_b32_e32 v10, 2, v9
	s_delay_alu instid0(VALU_DEP_3) | instskip(SKIP_4) | instid1(VALU_DEP_1)
	v_cmp_eq_u32_e64 s13, 0, v11
	v_cmp_lt_u32_e64 s14, 1, v11
	v_cmp_lt_u32_e64 s15, 3, v11
	v_lshlrev_b32_e32 v29, 2, v0
	v_lshrrev_b32_e32 v0, 3, v9
	v_and_b32_e32 v30, 28, v0
	v_and_or_b32 v0, 0x380, v10, v12
	v_dual_mov_b32 v10, s22 :: v_dual_lshlrev_b32 v23, 5, v9
	v_or_b32_e32 v13, 31, v9
	v_cmp_gt_u32_e64 s9, 8, v9
	s_delay_alu instid0(VALU_DEP_4)
	v_lshlrev_b32_e32 v33, 3, v0
	v_mul_u32_u24_e32 v0, 28, v9
	v_cmp_lt_u32_e64 s10, 31, v9
	v_cmp_eq_u32_e64 s8, v13, v9
	v_mov_b32_e32 v12, s16
	v_mad_i32_i24 v31, 0xffffffe4, v9, v23
	v_add_nc_u32_e32 v27, 32, v23
	v_cmp_eq_u32_e64 s12, 0, v9
	v_dual_mov_b32 v11, s23 :: v_dual_add_nc_u32 v32, -4, v30
	v_or_b32_e32 v24, 32, v22
	v_or_b32_e32 v25, 64, v22
	;; [unrolled: 1-line block ×3, first 2 shown]
	v_dual_mov_b32 v13, s17 :: v_dual_add_nc_u32 v34, v31, v0
	s_branch .LBB124_2
.LBB124_1:                              ;   in Loop: Header=BB124_2 Depth=1
	v_lshlrev_b32_e32 v0, 3, v38
	v_lshlrev_b32_e32 v1, 3, v36
	;; [unrolled: 1-line block ×4, first 2 shown]
	s_barrier
	buffer_gl0_inv
	ds_store_b64 v0, v[14:15]
	ds_store_b64 v1, v[20:21]
	;; [unrolled: 1-line block ×4, first 2 shown]
	s_waitcnt lgkmcnt(0)
	s_barrier
	buffer_gl0_inv
	ds_load_2addr_b64 v[5:8], v34 offset1:1
	ds_load_2addr_b64 v[1:4], v34 offset0:2 offset1:3
	s_add_i32 s23, s23, 1
	s_delay_alu instid0(SALU_CYCLE_1)
	s_cmp_eq_u32 s23, 10
	s_waitcnt lgkmcnt(1)
	v_xor_b32_e32 v6, 0x80000000, v6
	v_xor_b32_e32 v8, 0x80000000, v8
	s_waitcnt lgkmcnt(0)
	v_xor_b32_e32 v2, 0x80000000, v2
	v_xor_b32_e32 v4, 0x80000000, v4
	s_cbranch_scc1 .LBB124_20
.LBB124_2:                              ; =>This Loop Header: Depth=1
                                        ;     Child Loop BB124_4 Depth 2
	s_waitcnt vmcnt(3)
	v_xor_b32_e32 v0, 0x80000000, v6
	s_waitcnt vmcnt(2)
	v_xor_b32_e32 v6, 0x80000000, v8
	ds_bpermute_b32 v8, v22, v5
	ds_bpermute_b32 v14, v22, v7
	s_waitcnt vmcnt(1)
	v_xor_b32_e32 v2, 0x80000000, v2
	ds_bpermute_b32 v15, v22, v0
	ds_bpermute_b32 v16, v22, v6
	;; [unrolled: 1-line block ×14, first 2 shown]
	s_waitcnt vmcnt(0)
	v_xor_b32_e32 v4, 0x80000000, v4
	ds_bpermute_b32 v37, v24, v1
	ds_bpermute_b32 v43, v26, v2
	ds_bpermute_b32 v21, v22, v3
	s_waitcnt lgkmcnt(17)
	v_cndmask_b32_e64 v8, v8, v14, s2
	ds_bpermute_b32 v14, v25, v6
	ds_bpermute_b32 v6, v26, v6
	s_waitcnt lgkmcnt(17)
	v_cndmask_b32_e64 v15, v15, v16, s2
	ds_bpermute_b32 v16, v26, v0
	s_waitcnt lgkmcnt(17)
	v_cndmask_b32_e64 v0, v8, v17, s1
	s_waitcnt lgkmcnt(15)
	v_cndmask_b32_e64 v8, v18, v19, s2
	ds_bpermute_b32 v18, v25, v1
	s_waitcnt lgkmcnt(15)
	v_cndmask_b32_e64 v15, v15, v20, s1
	ds_bpermute_b32 v19, v25, v2
	ds_bpermute_b32 v20, v26, v1
	;; [unrolled: 1-line block ×9, first 2 shown]
	s_waitcnt lgkmcnt(22)
	v_cndmask_b32_e64 v2, v35, v36, s2
	s_waitcnt lgkmcnt(17)
	v_cndmask_b32_e64 v3, v8, v41, s1
	v_cndmask_b32_e64 v4, v38, v39, s2
	s_waitcnt lgkmcnt(12)
	v_cndmask_b32_e64 v8, v42, v14, s2
	v_cndmask_b32_e64 v5, v5, v7, s2
	v_cndmask_b32_e64 v2, v2, v37, s1
	s_waitcnt lgkmcnt(10)
	v_cndmask_b32_e64 v6, v16, v6, s2
	v_cndmask_b32_e64 v0, v0, v21, s0
	s_mov_b64 s[24:25], 0
	s_waitcnt lgkmcnt(9)
	v_cndmask_b32_e64 v4, v4, v18, s1
	s_waitcnt lgkmcnt(0)
	v_cndmask_b32_e64 v7, v8, v19, s1
	v_cndmask_b32_e64 v8, v5, v20, s1
	;; [unrolled: 1-line block ×10, first 2 shown]
	s_barrier
	s_branch .LBB124_4
.LBB124_3:                              ;   in Loop: Header=BB124_4 Depth=2
	v_lshlrev_b32_e32 v0, 3, v38
	v_lshlrev_b32_e32 v1, 3, v36
	v_lshlrev_b32_e32 v2, 3, v35
	v_lshlrev_b32_e32 v3, 3, v8
	s_barrier
	buffer_gl0_inv
	ds_store_b64 v0, v[14:15]
	ds_store_b64 v1, v[20:21]
	;; [unrolled: 1-line block ×4, first 2 shown]
	s_waitcnt lgkmcnt(0)
	s_barrier
	buffer_gl0_inv
	ds_load_2addr_b64 v[0:3], v33 offset1:32
	ds_load_2addr_b64 v[4:7], v33 offset0:64 offset1:96
	s_add_u32 s24, s24, 8
	s_addc_u32 s25, s25, 0
	s_waitcnt lgkmcnt(0)
	s_barrier
	s_cbranch_execz .LBB124_1
.LBB124_4:                              ;   Parent Loop BB124_2 Depth=1
                                        ; =>  This Inner Loop Header: Depth=2
	v_dual_mov_b32 v15, v1 :: v_dual_mov_b32 v14, v0
	buffer_gl0_inv
	ds_store_2addr_b64 v23, v[10:11], v[12:13] offset0:4 offset1:5
	ds_store_2addr_b64 v27, v[10:11], v[12:13] offset0:2 offset1:3
	s_waitcnt lgkmcnt(0)
	s_barrier
	v_lshrrev_b64 v[35:36], s24, v[14:15]
	buffer_gl0_inv
	; wave barrier
	v_and_b32_e32 v0, 1, v35
	v_lshlrev_b32_e32 v1, 30, v35
	v_lshlrev_b32_e32 v8, 29, v35
	;; [unrolled: 1-line block ×4, first 2 shown]
	v_add_co_u32 v0, s16, v0, -1
	s_delay_alu instid0(VALU_DEP_1)
	v_cndmask_b32_e64 v17, 0, 1, s16
	v_not_b32_e32 v21, v1
	v_cmp_gt_i32_e64 s16, 0, v1
	v_not_b32_e32 v1, v8
	v_lshlrev_b32_e32 v19, 26, v35
	v_cmp_ne_u32_e32 vcc_lo, 0, v17
	v_ashrrev_i32_e32 v21, 31, v21
	v_lshlrev_b32_e32 v20, 25, v35
	v_ashrrev_i32_e32 v1, 31, v1
	v_lshlrev_b32_e32 v17, 24, v35
	v_xor_b32_e32 v0, vcc_lo, v0
	v_cmp_gt_i32_e32 vcc_lo, 0, v8
	v_not_b32_e32 v8, v16
	v_xor_b32_e32 v21, s16, v21
	v_cmp_gt_i32_e64 s16, 0, v16
	v_and_b32_e32 v0, exec_lo, v0
	v_not_b32_e32 v16, v18
	v_ashrrev_i32_e32 v8, 31, v8
	v_xor_b32_e32 v1, vcc_lo, v1
	v_cmp_gt_i32_e32 vcc_lo, 0, v18
	v_and_b32_e32 v0, v0, v21
	v_not_b32_e32 v18, v19
	v_ashrrev_i32_e32 v16, 31, v16
	v_xor_b32_e32 v8, s16, v8
	v_cmp_gt_i32_e64 s16, 0, v19
	v_and_b32_e32 v0, v0, v1
	v_not_b32_e32 v1, v20
	v_ashrrev_i32_e32 v18, 31, v18
	v_xor_b32_e32 v16, vcc_lo, v16
	v_cmp_gt_i32_e32 vcc_lo, 0, v20
	v_dual_mov_b32 v21, v3 :: v_dual_and_b32 v0, v0, v8
	v_mov_b32_e32 v20, v2
	v_not_b32_e32 v8, v17
	v_ashrrev_i32_e32 v1, 31, v1
	v_xor_b32_e32 v18, s16, v18
	v_and_b32_e32 v0, v0, v16
	v_cmp_gt_i32_e64 s16, 0, v17
	v_ashrrev_i32_e32 v8, 31, v8
	v_xor_b32_e32 v1, vcc_lo, v1
	s_delay_alu instid0(VALU_DEP_4) | instskip(SKIP_1) | instid1(VALU_DEP_4)
	v_dual_mov_b32 v17, v7 :: v_dual_and_b32 v0, v0, v18
	v_mov_b32_e32 v19, v5
	v_xor_b32_e32 v8, s16, v8
	v_mov_b32_e32 v16, v6
	v_mov_b32_e32 v18, v4
	v_and_b32_e32 v0, v0, v1
	v_and_b32_e32 v1, 0xff, v35
	s_delay_alu instid0(VALU_DEP_2) | instskip(NEXT) | instid1(VALU_DEP_2)
	v_and_b32_e32 v0, v0, v8
	v_lshl_add_u32 v1, v1, 3, v28
	s_delay_alu instid0(VALU_DEP_2) | instskip(SKIP_1) | instid1(VALU_DEP_3)
	v_mbcnt_lo_u32_b32 v8, v0, 0
	v_cmp_ne_u32_e64 s16, 0, v0
	v_lshl_add_u32 v35, v1, 2, 32
	s_delay_alu instid0(VALU_DEP_3) | instskip(NEXT) | instid1(VALU_DEP_3)
	v_cmp_eq_u32_e32 vcc_lo, 0, v8
	s_and_b32 s17, s16, vcc_lo
	s_delay_alu instid0(SALU_CYCLE_1)
	s_and_saveexec_b32 s16, s17
	s_cbranch_execz .LBB124_6
; %bb.5:                                ;   in Loop: Header=BB124_4 Depth=2
	v_bcnt_u32_b32 v0, v0, 0
	ds_store_b32 v35, v0
.LBB124_6:                              ;   in Loop: Header=BB124_4 Depth=2
	s_or_b32 exec_lo, exec_lo, s16
	v_lshrrev_b64 v[0:1], s24, v[20:21]
	; wave barrier
	s_delay_alu instid0(VALU_DEP_1)
	v_and_b32_e32 v2, 1, v0
	v_lshlrev_b32_e32 v3, 30, v0
	v_lshlrev_b32_e32 v4, 29, v0
	;; [unrolled: 1-line block ×4, first 2 shown]
	v_add_co_u32 v2, s16, v2, -1
	s_delay_alu instid0(VALU_DEP_1)
	v_cndmask_b32_e64 v6, 0, 1, s16
	v_not_b32_e32 v38, v3
	v_cmp_gt_i32_e64 s16, 0, v3
	v_not_b32_e32 v3, v4
	v_lshlrev_b32_e32 v36, 26, v0
	v_cmp_ne_u32_e32 vcc_lo, 0, v6
	v_ashrrev_i32_e32 v6, 31, v38
	v_lshlrev_b32_e32 v37, 25, v0
	v_ashrrev_i32_e32 v3, 31, v3
	v_and_b32_e32 v1, 0xff, v0
	v_xor_b32_e32 v2, vcc_lo, v2
	v_cmp_gt_i32_e32 vcc_lo, 0, v4
	v_not_b32_e32 v4, v5
	v_xor_b32_e32 v6, s16, v6
	v_cmp_gt_i32_e64 s16, 0, v5
	v_and_b32_e32 v2, exec_lo, v2
	v_not_b32_e32 v5, v7
	v_ashrrev_i32_e32 v4, 31, v4
	v_xor_b32_e32 v3, vcc_lo, v3
	v_cmp_gt_i32_e32 vcc_lo, 0, v7
	v_and_b32_e32 v2, v2, v6
	v_not_b32_e32 v6, v36
	v_ashrrev_i32_e32 v5, 31, v5
	v_xor_b32_e32 v4, s16, v4
	v_lshlrev_b32_e32 v0, 24, v0
	v_and_b32_e32 v2, v2, v3
	v_cmp_gt_i32_e64 s16, 0, v36
	v_not_b32_e32 v3, v37
	v_ashrrev_i32_e32 v6, 31, v6
	v_xor_b32_e32 v5, vcc_lo, v5
	v_and_b32_e32 v2, v2, v4
	v_cmp_gt_i32_e32 vcc_lo, 0, v37
	v_not_b32_e32 v4, v0
	v_ashrrev_i32_e32 v3, 31, v3
	v_xor_b32_e32 v6, s16, v6
	v_and_b32_e32 v2, v2, v5
	v_lshlrev_b32_e32 v1, 3, v1
	v_cmp_gt_i32_e64 s16, 0, v0
	v_ashrrev_i32_e32 v0, 31, v4
	v_xor_b32_e32 v3, vcc_lo, v3
	v_and_b32_e32 v2, v2, v6
	v_add_lshl_u32 v1, v1, v28, 2
	s_delay_alu instid0(VALU_DEP_4) | instskip(NEXT) | instid1(VALU_DEP_3)
	v_xor_b32_e32 v0, s16, v0
	v_and_b32_e32 v2, v2, v3
	ds_load_b32 v36, v1 offset:32
	v_add_nc_u32_e32 v38, 32, v1
	; wave barrier
	v_and_b32_e32 v0, v2, v0
	s_delay_alu instid0(VALU_DEP_1) | instskip(SKIP_1) | instid1(VALU_DEP_2)
	v_mbcnt_lo_u32_b32 v37, v0, 0
	v_cmp_ne_u32_e64 s16, 0, v0
	v_cmp_eq_u32_e32 vcc_lo, 0, v37
	s_delay_alu instid0(VALU_DEP_2) | instskip(NEXT) | instid1(SALU_CYCLE_1)
	s_and_b32 s17, s16, vcc_lo
	s_and_saveexec_b32 s16, s17
	s_cbranch_execz .LBB124_8
; %bb.7:                                ;   in Loop: Header=BB124_4 Depth=2
	s_waitcnt lgkmcnt(0)
	v_bcnt_u32_b32 v0, v0, v36
	ds_store_b32 v38, v0
.LBB124_8:                              ;   in Loop: Header=BB124_4 Depth=2
	s_or_b32 exec_lo, exec_lo, s16
	v_lshrrev_b64 v[0:1], s24, v[18:19]
	; wave barrier
	s_delay_alu instid0(VALU_DEP_1)
	v_and_b32_e32 v2, 1, v0
	v_lshlrev_b32_e32 v3, 30, v0
	v_lshlrev_b32_e32 v4, 29, v0
	;; [unrolled: 1-line block ×4, first 2 shown]
	v_add_co_u32 v2, s16, v2, -1
	s_delay_alu instid0(VALU_DEP_1)
	v_cndmask_b32_e64 v6, 0, 1, s16
	v_not_b32_e32 v41, v3
	v_cmp_gt_i32_e64 s16, 0, v3
	v_not_b32_e32 v3, v4
	v_lshlrev_b32_e32 v39, 26, v0
	v_cmp_ne_u32_e32 vcc_lo, 0, v6
	v_ashrrev_i32_e32 v6, 31, v41
	v_lshlrev_b32_e32 v40, 25, v0
	v_ashrrev_i32_e32 v3, 31, v3
	v_and_b32_e32 v1, 0xff, v0
	v_xor_b32_e32 v2, vcc_lo, v2
	v_cmp_gt_i32_e32 vcc_lo, 0, v4
	v_not_b32_e32 v4, v5
	v_xor_b32_e32 v6, s16, v6
	v_cmp_gt_i32_e64 s16, 0, v5
	v_and_b32_e32 v2, exec_lo, v2
	v_not_b32_e32 v5, v7
	v_ashrrev_i32_e32 v4, 31, v4
	v_xor_b32_e32 v3, vcc_lo, v3
	v_cmp_gt_i32_e32 vcc_lo, 0, v7
	v_and_b32_e32 v2, v2, v6
	v_not_b32_e32 v6, v39
	v_ashrrev_i32_e32 v5, 31, v5
	v_xor_b32_e32 v4, s16, v4
	v_lshlrev_b32_e32 v0, 24, v0
	v_and_b32_e32 v2, v2, v3
	v_cmp_gt_i32_e64 s16, 0, v39
	v_not_b32_e32 v3, v40
	v_ashrrev_i32_e32 v6, 31, v6
	v_xor_b32_e32 v5, vcc_lo, v5
	v_and_b32_e32 v2, v2, v4
	v_cmp_gt_i32_e32 vcc_lo, 0, v40
	v_not_b32_e32 v4, v0
	v_ashrrev_i32_e32 v3, 31, v3
	v_xor_b32_e32 v6, s16, v6
	v_and_b32_e32 v2, v2, v5
	v_lshlrev_b32_e32 v1, 3, v1
	v_cmp_gt_i32_e64 s16, 0, v0
	v_ashrrev_i32_e32 v0, 31, v4
	v_xor_b32_e32 v3, vcc_lo, v3
	v_and_b32_e32 v2, v2, v6
	v_add_lshl_u32 v1, v1, v28, 2
	s_delay_alu instid0(VALU_DEP_4) | instskip(NEXT) | instid1(VALU_DEP_3)
	v_xor_b32_e32 v0, s16, v0
	v_and_b32_e32 v2, v2, v3
	ds_load_b32 v39, v1 offset:32
	v_add_nc_u32_e32 v41, 32, v1
	; wave barrier
	v_and_b32_e32 v0, v2, v0
	s_delay_alu instid0(VALU_DEP_1) | instskip(SKIP_1) | instid1(VALU_DEP_2)
	v_mbcnt_lo_u32_b32 v40, v0, 0
	v_cmp_ne_u32_e64 s16, 0, v0
	v_cmp_eq_u32_e32 vcc_lo, 0, v40
	s_delay_alu instid0(VALU_DEP_2) | instskip(NEXT) | instid1(SALU_CYCLE_1)
	s_and_b32 s17, s16, vcc_lo
	s_and_saveexec_b32 s16, s17
	s_cbranch_execz .LBB124_10
; %bb.9:                                ;   in Loop: Header=BB124_4 Depth=2
	s_waitcnt lgkmcnt(0)
	v_bcnt_u32_b32 v0, v0, v39
	ds_store_b32 v41, v0
.LBB124_10:                             ;   in Loop: Header=BB124_4 Depth=2
	s_or_b32 exec_lo, exec_lo, s16
	v_lshrrev_b64 v[0:1], s24, v[16:17]
	; wave barrier
	s_delay_alu instid0(VALU_DEP_1)
	v_and_b32_e32 v2, 1, v0
	v_lshlrev_b32_e32 v3, 30, v0
	v_lshlrev_b32_e32 v4, 29, v0
	;; [unrolled: 1-line block ×4, first 2 shown]
	v_add_co_u32 v2, s16, v2, -1
	s_delay_alu instid0(VALU_DEP_1)
	v_cndmask_b32_e64 v6, 0, 1, s16
	v_not_b32_e32 v44, v3
	v_cmp_gt_i32_e64 s16, 0, v3
	v_not_b32_e32 v3, v4
	v_lshlrev_b32_e32 v42, 26, v0
	v_cmp_ne_u32_e32 vcc_lo, 0, v6
	v_ashrrev_i32_e32 v6, 31, v44
	v_lshlrev_b32_e32 v43, 25, v0
	v_ashrrev_i32_e32 v3, 31, v3
	v_and_b32_e32 v1, 0xff, v0
	v_xor_b32_e32 v2, vcc_lo, v2
	v_cmp_gt_i32_e32 vcc_lo, 0, v4
	v_not_b32_e32 v4, v5
	v_xor_b32_e32 v6, s16, v6
	v_cmp_gt_i32_e64 s16, 0, v5
	v_and_b32_e32 v2, exec_lo, v2
	v_not_b32_e32 v5, v7
	v_ashrrev_i32_e32 v4, 31, v4
	v_xor_b32_e32 v3, vcc_lo, v3
	v_cmp_gt_i32_e32 vcc_lo, 0, v7
	v_and_b32_e32 v2, v2, v6
	v_not_b32_e32 v6, v42
	v_ashrrev_i32_e32 v5, 31, v5
	v_xor_b32_e32 v4, s16, v4
	v_lshlrev_b32_e32 v0, 24, v0
	v_and_b32_e32 v2, v2, v3
	v_cmp_gt_i32_e64 s16, 0, v42
	v_not_b32_e32 v3, v43
	v_ashrrev_i32_e32 v6, 31, v6
	v_xor_b32_e32 v5, vcc_lo, v5
	v_and_b32_e32 v2, v2, v4
	v_cmp_gt_i32_e32 vcc_lo, 0, v43
	v_not_b32_e32 v4, v0
	v_ashrrev_i32_e32 v3, 31, v3
	v_xor_b32_e32 v6, s16, v6
	v_and_b32_e32 v2, v2, v5
	v_lshlrev_b32_e32 v1, 3, v1
	v_cmp_gt_i32_e64 s16, 0, v0
	v_ashrrev_i32_e32 v0, 31, v4
	v_xor_b32_e32 v3, vcc_lo, v3
	v_and_b32_e32 v2, v2, v6
	v_add_lshl_u32 v1, v1, v28, 2
	s_delay_alu instid0(VALU_DEP_4) | instskip(NEXT) | instid1(VALU_DEP_3)
	v_xor_b32_e32 v0, s16, v0
	v_and_b32_e32 v2, v2, v3
	ds_load_b32 v42, v1 offset:32
	v_add_nc_u32_e32 v44, 32, v1
	; wave barrier
	v_and_b32_e32 v0, v2, v0
	s_delay_alu instid0(VALU_DEP_1) | instskip(SKIP_1) | instid1(VALU_DEP_2)
	v_mbcnt_lo_u32_b32 v43, v0, 0
	v_cmp_ne_u32_e64 s16, 0, v0
	v_cmp_eq_u32_e32 vcc_lo, 0, v43
	s_delay_alu instid0(VALU_DEP_2) | instskip(NEXT) | instid1(SALU_CYCLE_1)
	s_and_b32 s17, s16, vcc_lo
	s_and_saveexec_b32 s16, s17
	s_cbranch_execz .LBB124_12
; %bb.11:                               ;   in Loop: Header=BB124_4 Depth=2
	s_waitcnt lgkmcnt(0)
	v_bcnt_u32_b32 v0, v0, v42
	ds_store_b32 v44, v0
.LBB124_12:                             ;   in Loop: Header=BB124_4 Depth=2
	s_or_b32 exec_lo, exec_lo, s16
	; wave barrier
	s_waitcnt lgkmcnt(0)
	s_barrier
	buffer_gl0_inv
	ds_load_2addr_b64 v[4:7], v23 offset0:4 offset1:5
	ds_load_2addr_b64 v[0:3], v27 offset0:2 offset1:3
	s_waitcnt lgkmcnt(1)
	v_add_nc_u32_e32 v45, v5, v4
	s_delay_alu instid0(VALU_DEP_1) | instskip(SKIP_1) | instid1(VALU_DEP_1)
	v_add3_u32 v45, v45, v6, v7
	s_waitcnt lgkmcnt(0)
	v_add3_u32 v45, v45, v0, v1
	s_delay_alu instid0(VALU_DEP_1) | instskip(NEXT) | instid1(VALU_DEP_1)
	v_add3_u32 v3, v45, v2, v3
	v_mov_b32_dpp v45, v3 row_shr:1 row_mask:0xf bank_mask:0xf
	s_delay_alu instid0(VALU_DEP_1) | instskip(NEXT) | instid1(VALU_DEP_1)
	v_cndmask_b32_e64 v45, v45, 0, s3
	v_add_nc_u32_e32 v3, v45, v3
	s_delay_alu instid0(VALU_DEP_1) | instskip(NEXT) | instid1(VALU_DEP_1)
	v_mov_b32_dpp v45, v3 row_shr:2 row_mask:0xf bank_mask:0xf
	v_cndmask_b32_e64 v45, 0, v45, s4
	s_delay_alu instid0(VALU_DEP_1) | instskip(NEXT) | instid1(VALU_DEP_1)
	v_add_nc_u32_e32 v3, v3, v45
	v_mov_b32_dpp v45, v3 row_shr:4 row_mask:0xf bank_mask:0xf
	s_delay_alu instid0(VALU_DEP_1) | instskip(NEXT) | instid1(VALU_DEP_1)
	v_cndmask_b32_e64 v45, 0, v45, s5
	v_add_nc_u32_e32 v3, v3, v45
	s_delay_alu instid0(VALU_DEP_1) | instskip(NEXT) | instid1(VALU_DEP_1)
	v_mov_b32_dpp v45, v3 row_shr:8 row_mask:0xf bank_mask:0xf
	v_cndmask_b32_e64 v45, 0, v45, s6
	s_delay_alu instid0(VALU_DEP_1) | instskip(SKIP_3) | instid1(VALU_DEP_1)
	v_add_nc_u32_e32 v3, v3, v45
	ds_swizzle_b32 v45, v3 offset:swizzle(BROADCAST,32,15)
	s_waitcnt lgkmcnt(0)
	v_cndmask_b32_e64 v45, v45, 0, s7
	v_add_nc_u32_e32 v3, v3, v45
	s_and_saveexec_b32 s16, s8
	s_cbranch_execz .LBB124_14
; %bb.13:                               ;   in Loop: Header=BB124_4 Depth=2
	ds_store_b32 v30, v3
.LBB124_14:                             ;   in Loop: Header=BB124_4 Depth=2
	s_or_b32 exec_lo, exec_lo, s16
	s_waitcnt lgkmcnt(0)
	s_barrier
	buffer_gl0_inv
	s_and_saveexec_b32 s16, s9
	s_cbranch_execz .LBB124_16
; %bb.15:                               ;   in Loop: Header=BB124_4 Depth=2
	ds_load_b32 v45, v31
	s_waitcnt lgkmcnt(0)
	v_mov_b32_dpp v46, v45 row_shr:1 row_mask:0xf bank_mask:0xf
	s_delay_alu instid0(VALU_DEP_1) | instskip(NEXT) | instid1(VALU_DEP_1)
	v_cndmask_b32_e64 v46, v46, 0, s13
	v_add_nc_u32_e32 v45, v46, v45
	s_delay_alu instid0(VALU_DEP_1) | instskip(NEXT) | instid1(VALU_DEP_1)
	v_mov_b32_dpp v46, v45 row_shr:2 row_mask:0xf bank_mask:0xf
	v_cndmask_b32_e64 v46, 0, v46, s14
	s_delay_alu instid0(VALU_DEP_1) | instskip(NEXT) | instid1(VALU_DEP_1)
	v_add_nc_u32_e32 v45, v45, v46
	v_mov_b32_dpp v46, v45 row_shr:4 row_mask:0xf bank_mask:0xf
	s_delay_alu instid0(VALU_DEP_1) | instskip(NEXT) | instid1(VALU_DEP_1)
	v_cndmask_b32_e64 v46, 0, v46, s15
	v_add_nc_u32_e32 v45, v45, v46
	ds_store_b32 v31, v45
.LBB124_16:                             ;   in Loop: Header=BB124_4 Depth=2
	s_or_b32 exec_lo, exec_lo, s16
	v_mov_b32_e32 v45, 0
	s_waitcnt lgkmcnt(0)
	s_barrier
	buffer_gl0_inv
	s_and_saveexec_b32 s16, s10
	s_cbranch_execz .LBB124_18
; %bb.17:                               ;   in Loop: Header=BB124_4 Depth=2
	ds_load_b32 v45, v32
.LBB124_18:                             ;   in Loop: Header=BB124_4 Depth=2
	s_or_b32 exec_lo, exec_lo, s16
	s_waitcnt lgkmcnt(0)
	v_add_nc_u32_e32 v3, v45, v3
	s_cmp_gt_u32 s24, 55
	ds_bpermute_b32 v3, v29, v3
	s_waitcnt lgkmcnt(0)
	v_cndmask_b32_e64 v3, v3, v45, s11
	s_delay_alu instid0(VALU_DEP_1) | instskip(NEXT) | instid1(VALU_DEP_1)
	v_cndmask_b32_e64 v3, v3, 0, s12
	v_add_nc_u32_e32 v4, v3, v4
	s_delay_alu instid0(VALU_DEP_1) | instskip(NEXT) | instid1(VALU_DEP_1)
	v_add_nc_u32_e32 v5, v4, v5
	v_add_nc_u32_e32 v6, v5, v6
	s_delay_alu instid0(VALU_DEP_1) | instskip(NEXT) | instid1(VALU_DEP_1)
	v_add_nc_u32_e32 v45, v6, v7
	;; [unrolled: 3-line block ×3, first 2 shown]
	v_add_nc_u32_e32 v1, v0, v2
	ds_store_2addr_b64 v23, v[3:4], v[5:6] offset0:4 offset1:5
	ds_store_2addr_b64 v27, v[45:46], v[0:1] offset0:2 offset1:3
	s_waitcnt lgkmcnt(0)
	s_barrier
	buffer_gl0_inv
	ds_load_b32 v0, v35
	ds_load_b32 v1, v38
	;; [unrolled: 1-line block ×4, first 2 shown]
	s_waitcnt lgkmcnt(3)
	v_add_nc_u32_e32 v38, v0, v8
	s_waitcnt lgkmcnt(2)
	v_add3_u32 v36, v37, v36, v1
	s_waitcnt lgkmcnt(1)
	v_add3_u32 v35, v40, v39, v2
	;; [unrolled: 2-line block ×3, first 2 shown]
	s_cbranch_scc0 .LBB124_3
; %bb.19:                               ;   in Loop: Header=BB124_2 Depth=1
                                        ; implicit-def: $vgpr6_vgpr7
                                        ; implicit-def: $vgpr2_vgpr3
                                        ; implicit-def: $sgpr24_sgpr25
	s_branch .LBB124_1
.LBB124_20:
	v_lshlrev_b32_e32 v0, 3, v9
	s_add_u32 s0, s18, s20
	s_addc_u32 s1, s19, s21
	s_delay_alu instid0(VALU_DEP_1) | instskip(NEXT) | instid1(VALU_DEP_1)
	v_add_co_u32 v9, s2, s0, v0
	v_add_co_ci_u32_e64 v10, null, s1, 0, s2
	s_delay_alu instid0(VALU_DEP_2) | instskip(NEXT) | instid1(VALU_DEP_2)
	v_add_co_u32 v9, vcc_lo, 0x1000, v9
	v_add_co_ci_u32_e32 v10, vcc_lo, 0, v10, vcc_lo
	s_clause 0x3
	global_store_b64 v0, v[5:6], s[0:1]
	global_store_b64 v0, v[7:8], s[0:1] offset:2048
	global_store_b64 v[9:10], v[1:2], off
	global_store_b64 v[9:10], v[3:4], off offset:2048
	s_nop 0
	s_sendmsg sendmsg(MSG_DEALLOC_VGPRS)
	s_endpgm
	.section	.rodata,"a",@progbits
	.p2align	6, 0x0
	.amdhsa_kernel _Z16sort_keys_kernelI22helper_blocked_blockedxLj256ELj4ELj10EEvPKT0_PS1_
		.amdhsa_group_segment_fixed_size 8224
		.amdhsa_private_segment_fixed_size 0
		.amdhsa_kernarg_size 272
		.amdhsa_user_sgpr_count 15
		.amdhsa_user_sgpr_dispatch_ptr 0
		.amdhsa_user_sgpr_queue_ptr 0
		.amdhsa_user_sgpr_kernarg_segment_ptr 1
		.amdhsa_user_sgpr_dispatch_id 0
		.amdhsa_user_sgpr_private_segment_size 0
		.amdhsa_wavefront_size32 1
		.amdhsa_uses_dynamic_stack 0
		.amdhsa_enable_private_segment 0
		.amdhsa_system_sgpr_workgroup_id_x 1
		.amdhsa_system_sgpr_workgroup_id_y 0
		.amdhsa_system_sgpr_workgroup_id_z 0
		.amdhsa_system_sgpr_workgroup_info 0
		.amdhsa_system_vgpr_workitem_id 2
		.amdhsa_next_free_vgpr 49
		.amdhsa_next_free_sgpr 26
		.amdhsa_reserve_vcc 1
		.amdhsa_float_round_mode_32 0
		.amdhsa_float_round_mode_16_64 0
		.amdhsa_float_denorm_mode_32 3
		.amdhsa_float_denorm_mode_16_64 3
		.amdhsa_dx10_clamp 1
		.amdhsa_ieee_mode 1
		.amdhsa_fp16_overflow 0
		.amdhsa_workgroup_processor_mode 1
		.amdhsa_memory_ordered 1
		.amdhsa_forward_progress 0
		.amdhsa_shared_vgpr_count 0
		.amdhsa_exception_fp_ieee_invalid_op 0
		.amdhsa_exception_fp_denorm_src 0
		.amdhsa_exception_fp_ieee_div_zero 0
		.amdhsa_exception_fp_ieee_overflow 0
		.amdhsa_exception_fp_ieee_underflow 0
		.amdhsa_exception_fp_ieee_inexact 0
		.amdhsa_exception_int_div_zero 0
	.end_amdhsa_kernel
	.section	.text._Z16sort_keys_kernelI22helper_blocked_blockedxLj256ELj4ELj10EEvPKT0_PS1_,"axG",@progbits,_Z16sort_keys_kernelI22helper_blocked_blockedxLj256ELj4ELj10EEvPKT0_PS1_,comdat
.Lfunc_end124:
	.size	_Z16sort_keys_kernelI22helper_blocked_blockedxLj256ELj4ELj10EEvPKT0_PS1_, .Lfunc_end124-_Z16sort_keys_kernelI22helper_blocked_blockedxLj256ELj4ELj10EEvPKT0_PS1_
                                        ; -- End function
	.section	.AMDGPU.csdata,"",@progbits
; Kernel info:
; codeLenInByte = 3368
; NumSgprs: 28
; NumVgprs: 49
; ScratchSize: 0
; MemoryBound: 0
; FloatMode: 240
; IeeeMode: 1
; LDSByteSize: 8224 bytes/workgroup (compile time only)
; SGPRBlocks: 3
; VGPRBlocks: 6
; NumSGPRsForWavesPerEU: 28
; NumVGPRsForWavesPerEU: 49
; Occupancy: 16
; WaveLimiterHint : 1
; COMPUTE_PGM_RSRC2:SCRATCH_EN: 0
; COMPUTE_PGM_RSRC2:USER_SGPR: 15
; COMPUTE_PGM_RSRC2:TRAP_HANDLER: 0
; COMPUTE_PGM_RSRC2:TGID_X_EN: 1
; COMPUTE_PGM_RSRC2:TGID_Y_EN: 0
; COMPUTE_PGM_RSRC2:TGID_Z_EN: 0
; COMPUTE_PGM_RSRC2:TIDIG_COMP_CNT: 2
	.section	.text._Z17sort_pairs_kernelI22helper_blocked_blockedxLj256ELj4ELj10EEvPKT0_PS1_,"axG",@progbits,_Z17sort_pairs_kernelI22helper_blocked_blockedxLj256ELj4ELj10EEvPKT0_PS1_,comdat
	.protected	_Z17sort_pairs_kernelI22helper_blocked_blockedxLj256ELj4ELj10EEvPKT0_PS1_ ; -- Begin function _Z17sort_pairs_kernelI22helper_blocked_blockedxLj256ELj4ELj10EEvPKT0_PS1_
	.globl	_Z17sort_pairs_kernelI22helper_blocked_blockedxLj256ELj4ELj10EEvPKT0_PS1_
	.p2align	8
	.type	_Z17sort_pairs_kernelI22helper_blocked_blockedxLj256ELj4ELj10EEvPKT0_PS1_,@function
_Z17sort_pairs_kernelI22helper_blocked_blockedxLj256ELj4ELj10EEvPKT0_PS1_: ; @_Z17sort_pairs_kernelI22helper_blocked_blockedxLj256ELj4ELj10EEvPKT0_PS1_
; %bb.0:
	s_load_b128 s[16:19], s[0:1], 0x0
	v_mbcnt_lo_u32_b32 v5, -1, 0
	s_mov_b32 s23, 0
	s_lshl_b32 s22, s15, 10
	s_load_b32 s15, s[0:1], 0x1c
	s_lshl_b64 s[20:21], s[22:23], 3
	v_add_nc_u32_e32 v14, -1, v5
	v_and_b32_e32 v18, 0x3ff, v0
	s_mov_b32 s22, s23
	v_and_b32_e32 v13, 16, v5
	v_and_b32_e32 v10, 3, v5
	v_bfe_u32 v11, v0, 10, 10
	v_lshlrev_b32_e32 v1, 3, v18
	v_bfe_u32 v0, v0, 20, 10
	v_and_b32_e32 v15, 7, v5
	v_cmp_eq_u32_e64 s8, 0, v13
	v_cmp_eq_u32_e64 s3, 1, v10
	v_and_b32_e32 v12, 15, v5
	v_and_b32_e32 v35, 28, v5
	v_cmp_eq_u32_e64 s12, 0, v15
	s_waitcnt lgkmcnt(0)
	s_add_u32 s0, s16, s20
	s_addc_u32 s1, s17, s21
	v_add_co_u32 v2, s2, s0, v1
	s_delay_alu instid0(VALU_DEP_1)
	v_add_co_ci_u32_e64 v4, null, s1, 0, s2
	global_load_b64 v[6:7], v1, s[0:1]
	v_add_co_u32 v3, vcc_lo, 0x1000, v2
	v_add_co_ci_u32_e32 v4, vcc_lo, 0, v4, vcc_lo
	v_cmp_gt_i32_e32 vcc_lo, 0, v14
	s_lshr_b32 s16, s15, 16
	s_clause 0x2
	global_load_b64 v[8:9], v1, s[0:1] offset:2048
	global_load_b64 v[1:2], v[3:4], off
	global_load_b64 v[3:4], v[3:4], off offset:2048
	v_cmp_eq_u32_e64 s1, 3, v10
	v_cmp_eq_u32_e64 s2, 2, v10
	v_cndmask_b32_e32 v13, v14, v5, vcc_lo
	v_lshlrev_b32_e32 v39, 5, v18
	v_lshrrev_b32_e32 v10, 3, v18
	v_mad_u32_u24 v0, v0, s16, v11
	v_lshlrev_b32_e32 v14, 2, v18
	s_and_b32 s15, s15, 0xffff
	v_cmp_lt_u32_e64 s13, 1, v15
	v_cmp_lt_u32_e64 s14, 3, v15
	v_mul_u32_u24_e32 v15, 28, v18
	v_mad_i32_i24 v42, 0xffffffe4, v18, v39
	v_and_b32_e32 v41, 28, v10
	v_mad_u64_u32 v[10:11], null, v0, s15, v[18:19]
	v_and_or_b32 v0, 0x380, v14, v5
	s_delay_alu instid0(VALU_DEP_4)
	v_add_nc_u32_e32 v46, v42, v15
	v_cmp_eq_u32_e64 s4, 0, v12
	v_cmp_lt_u32_e64 s5, 1, v12
	v_cmp_lt_u32_e64 s6, 3, v12
	;; [unrolled: 1-line block ×3, first 2 shown]
	v_or_b32_e32 v12, 31, v18
	v_lshrrev_b32_e32 v47, 5, v10
	v_dual_mov_b32 v19, s22 :: v_dual_mov_b32 v20, s23
	v_cmp_eq_u32_e64 s0, 0, v5
	s_delay_alu instid0(VALU_DEP_4)
	v_cmp_eq_u32_e64 s15, v12, v18
	v_or_b32_e32 v36, 32, v35
	v_or_b32_e32 v37, 64, v35
	;; [unrolled: 1-line block ×3, first 2 shown]
	v_cmp_gt_u32_e64 s9, 8, v18
	v_cmp_lt_u32_e64 s10, 31, v18
	v_cmp_eq_u32_e64 s11, 0, v18
	v_add_nc_u32_e32 v40, 32, v39
	v_lshlrev_b32_e32 v43, 2, v13
	v_add_nc_u32_e32 v44, -4, v41
	v_lshlrev_b32_e32 v45, 3, v0
	s_mov_b32 s24, s23
	s_mov_b32 s25, s23
	s_waitcnt vmcnt(3)
	v_add_co_u32 v14, vcc_lo, v6, 1
	v_add_co_ci_u32_e32 v15, vcc_lo, 0, v7, vcc_lo
	s_waitcnt vmcnt(2)
	v_add_co_u32 v16, vcc_lo, v8, 1
	v_add_co_ci_u32_e32 v17, vcc_lo, 0, v9, vcc_lo
	;; [unrolled: 3-line block ×4, first 2 shown]
	s_branch .LBB125_2
.LBB125_1:                              ;   in Loop: Header=BB125_2 Depth=1
	v_lshlrev_b32_e32 v0, 3, v52
	v_lshlrev_b32_e32 v5, 3, v51
	v_lshlrev_b32_e32 v10, 3, v50
	v_lshlrev_b32_e32 v11, 3, v48
	s_barrier
	buffer_gl0_inv
	ds_store_b64 v0, v[16:17]
	ds_store_b64 v5, v[33:34]
	;; [unrolled: 1-line block ×4, first 2 shown]
	s_waitcnt lgkmcnt(0)
	s_barrier
	buffer_gl0_inv
	ds_load_2addr_b64 v[6:9], v46 offset1:1
	ds_load_2addr_b64 v[1:4], v46 offset0:2 offset1:3
	s_waitcnt lgkmcnt(0)
	s_barrier
	buffer_gl0_inv
	ds_store_b64 v0, v[25:26]
	ds_store_b64 v5, v[23:24]
	;; [unrolled: 1-line block ×4, first 2 shown]
	s_waitcnt lgkmcnt(0)
	s_barrier
	buffer_gl0_inv
	ds_load_2addr_b64 v[14:17], v46 offset1:1
	ds_load_2addr_b64 v[10:13], v46 offset0:2 offset1:3
	s_add_i32 s23, s23, 1
	s_delay_alu instid0(SALU_CYCLE_1)
	s_cmp_lg_u32 s23, 10
	v_xor_b32_e32 v7, 0x80000000, v7
	v_xor_b32_e32 v9, 0x80000000, v9
	;; [unrolled: 1-line block ×4, first 2 shown]
	s_cbranch_scc0 .LBB125_20
.LBB125_2:                              ; =>This Loop Header: Depth=1
                                        ;     Child Loop BB125_4 Depth 2
	v_xor_b32_e32 v0, 0x80000000, v7
	v_xor_b32_e32 v7, 0x80000000, v9
	ds_bpermute_b32 v5, v35, v6
	ds_bpermute_b32 v9, v35, v8
	v_xor_b32_e32 v2, 0x80000000, v2
	ds_bpermute_b32 v21, v35, v0
	ds_bpermute_b32 v22, v35, v7
	;; [unrolled: 1-line block ×6, first 2 shown]
	v_xor_b32_e32 v27, 0x80000000, v4
	ds_bpermute_b32 v4, v36, v6
	ds_bpermute_b32 v28, v36, v8
	;; [unrolled: 1-line block ×11, first 2 shown]
	s_waitcnt lgkmcnt(17)
	v_cndmask_b32_e64 v5, v5, v9, s3
	ds_bpermute_b32 v9, v36, v27
	ds_bpermute_b32 v50, v37, v3
	s_waitcnt lgkmcnt(17)
	v_cndmask_b32_e64 v21, v21, v22, s3
	ds_bpermute_b32 v22, v37, v0
	s_waitcnt lgkmcnt(17)
	v_cndmask_b32_e64 v5, v5, v23, s2
	s_waitcnt lgkmcnt(15)
	v_cndmask_b32_e64 v23, v25, v26, s3
	ds_bpermute_b32 v26, v38, v6
	s_waitcnt lgkmcnt(15)
	v_cndmask_b32_e64 v21, v21, v24, s2
	ds_bpermute_b32 v24, v37, v2
	s_waitcnt lgkmcnt(14)
	v_cndmask_b32_e64 v25, v4, v28, s3
	s_waitcnt lgkmcnt(13)
	v_cndmask_b32_e64 v4, v5, v29, s1
	;; [unrolled: 2-line block ×3, first 2 shown]
	ds_bpermute_b32 v28, v38, v0
	ds_bpermute_b32 v29, v38, v7
	;; [unrolled: 1-line block ×3, first 2 shown]
	s_waitcnt lgkmcnt(14)
	v_cndmask_b32_e64 v5, v21, v31, s1
	ds_bpermute_b32 v21, v37, v27
	ds_bpermute_b32 v31, v35, v14
	;; [unrolled: 1-line block ×8, first 2 shown]
	s_waitcnt lgkmcnt(19)
	v_cndmask_b32_e64 v0, v34, v48, s3
	ds_bpermute_b32 v34, v35, v10
	ds_bpermute_b32 v48, v35, v11
	v_cndmask_b32_e64 v1, v25, v32, s2
	s_waitcnt lgkmcnt(15)
	v_cndmask_b32_e64 v7, v22, v51, s3
	ds_bpermute_b32 v22, v36, v14
	ds_bpermute_b32 v25, v36, v16
	s_waitcnt lgkmcnt(16)
	v_cndmask_b32_e64 v8, v26, v8, s3
	v_cndmask_b32_e64 v6, v1, v33, s1
	s_waitcnt lgkmcnt(15)
	v_cndmask_b32_e64 v1, v7, v24, s2
	v_cndmask_b32_e64 v7, v23, v9, s1
	s_waitcnt lgkmcnt(13)
	v_cndmask_b32_e64 v9, v28, v29, s3
	s_waitcnt lgkmcnt(12)
	v_cndmask_b32_e64 v8, v8, v30, s2
	ds_bpermute_b32 v24, v38, v27
	s_waitcnt lgkmcnt(12)
	v_cndmask_b32_e64 v1, v1, v21, s1
	s_waitcnt lgkmcnt(9)
	v_cndmask_b32_e64 v21, v31, v53, s3
	;; [unrolled: 2-line block ×5, first 2 shown]
	ds_bpermute_b32 v26, v35, v13
	ds_bpermute_b32 v3, v36, v15
	ds_bpermute_b32 v27, v36, v17
	ds_bpermute_b32 v29, v37, v14
	ds_bpermute_b32 v30, v37, v15
	ds_bpermute_b32 v31, v37, v16
	ds_bpermute_b32 v32, v37, v17
	ds_bpermute_b32 v14, v38, v14
	ds_bpermute_b32 v15, v38, v15
	ds_bpermute_b32 v17, v38, v17
	ds_bpermute_b32 v16, v38, v16
	s_waitcnt lgkmcnt(16)
	v_cndmask_b32_e64 v0, v0, v49, s2
	s_waitcnt lgkmcnt(15)
	v_cndmask_b32_e64 v8, v21, v34, s2
	;; [unrolled: 2-line block ×4, first 2 shown]
	ds_bpermute_b32 v25, v36, v10
	ds_bpermute_b32 v28, v36, v11
	ds_bpermute_b32 v34, v37, v11
	ds_bpermute_b32 v48, v37, v10
	ds_bpermute_b32 v49, v38, v11
	ds_bpermute_b32 v10, v38, v10
	v_cndmask_b32_e64 v0, v0, v50, s1
	ds_bpermute_b32 v23, v35, v12
	ds_bpermute_b32 v33, v36, v13
	;; [unrolled: 1-line block ×7, first 2 shown]
	s_waitcnt lgkmcnt(21)
	v_cndmask_b32_e64 v11, v3, v27, s3
	v_cndmask_b32_e64 v3, v9, v24, s1
	;; [unrolled: 1-line block ×3, first 2 shown]
	s_waitcnt lgkmcnt(17)
	v_cndmask_b32_e64 v13, v30, v32, s3
	v_cndmask_b32_e64 v21, v29, v31, s3
	s_waitcnt lgkmcnt(14)
	v_cndmask_b32_e64 v15, v15, v17, s3
	s_waitcnt lgkmcnt(13)
	;; [unrolled: 2-line block ×15, first 2 shown]
	v_cndmask_b32_e64 v14, v14, v54, s1
	s_mov_b64 s[26:27], 0
	s_barrier
	s_branch .LBB125_4
.LBB125_3:                              ;   in Loop: Header=BB125_4 Depth=2
	v_lshlrev_b32_e32 v8, 3, v52
	v_lshlrev_b32_e32 v9, 3, v51
	;; [unrolled: 1-line block ×4, first 2 shown]
	s_barrier
	buffer_gl0_inv
	ds_store_b64 v8, v[16:17]
	ds_store_b64 v9, v[33:34]
	;; [unrolled: 1-line block ×4, first 2 shown]
	s_waitcnt lgkmcnt(0)
	s_barrier
	buffer_gl0_inv
	ds_load_2addr_b64 v[4:7], v45 offset1:32
	ds_load_2addr_b64 v[0:3], v45 offset0:64 offset1:96
	s_waitcnt lgkmcnt(0)
	s_barrier
	buffer_gl0_inv
	ds_store_b64 v8, v[25:26]
	ds_store_b64 v9, v[23:24]
	;; [unrolled: 1-line block ×4, first 2 shown]
	s_waitcnt lgkmcnt(0)
	s_barrier
	buffer_gl0_inv
	ds_load_2addr_b64 v[8:11], v45 offset1:32
	ds_load_2addr_b64 v[12:15], v45 offset0:64 offset1:96
	s_add_u32 s26, s26, 8
	s_addc_u32 s27, s27, 0
	s_waitcnt lgkmcnt(0)
	s_barrier
	s_cbranch_execz .LBB125_1
.LBB125_4:                              ;   Parent Loop BB125_2 Depth=1
                                        ; =>  This Inner Loop Header: Depth=2
	v_dual_mov_b32 v17, v5 :: v_dual_mov_b32 v16, v4
	buffer_gl0_inv
	v_mov_b32_e32 v30, v3
	v_mov_b32_e32 v32, v1
	;; [unrolled: 1-line block ×3, first 2 shown]
	v_lshrrev_b64 v[4:5], s26, v[16:17]
	v_mov_b32_e32 v29, v2
	v_mov_b32_e32 v31, v0
	;; [unrolled: 1-line block ×3, first 2 shown]
	s_delay_alu instid0(VALU_DEP_4)
	v_and_b32_e32 v5, 1, v4
	v_lshlrev_b32_e32 v21, 30, v4
	v_lshlrev_b32_e32 v22, 29, v4
	;; [unrolled: 1-line block ×4, first 2 shown]
	v_add_co_u32 v5, s16, v5, -1
	s_delay_alu instid0(VALU_DEP_1)
	v_cndmask_b32_e64 v24, 0, 1, s16
	v_not_b32_e32 v28, v21
	v_cmp_gt_i32_e64 s16, 0, v21
	v_not_b32_e32 v21, v22
	v_lshlrev_b32_e32 v26, 26, v4
	v_cmp_ne_u32_e32 vcc_lo, 0, v24
	v_ashrrev_i32_e32 v28, 31, v28
	v_lshlrev_b32_e32 v27, 25, v4
	v_ashrrev_i32_e32 v21, 31, v21
	v_lshlrev_b32_e32 v24, 24, v4
	v_xor_b32_e32 v5, vcc_lo, v5
	v_cmp_gt_i32_e32 vcc_lo, 0, v22
	v_not_b32_e32 v22, v23
	v_xor_b32_e32 v28, s16, v28
	v_cmp_gt_i32_e64 s16, 0, v23
	v_and_b32_e32 v5, exec_lo, v5
	v_not_b32_e32 v23, v25
	v_ashrrev_i32_e32 v22, 31, v22
	v_xor_b32_e32 v21, vcc_lo, v21
	v_cmp_gt_i32_e32 vcc_lo, 0, v25
	v_and_b32_e32 v5, v5, v28
	v_not_b32_e32 v25, v26
	v_ashrrev_i32_e32 v23, 31, v23
	v_xor_b32_e32 v22, s16, v22
	v_cmp_gt_i32_e64 s16, 0, v26
	v_and_b32_e32 v5, v5, v21
	v_ashrrev_i32_e32 v25, 31, v25
	v_xor_b32_e32 v23, vcc_lo, v23
	v_and_b32_e32 v3, 0xff, v4
	s_delay_alu instid0(VALU_DEP_4) | instskip(NEXT) | instid1(VALU_DEP_4)
	v_and_b32_e32 v5, v5, v22
	v_xor_b32_e32 v25, s16, v25
	v_not_b32_e32 v22, v24
	v_cmp_gt_i32_e64 s16, 0, v24
	s_delay_alu instid0(VALU_DEP_4) | instskip(NEXT) | instid1(VALU_DEP_3)
	v_dual_mov_b32 v24, v11 :: v_dual_and_b32 v5, v5, v23
	v_ashrrev_i32_e32 v22, 31, v22
	v_mov_b32_e32 v23, v10
	s_delay_alu instid0(VALU_DEP_3)
	v_and_b32_e32 v5, v5, v25
	v_mov_b32_e32 v26, v9
	v_not_b32_e32 v21, v27
	v_cmp_gt_i32_e32 vcc_lo, 0, v27
	v_mov_b32_e32 v28, v15
	v_xor_b32_e32 v0, s16, v22
	v_mov_b32_e32 v27, v14
	v_ashrrev_i32_e32 v21, 31, v21
	s_delay_alu instid0(VALU_DEP_1) | instskip(NEXT) | instid1(VALU_DEP_1)
	v_xor_b32_e32 v21, vcc_lo, v21
	v_and_b32_e32 v1, v5, v21
	v_dual_mov_b32 v25, v8 :: v_dual_mov_b32 v22, v13
	s_delay_alu instid0(VALU_DEP_2)
	v_dual_mov_b32 v21, v12 :: v_dual_and_b32 v0, v1, v0
	v_dual_mov_b32 v1, s24 :: v_dual_mov_b32 v2, s25
	ds_store_2addr_b64 v39, v[19:20], v[1:2] offset0:4 offset1:5
	ds_store_2addr_b64 v40, v[19:20], v[1:2] offset0:2 offset1:3
	v_mbcnt_lo_u32_b32 v8, v0, 0
	v_lshl_add_u32 v1, v3, 3, v47
	v_cmp_ne_u32_e64 s16, 0, v0
	s_waitcnt lgkmcnt(0)
	s_barrier
	v_cmp_eq_u32_e32 vcc_lo, 0, v8
	v_lshl_add_u32 v9, v1, 2, 32
	buffer_gl0_inv
	; wave barrier
	s_and_b32 s17, s16, vcc_lo
	s_delay_alu instid0(SALU_CYCLE_1)
	s_and_saveexec_b32 s16, s17
	s_cbranch_execz .LBB125_6
; %bb.5:                                ;   in Loop: Header=BB125_4 Depth=2
	v_bcnt_u32_b32 v0, v0, 0
	ds_store_b32 v9, v0
.LBB125_6:                              ;   in Loop: Header=BB125_4 Depth=2
	s_or_b32 exec_lo, exec_lo, s16
	v_lshrrev_b64 v[0:1], s26, v[33:34]
	; wave barrier
	s_delay_alu instid0(VALU_DEP_1)
	v_and_b32_e32 v2, 1, v0
	v_lshlrev_b32_e32 v3, 30, v0
	v_lshlrev_b32_e32 v4, 29, v0
	v_lshlrev_b32_e32 v5, 28, v0
	v_lshlrev_b32_e32 v7, 27, v0
	v_add_co_u32 v2, s16, v2, -1
	s_delay_alu instid0(VALU_DEP_1)
	v_cndmask_b32_e64 v6, 0, 1, s16
	v_not_b32_e32 v12, v3
	v_cmp_gt_i32_e64 s16, 0, v3
	v_not_b32_e32 v3, v4
	v_lshlrev_b32_e32 v10, 26, v0
	v_cmp_ne_u32_e32 vcc_lo, 0, v6
	v_ashrrev_i32_e32 v6, 31, v12
	v_lshlrev_b32_e32 v11, 25, v0
	v_ashrrev_i32_e32 v3, 31, v3
	v_and_b32_e32 v1, 0xff, v0
	v_xor_b32_e32 v2, vcc_lo, v2
	v_cmp_gt_i32_e32 vcc_lo, 0, v4
	v_not_b32_e32 v4, v5
	v_xor_b32_e32 v6, s16, v6
	v_cmp_gt_i32_e64 s16, 0, v5
	v_and_b32_e32 v2, exec_lo, v2
	v_not_b32_e32 v5, v7
	v_ashrrev_i32_e32 v4, 31, v4
	v_xor_b32_e32 v3, vcc_lo, v3
	v_cmp_gt_i32_e32 vcc_lo, 0, v7
	v_and_b32_e32 v2, v2, v6
	v_not_b32_e32 v6, v10
	v_ashrrev_i32_e32 v5, 31, v5
	v_xor_b32_e32 v4, s16, v4
	v_lshlrev_b32_e32 v0, 24, v0
	v_and_b32_e32 v2, v2, v3
	v_cmp_gt_i32_e64 s16, 0, v10
	v_not_b32_e32 v3, v11
	v_ashrrev_i32_e32 v6, 31, v6
	v_xor_b32_e32 v5, vcc_lo, v5
	v_and_b32_e32 v2, v2, v4
	v_cmp_gt_i32_e32 vcc_lo, 0, v11
	v_not_b32_e32 v4, v0
	v_ashrrev_i32_e32 v3, 31, v3
	v_xor_b32_e32 v6, s16, v6
	v_and_b32_e32 v2, v2, v5
	v_lshlrev_b32_e32 v1, 3, v1
	v_cmp_gt_i32_e64 s16, 0, v0
	v_ashrrev_i32_e32 v0, 31, v4
	v_xor_b32_e32 v3, vcc_lo, v3
	v_and_b32_e32 v2, v2, v6
	v_add_lshl_u32 v1, v1, v47, 2
	s_delay_alu instid0(VALU_DEP_4) | instskip(NEXT) | instid1(VALU_DEP_3)
	v_xor_b32_e32 v0, s16, v0
	v_and_b32_e32 v2, v2, v3
	ds_load_b32 v10, v1 offset:32
	v_add_nc_u32_e32 v12, 32, v1
	; wave barrier
	v_and_b32_e32 v0, v2, v0
	s_delay_alu instid0(VALU_DEP_1) | instskip(SKIP_1) | instid1(VALU_DEP_2)
	v_mbcnt_lo_u32_b32 v11, v0, 0
	v_cmp_ne_u32_e64 s16, 0, v0
	v_cmp_eq_u32_e32 vcc_lo, 0, v11
	s_delay_alu instid0(VALU_DEP_2) | instskip(NEXT) | instid1(SALU_CYCLE_1)
	s_and_b32 s17, s16, vcc_lo
	s_and_saveexec_b32 s16, s17
	s_cbranch_execz .LBB125_8
; %bb.7:                                ;   in Loop: Header=BB125_4 Depth=2
	s_waitcnt lgkmcnt(0)
	v_bcnt_u32_b32 v0, v0, v10
	ds_store_b32 v12, v0
.LBB125_8:                              ;   in Loop: Header=BB125_4 Depth=2
	s_or_b32 exec_lo, exec_lo, s16
	v_lshrrev_b64 v[0:1], s26, v[31:32]
	; wave barrier
	s_delay_alu instid0(VALU_DEP_1)
	v_and_b32_e32 v2, 1, v0
	v_lshlrev_b32_e32 v3, 30, v0
	v_lshlrev_b32_e32 v4, 29, v0
	v_lshlrev_b32_e32 v5, 28, v0
	v_lshlrev_b32_e32 v7, 27, v0
	v_add_co_u32 v2, s16, v2, -1
	s_delay_alu instid0(VALU_DEP_1)
	v_cndmask_b32_e64 v6, 0, 1, s16
	v_not_b32_e32 v15, v3
	v_cmp_gt_i32_e64 s16, 0, v3
	v_not_b32_e32 v3, v4
	v_lshlrev_b32_e32 v13, 26, v0
	v_cmp_ne_u32_e32 vcc_lo, 0, v6
	v_ashrrev_i32_e32 v6, 31, v15
	v_lshlrev_b32_e32 v14, 25, v0
	v_ashrrev_i32_e32 v3, 31, v3
	v_and_b32_e32 v1, 0xff, v0
	v_xor_b32_e32 v2, vcc_lo, v2
	v_cmp_gt_i32_e32 vcc_lo, 0, v4
	v_not_b32_e32 v4, v5
	v_xor_b32_e32 v6, s16, v6
	v_cmp_gt_i32_e64 s16, 0, v5
	v_and_b32_e32 v2, exec_lo, v2
	v_not_b32_e32 v5, v7
	v_ashrrev_i32_e32 v4, 31, v4
	v_xor_b32_e32 v3, vcc_lo, v3
	v_cmp_gt_i32_e32 vcc_lo, 0, v7
	v_and_b32_e32 v2, v2, v6
	v_not_b32_e32 v6, v13
	v_ashrrev_i32_e32 v5, 31, v5
	v_xor_b32_e32 v4, s16, v4
	v_lshlrev_b32_e32 v0, 24, v0
	v_and_b32_e32 v2, v2, v3
	v_cmp_gt_i32_e64 s16, 0, v13
	v_not_b32_e32 v3, v14
	v_ashrrev_i32_e32 v6, 31, v6
	v_xor_b32_e32 v5, vcc_lo, v5
	v_and_b32_e32 v2, v2, v4
	v_cmp_gt_i32_e32 vcc_lo, 0, v14
	v_not_b32_e32 v4, v0
	v_ashrrev_i32_e32 v3, 31, v3
	v_xor_b32_e32 v6, s16, v6
	v_and_b32_e32 v2, v2, v5
	v_lshlrev_b32_e32 v1, 3, v1
	v_cmp_gt_i32_e64 s16, 0, v0
	v_ashrrev_i32_e32 v0, 31, v4
	v_xor_b32_e32 v3, vcc_lo, v3
	v_and_b32_e32 v2, v2, v6
	v_add_lshl_u32 v1, v1, v47, 2
	s_delay_alu instid0(VALU_DEP_4) | instskip(NEXT) | instid1(VALU_DEP_3)
	v_xor_b32_e32 v0, s16, v0
	v_and_b32_e32 v2, v2, v3
	ds_load_b32 v13, v1 offset:32
	v_add_nc_u32_e32 v15, 32, v1
	; wave barrier
	v_and_b32_e32 v0, v2, v0
	s_delay_alu instid0(VALU_DEP_1) | instskip(SKIP_1) | instid1(VALU_DEP_2)
	v_mbcnt_lo_u32_b32 v14, v0, 0
	v_cmp_ne_u32_e64 s16, 0, v0
	v_cmp_eq_u32_e32 vcc_lo, 0, v14
	s_delay_alu instid0(VALU_DEP_2) | instskip(NEXT) | instid1(SALU_CYCLE_1)
	s_and_b32 s17, s16, vcc_lo
	s_and_saveexec_b32 s16, s17
	s_cbranch_execz .LBB125_10
; %bb.9:                                ;   in Loop: Header=BB125_4 Depth=2
	s_waitcnt lgkmcnt(0)
	v_bcnt_u32_b32 v0, v0, v13
	ds_store_b32 v15, v0
.LBB125_10:                             ;   in Loop: Header=BB125_4 Depth=2
	s_or_b32 exec_lo, exec_lo, s16
	v_lshrrev_b64 v[0:1], s26, v[29:30]
	; wave barrier
	s_delay_alu instid0(VALU_DEP_1)
	v_and_b32_e32 v2, 1, v0
	v_lshlrev_b32_e32 v3, 30, v0
	v_lshlrev_b32_e32 v4, 29, v0
	;; [unrolled: 1-line block ×4, first 2 shown]
	v_add_co_u32 v2, s16, v2, -1
	s_delay_alu instid0(VALU_DEP_1)
	v_cndmask_b32_e64 v6, 0, 1, s16
	v_not_b32_e32 v50, v3
	v_cmp_gt_i32_e64 s16, 0, v3
	v_not_b32_e32 v3, v4
	v_lshlrev_b32_e32 v48, 26, v0
	v_cmp_ne_u32_e32 vcc_lo, 0, v6
	v_ashrrev_i32_e32 v6, 31, v50
	v_lshlrev_b32_e32 v49, 25, v0
	v_ashrrev_i32_e32 v3, 31, v3
	v_and_b32_e32 v1, 0xff, v0
	v_xor_b32_e32 v2, vcc_lo, v2
	v_cmp_gt_i32_e32 vcc_lo, 0, v4
	v_not_b32_e32 v4, v5
	v_xor_b32_e32 v6, s16, v6
	v_cmp_gt_i32_e64 s16, 0, v5
	v_and_b32_e32 v2, exec_lo, v2
	v_not_b32_e32 v5, v7
	v_ashrrev_i32_e32 v4, 31, v4
	v_xor_b32_e32 v3, vcc_lo, v3
	v_cmp_gt_i32_e32 vcc_lo, 0, v7
	v_and_b32_e32 v2, v2, v6
	v_not_b32_e32 v6, v48
	v_ashrrev_i32_e32 v5, 31, v5
	v_xor_b32_e32 v4, s16, v4
	v_lshlrev_b32_e32 v0, 24, v0
	v_and_b32_e32 v2, v2, v3
	v_cmp_gt_i32_e64 s16, 0, v48
	v_not_b32_e32 v3, v49
	v_ashrrev_i32_e32 v6, 31, v6
	v_xor_b32_e32 v5, vcc_lo, v5
	v_and_b32_e32 v2, v2, v4
	v_cmp_gt_i32_e32 vcc_lo, 0, v49
	v_not_b32_e32 v4, v0
	v_ashrrev_i32_e32 v3, 31, v3
	v_xor_b32_e32 v6, s16, v6
	v_and_b32_e32 v2, v2, v5
	v_lshlrev_b32_e32 v1, 3, v1
	v_cmp_gt_i32_e64 s16, 0, v0
	v_ashrrev_i32_e32 v0, 31, v4
	v_xor_b32_e32 v3, vcc_lo, v3
	v_and_b32_e32 v2, v2, v6
	v_add_lshl_u32 v1, v1, v47, 2
	s_delay_alu instid0(VALU_DEP_4) | instskip(NEXT) | instid1(VALU_DEP_3)
	v_xor_b32_e32 v0, s16, v0
	v_and_b32_e32 v2, v2, v3
	ds_load_b32 v48, v1 offset:32
	v_add_nc_u32_e32 v50, 32, v1
	; wave barrier
	v_and_b32_e32 v0, v2, v0
	s_delay_alu instid0(VALU_DEP_1) | instskip(SKIP_1) | instid1(VALU_DEP_2)
	v_mbcnt_lo_u32_b32 v49, v0, 0
	v_cmp_ne_u32_e64 s16, 0, v0
	v_cmp_eq_u32_e32 vcc_lo, 0, v49
	s_delay_alu instid0(VALU_DEP_2) | instskip(NEXT) | instid1(SALU_CYCLE_1)
	s_and_b32 s17, s16, vcc_lo
	s_and_saveexec_b32 s16, s17
	s_cbranch_execz .LBB125_12
; %bb.11:                               ;   in Loop: Header=BB125_4 Depth=2
	s_waitcnt lgkmcnt(0)
	v_bcnt_u32_b32 v0, v0, v48
	ds_store_b32 v50, v0
.LBB125_12:                             ;   in Loop: Header=BB125_4 Depth=2
	s_or_b32 exec_lo, exec_lo, s16
	; wave barrier
	s_waitcnt lgkmcnt(0)
	s_barrier
	buffer_gl0_inv
	ds_load_2addr_b64 v[4:7], v39 offset0:4 offset1:5
	ds_load_2addr_b64 v[0:3], v40 offset0:2 offset1:3
	s_waitcnt lgkmcnt(1)
	v_add_nc_u32_e32 v51, v5, v4
	s_delay_alu instid0(VALU_DEP_1) | instskip(SKIP_1) | instid1(VALU_DEP_1)
	v_add3_u32 v51, v51, v6, v7
	s_waitcnt lgkmcnt(0)
	v_add3_u32 v51, v51, v0, v1
	s_delay_alu instid0(VALU_DEP_1) | instskip(NEXT) | instid1(VALU_DEP_1)
	v_add3_u32 v3, v51, v2, v3
	v_mov_b32_dpp v51, v3 row_shr:1 row_mask:0xf bank_mask:0xf
	s_delay_alu instid0(VALU_DEP_1) | instskip(NEXT) | instid1(VALU_DEP_1)
	v_cndmask_b32_e64 v51, v51, 0, s4
	v_add_nc_u32_e32 v3, v51, v3
	s_delay_alu instid0(VALU_DEP_1) | instskip(NEXT) | instid1(VALU_DEP_1)
	v_mov_b32_dpp v51, v3 row_shr:2 row_mask:0xf bank_mask:0xf
	v_cndmask_b32_e64 v51, 0, v51, s5
	s_delay_alu instid0(VALU_DEP_1) | instskip(NEXT) | instid1(VALU_DEP_1)
	v_add_nc_u32_e32 v3, v3, v51
	v_mov_b32_dpp v51, v3 row_shr:4 row_mask:0xf bank_mask:0xf
	s_delay_alu instid0(VALU_DEP_1) | instskip(NEXT) | instid1(VALU_DEP_1)
	v_cndmask_b32_e64 v51, 0, v51, s6
	v_add_nc_u32_e32 v3, v3, v51
	s_delay_alu instid0(VALU_DEP_1) | instskip(NEXT) | instid1(VALU_DEP_1)
	v_mov_b32_dpp v51, v3 row_shr:8 row_mask:0xf bank_mask:0xf
	v_cndmask_b32_e64 v51, 0, v51, s7
	s_delay_alu instid0(VALU_DEP_1) | instskip(SKIP_3) | instid1(VALU_DEP_1)
	v_add_nc_u32_e32 v3, v3, v51
	ds_swizzle_b32 v51, v3 offset:swizzle(BROADCAST,32,15)
	s_waitcnt lgkmcnt(0)
	v_cndmask_b32_e64 v51, v51, 0, s8
	v_add_nc_u32_e32 v3, v3, v51
	s_and_saveexec_b32 s16, s15
	s_cbranch_execz .LBB125_14
; %bb.13:                               ;   in Loop: Header=BB125_4 Depth=2
	ds_store_b32 v41, v3
.LBB125_14:                             ;   in Loop: Header=BB125_4 Depth=2
	s_or_b32 exec_lo, exec_lo, s16
	s_waitcnt lgkmcnt(0)
	s_barrier
	buffer_gl0_inv
	s_and_saveexec_b32 s16, s9
	s_cbranch_execz .LBB125_16
; %bb.15:                               ;   in Loop: Header=BB125_4 Depth=2
	ds_load_b32 v51, v42
	s_waitcnt lgkmcnt(0)
	v_mov_b32_dpp v52, v51 row_shr:1 row_mask:0xf bank_mask:0xf
	s_delay_alu instid0(VALU_DEP_1) | instskip(NEXT) | instid1(VALU_DEP_1)
	v_cndmask_b32_e64 v52, v52, 0, s12
	v_add_nc_u32_e32 v51, v52, v51
	s_delay_alu instid0(VALU_DEP_1) | instskip(NEXT) | instid1(VALU_DEP_1)
	v_mov_b32_dpp v52, v51 row_shr:2 row_mask:0xf bank_mask:0xf
	v_cndmask_b32_e64 v52, 0, v52, s13
	s_delay_alu instid0(VALU_DEP_1) | instskip(NEXT) | instid1(VALU_DEP_1)
	v_add_nc_u32_e32 v51, v51, v52
	v_mov_b32_dpp v52, v51 row_shr:4 row_mask:0xf bank_mask:0xf
	s_delay_alu instid0(VALU_DEP_1) | instskip(NEXT) | instid1(VALU_DEP_1)
	v_cndmask_b32_e64 v52, 0, v52, s14
	v_add_nc_u32_e32 v51, v51, v52
	ds_store_b32 v42, v51
.LBB125_16:                             ;   in Loop: Header=BB125_4 Depth=2
	s_or_b32 exec_lo, exec_lo, s16
	v_mov_b32_e32 v51, 0
	s_waitcnt lgkmcnt(0)
	s_barrier
	buffer_gl0_inv
	s_and_saveexec_b32 s16, s10
	s_cbranch_execz .LBB125_18
; %bb.17:                               ;   in Loop: Header=BB125_4 Depth=2
	ds_load_b32 v51, v44
.LBB125_18:                             ;   in Loop: Header=BB125_4 Depth=2
	s_or_b32 exec_lo, exec_lo, s16
	s_waitcnt lgkmcnt(0)
	v_add_nc_u32_e32 v3, v51, v3
	s_cmp_gt_u32 s26, 55
	ds_bpermute_b32 v3, v43, v3
	s_waitcnt lgkmcnt(0)
	v_cndmask_b32_e64 v3, v3, v51, s0
	s_delay_alu instid0(VALU_DEP_1) | instskip(NEXT) | instid1(VALU_DEP_1)
	v_cndmask_b32_e64 v3, v3, 0, s11
	v_add_nc_u32_e32 v4, v3, v4
	s_delay_alu instid0(VALU_DEP_1) | instskip(NEXT) | instid1(VALU_DEP_1)
	v_add_nc_u32_e32 v5, v4, v5
	v_add_nc_u32_e32 v6, v5, v6
	s_delay_alu instid0(VALU_DEP_1) | instskip(NEXT) | instid1(VALU_DEP_1)
	v_add_nc_u32_e32 v51, v6, v7
	;; [unrolled: 3-line block ×3, first 2 shown]
	v_add_nc_u32_e32 v1, v0, v2
	ds_store_2addr_b64 v39, v[3:4], v[5:6] offset0:4 offset1:5
	ds_store_2addr_b64 v40, v[51:52], v[0:1] offset0:2 offset1:3
	s_waitcnt lgkmcnt(0)
	s_barrier
	buffer_gl0_inv
	ds_load_b32 v0, v9
	ds_load_b32 v1, v12
	ds_load_b32 v2, v15
	ds_load_b32 v3, v50
	s_waitcnt lgkmcnt(3)
	v_add_nc_u32_e32 v52, v0, v8
	s_waitcnt lgkmcnt(2)
	v_add3_u32 v51, v11, v10, v1
	s_waitcnt lgkmcnt(1)
	v_add3_u32 v50, v14, v13, v2
	;; [unrolled: 2-line block ×3, first 2 shown]
	s_cbranch_scc0 .LBB125_3
; %bb.19:                               ;   in Loop: Header=BB125_2 Depth=1
                                        ; implicit-def: $vgpr2_vgpr3
                                        ; implicit-def: $vgpr6_vgpr7
                                        ; implicit-def: $vgpr8_vgpr9
                                        ; implicit-def: $vgpr12_vgpr13
                                        ; implicit-def: $sgpr26_sgpr27
	s_branch .LBB125_1
.LBB125_20:
	s_waitcnt lgkmcnt(1)
	v_add_co_u32 v5, vcc_lo, v14, v6
	v_lshlrev_b32_e32 v14, 3, v18
	v_add_co_ci_u32_e32 v6, vcc_lo, v15, v7, vcc_lo
	v_add_co_u32 v7, vcc_lo, v16, v8
	s_add_u32 s0, s18, s20
	v_add_co_ci_u32_e32 v8, vcc_lo, v17, v9, vcc_lo
	s_addc_u32 s1, s19, s21
	v_add_co_u32 v9, s2, s0, v14
	s_delay_alu instid0(VALU_DEP_1)
	v_add_co_ci_u32_e64 v15, null, s1, 0, s2
	s_waitcnt lgkmcnt(0)
	v_add_co_u32 v0, vcc_lo, v10, v1
	v_add_co_ci_u32_e32 v1, vcc_lo, v11, v2, vcc_lo
	v_add_co_u32 v9, vcc_lo, 0x1000, v9
	v_add_co_ci_u32_e32 v10, vcc_lo, 0, v15, vcc_lo
	;; [unrolled: 2-line block ×3, first 2 shown]
	s_clause 0x3
	global_store_b64 v14, v[5:6], s[0:1]
	global_store_b64 v14, v[7:8], s[0:1] offset:2048
	global_store_b64 v[9:10], v[0:1], off
	global_store_b64 v[9:10], v[2:3], off offset:2048
	s_nop 0
	s_sendmsg sendmsg(MSG_DEALLOC_VGPRS)
	s_endpgm
	.section	.rodata,"a",@progbits
	.p2align	6, 0x0
	.amdhsa_kernel _Z17sort_pairs_kernelI22helper_blocked_blockedxLj256ELj4ELj10EEvPKT0_PS1_
		.amdhsa_group_segment_fixed_size 8224
		.amdhsa_private_segment_fixed_size 0
		.amdhsa_kernarg_size 272
		.amdhsa_user_sgpr_count 15
		.amdhsa_user_sgpr_dispatch_ptr 0
		.amdhsa_user_sgpr_queue_ptr 0
		.amdhsa_user_sgpr_kernarg_segment_ptr 1
		.amdhsa_user_sgpr_dispatch_id 0
		.amdhsa_user_sgpr_private_segment_size 0
		.amdhsa_wavefront_size32 1
		.amdhsa_uses_dynamic_stack 0
		.amdhsa_enable_private_segment 0
		.amdhsa_system_sgpr_workgroup_id_x 1
		.amdhsa_system_sgpr_workgroup_id_y 0
		.amdhsa_system_sgpr_workgroup_id_z 0
		.amdhsa_system_sgpr_workgroup_info 0
		.amdhsa_system_vgpr_workitem_id 2
		.amdhsa_next_free_vgpr 55
		.amdhsa_next_free_sgpr 28
		.amdhsa_reserve_vcc 1
		.amdhsa_float_round_mode_32 0
		.amdhsa_float_round_mode_16_64 0
		.amdhsa_float_denorm_mode_32 3
		.amdhsa_float_denorm_mode_16_64 3
		.amdhsa_dx10_clamp 1
		.amdhsa_ieee_mode 1
		.amdhsa_fp16_overflow 0
		.amdhsa_workgroup_processor_mode 1
		.amdhsa_memory_ordered 1
		.amdhsa_forward_progress 0
		.amdhsa_shared_vgpr_count 0
		.amdhsa_exception_fp_ieee_invalid_op 0
		.amdhsa_exception_fp_denorm_src 0
		.amdhsa_exception_fp_ieee_div_zero 0
		.amdhsa_exception_fp_ieee_overflow 0
		.amdhsa_exception_fp_ieee_underflow 0
		.amdhsa_exception_fp_ieee_inexact 0
		.amdhsa_exception_int_div_zero 0
	.end_amdhsa_kernel
	.section	.text._Z17sort_pairs_kernelI22helper_blocked_blockedxLj256ELj4ELj10EEvPKT0_PS1_,"axG",@progbits,_Z17sort_pairs_kernelI22helper_blocked_blockedxLj256ELj4ELj10EEvPKT0_PS1_,comdat
.Lfunc_end125:
	.size	_Z17sort_pairs_kernelI22helper_blocked_blockedxLj256ELj4ELj10EEvPKT0_PS1_, .Lfunc_end125-_Z17sort_pairs_kernelI22helper_blocked_blockedxLj256ELj4ELj10EEvPKT0_PS1_
                                        ; -- End function
	.section	.AMDGPU.csdata,"",@progbits
; Kernel info:
; codeLenInByte = 4216
; NumSgprs: 30
; NumVgprs: 55
; ScratchSize: 0
; MemoryBound: 0
; FloatMode: 240
; IeeeMode: 1
; LDSByteSize: 8224 bytes/workgroup (compile time only)
; SGPRBlocks: 3
; VGPRBlocks: 6
; NumSGPRsForWavesPerEU: 30
; NumVGPRsForWavesPerEU: 55
; Occupancy: 16
; WaveLimiterHint : 1
; COMPUTE_PGM_RSRC2:SCRATCH_EN: 0
; COMPUTE_PGM_RSRC2:USER_SGPR: 15
; COMPUTE_PGM_RSRC2:TRAP_HANDLER: 0
; COMPUTE_PGM_RSRC2:TGID_X_EN: 1
; COMPUTE_PGM_RSRC2:TGID_Y_EN: 0
; COMPUTE_PGM_RSRC2:TGID_Z_EN: 0
; COMPUTE_PGM_RSRC2:TIDIG_COMP_CNT: 2
	.section	.text._Z16sort_keys_kernelI22helper_blocked_blockedxLj256ELj8ELj10EEvPKT0_PS1_,"axG",@progbits,_Z16sort_keys_kernelI22helper_blocked_blockedxLj256ELj8ELj10EEvPKT0_PS1_,comdat
	.protected	_Z16sort_keys_kernelI22helper_blocked_blockedxLj256ELj8ELj10EEvPKT0_PS1_ ; -- Begin function _Z16sort_keys_kernelI22helper_blocked_blockedxLj256ELj8ELj10EEvPKT0_PS1_
	.globl	_Z16sort_keys_kernelI22helper_blocked_blockedxLj256ELj8ELj10EEvPKT0_PS1_
	.p2align	8
	.type	_Z16sort_keys_kernelI22helper_blocked_blockedxLj256ELj8ELj10EEvPKT0_PS1_,@function
_Z16sort_keys_kernelI22helper_blocked_blockedxLj256ELj8ELj10EEvPKT0_PS1_: ; @_Z16sort_keys_kernelI22helper_blocked_blockedxLj256ELj8ELj10EEvPKT0_PS1_
; %bb.0:
	s_clause 0x1
	s_load_b128 s[16:19], s[0:1], 0x0
	s_load_b32 s2, s[0:1], 0x1c
	v_mbcnt_lo_u32_b32 v21, -1, 0
	v_and_b32_e32 v17, 0x3ff, v0
	s_mov_b32 s21, 0
	s_lshl_b32 s20, s15, 11
	s_mov_b32 s24, s21
	s_lshl_b64 s[14:15], s[20:21], 3
	v_lshlrev_b32_e32 v20, 3, v17
	v_cmp_eq_u32_e64 s8, 0, v21
	s_mov_b32 s20, s21
	s_waitcnt lgkmcnt(0)
	s_add_u32 s0, s16, s14
	s_addc_u32 s1, s17, s15
	v_add_co_u32 v5, s3, s0, v20
	s_delay_alu instid0(VALU_DEP_1) | instskip(SKIP_1) | instid1(VALU_DEP_2)
	v_add_co_ci_u32_e64 v6, null, s1, 0, s3
	s_mov_b32 s16, s21
	v_add_co_u32 v1, vcc_lo, 0x1000, v5
	s_delay_alu instid0(VALU_DEP_2)
	v_add_co_ci_u32_e32 v2, vcc_lo, 0, v6, vcc_lo
	v_add_co_u32 v3, vcc_lo, v5, 0x2000
	v_add_co_ci_u32_e32 v4, vcc_lo, 0, v6, vcc_lo
	v_add_co_u32 v7, vcc_lo, 0x2000, v5
	;; [unrolled: 2-line block ×3, first 2 shown]
	v_add_co_ci_u32_e32 v19, vcc_lo, 0, v6, vcc_lo
	s_clause 0x7
	global_load_b64 v[5:6], v[3:4], off
	global_load_b64 v[13:14], v20, s[0:1]
	global_load_b64 v[15:16], v20, s[0:1] offset:2048
	global_load_b64 v[11:12], v[1:2], off offset:2048
	global_load_b64 v[7:8], v[7:8], off offset:2048
	global_load_b64 v[1:2], v[18:19], off
	global_load_b64 v[9:10], v[3:4], off offset:-4096
	global_load_b64 v[3:4], v[18:19], off offset:2048
	v_bfe_u32 v18, v0, 10, 10
	v_bfe_u32 v0, v0, 20, 10
	s_lshr_b32 s0, s2, 16
	s_mov_b32 s17, s21
	s_delay_alu instid0(VALU_DEP_1)
	v_mad_u32_u24 v0, v0, s0, v18
	s_and_b32 s0, s2, 0xffff
	s_delay_alu instid0(VALU_DEP_1) | instid1(SALU_CYCLE_1)
	v_mad_u64_u32 v[18:19], null, v0, s0, v[17:18]
	v_and_or_b32 v0, 0x700, v20, v21
	v_and_b32_e32 v19, 15, v21
	s_delay_alu instid0(VALU_DEP_2) | instskip(NEXT) | instid1(VALU_DEP_4)
	v_lshlrev_b32_e32 v36, 3, v0
	v_lshrrev_b32_e32 v38, 5, v18
	v_add_nc_u32_e32 v18, -1, v21
	v_and_b32_e32 v0, 16, v21
	v_cmp_eq_u32_e64 s0, 0, v19
	v_cmp_lt_u32_e64 s1, 1, v19
	v_cmp_lt_u32_e64 s2, 3, v19
	v_cmp_gt_i32_e32 vcc_lo, 0, v18
	v_cmp_eq_u32_e64 s4, 0, v0
	v_cmp_lt_u32_e64 s3, 7, v19
	v_cndmask_b32_e32 v0, v18, v21, vcc_lo
	v_and_b32_e32 v22, 0xe0, v17
	v_lshlrev_b32_e32 v34, 5, v17
	v_lshrrev_b32_e32 v18, 3, v17
	v_cmp_gt_u32_e64 s6, 8, v17
	v_lshlrev_b32_e32 v39, 2, v0
	v_or_b32_e32 v23, v21, v22
	v_or_b32_e32 v20, 31, v22
	v_and_b32_e32 v0, 7, v21
	v_and_b32_e32 v40, 28, v18
	v_mad_i32_i24 v41, 0xffffffe4, v17, v34
	v_mul_u32_u24_e32 v18, 60, v17
	v_lshlrev_b32_e32 v35, 6, v23
	v_add_nc_u32_e32 v37, 32, v34
	v_cmp_eq_u32_e64 s5, v20, v17
	v_cmp_lt_u32_e64 s7, 31, v17
	v_cmp_eq_u32_e64 s9, 0, v17
	v_cmp_eq_u32_e64 s10, 0, v0
	v_cmp_lt_u32_e64 s11, 1, v0
	v_cmp_lt_u32_e64 s12, 3, v0
	v_add_nc_u32_e32 v42, -4, v40
	v_add_nc_u32_e32 v43, v41, v18
	s_branch .LBB126_2
.LBB126_1:                              ;   in Loop: Header=BB126_2 Depth=1
	v_lshlrev_b32_e32 v0, 3, v57
	v_lshlrev_b32_e32 v1, 3, v54
	;; [unrolled: 1-line block ×3, first 2 shown]
	s_barrier
	buffer_gl0_inv
	ds_store_b64 v0, v[18:19]
	ds_store_b64 v1, v[32:33]
	;; [unrolled: 1-line block ×3, first 2 shown]
	v_lshlrev_b32_e32 v0, 3, v48
	v_lshlrev_b32_e32 v1, 3, v46
	;; [unrolled: 1-line block ×5, first 2 shown]
	ds_store_b64 v0, v[28:29]
	ds_store_b64 v1, v[26:27]
	;; [unrolled: 1-line block ×5, first 2 shown]
	s_waitcnt lgkmcnt(0)
	s_barrier
	buffer_gl0_inv
	ds_load_2addr_b64 v[13:16], v43 offset1:1
	ds_load_2addr_b64 v[9:12], v43 offset0:2 offset1:3
	ds_load_2addr_b64 v[5:8], v43 offset0:4 offset1:5
	;; [unrolled: 1-line block ×3, first 2 shown]
	s_add_i32 s24, s24, 1
	s_delay_alu instid0(SALU_CYCLE_1)
	s_cmp_eq_u32 s24, 10
	s_waitcnt lgkmcnt(3)
	v_xor_b32_e32 v14, 0x80000000, v14
	v_xor_b32_e32 v16, 0x80000000, v16
	s_waitcnt lgkmcnt(2)
	v_xor_b32_e32 v10, 0x80000000, v10
	v_xor_b32_e32 v12, 0x80000000, v12
	;; [unrolled: 3-line block ×4, first 2 shown]
	s_cbranch_scc1 .LBB126_28
.LBB126_2:                              ; =>This Loop Header: Depth=1
                                        ;     Child Loop BB126_4 Depth 2
	s_waitcnt vmcnt(6)
	v_xor_b32_e32 v14, 0x80000000, v14
	s_waitcnt vmcnt(5)
	v_xor_b32_e32 v16, 0x80000000, v16
	;; [unrolled: 2-line block ×3, first 2 shown]
	v_xor_b32_e32 v12, 0x80000000, v12
	v_xor_b32_e32 v6, 0x80000000, v6
	v_xor_b32_e32 v8, 0x80000000, v8
	v_xor_b32_e32 v2, 0x80000000, v2
	s_waitcnt vmcnt(0)
	v_xor_b32_e32 v4, 0x80000000, v4
	ds_store_2addr_b64 v35, v[13:14], v[15:16] offset1:1
	ds_store_2addr_b64 v35, v[9:10], v[11:12] offset0:2 offset1:3
	ds_store_2addr_b64 v35, v[5:6], v[7:8] offset0:4 offset1:5
	;; [unrolled: 1-line block ×3, first 2 shown]
	; wave barrier
	ds_load_2addr_b64 v[0:3], v36 offset1:32
	ds_load_2addr_b64 v[4:7], v36 offset0:64 offset1:96
	ds_load_2addr_b64 v[8:11], v36 offset0:128 offset1:160
	;; [unrolled: 1-line block ×3, first 2 shown]
	s_mov_b64 s[22:23], 0
	s_waitcnt lgkmcnt(0)
	s_barrier
	buffer_gl0_inv
	; wave barrier
	s_barrier
	s_branch .LBB126_4
.LBB126_3:                              ;   in Loop: Header=BB126_4 Depth=2
	v_lshlrev_b32_e32 v0, 3, v57
	v_lshlrev_b32_e32 v1, 3, v54
	v_lshlrev_b32_e32 v2, 3, v51
	s_barrier
	buffer_gl0_inv
	ds_store_b64 v0, v[18:19]
	ds_store_b64 v1, v[32:33]
	;; [unrolled: 1-line block ×3, first 2 shown]
	v_lshlrev_b32_e32 v0, 3, v48
	v_lshlrev_b32_e32 v1, 3, v46
	;; [unrolled: 1-line block ×5, first 2 shown]
	ds_store_b64 v0, v[28:29]
	ds_store_b64 v1, v[26:27]
	;; [unrolled: 1-line block ×5, first 2 shown]
	s_waitcnt lgkmcnt(0)
	s_barrier
	buffer_gl0_inv
	ds_load_2addr_b64 v[0:3], v36 offset1:32
	ds_load_2addr_b64 v[4:7], v36 offset0:64 offset1:96
	ds_load_2addr_b64 v[8:11], v36 offset0:128 offset1:160
	;; [unrolled: 1-line block ×3, first 2 shown]
	s_add_u32 s22, s22, 8
	s_addc_u32 s23, s23, 0
	s_waitcnt lgkmcnt(0)
	s_barrier
	s_cbranch_execz .LBB126_1
.LBB126_4:                              ;   Parent Loop BB126_2 Depth=1
                                        ; =>  This Inner Loop Header: Depth=2
	v_dual_mov_b32 v19, v1 :: v_dual_mov_b32 v18, v0
	buffer_gl0_inv
	v_mov_b32_e32 v27, v9
	v_dual_mov_b32 v29, v7 :: v_dual_mov_b32 v28, v6
	v_lshrrev_b64 v[44:45], s22, v[18:19]
	v_mov_b32_e32 v6, s16
	v_dual_mov_b32 v26, v8 :: v_dual_mov_b32 v31, v5
	v_mov_b32_e32 v30, v4
	v_mov_b32_e32 v4, s20
	v_and_b32_e32 v0, 1, v44
	v_lshlrev_b32_e32 v1, 30, v44
	v_lshlrev_b32_e32 v16, 29, v44
	;; [unrolled: 1-line block ×4, first 2 shown]
	v_add_co_u32 v0, s13, v0, -1
	s_delay_alu instid0(VALU_DEP_1)
	v_cndmask_b32_e64 v21, 0, 1, s13
	v_not_b32_e32 v25, v1
	v_cmp_gt_i32_e64 s13, 0, v1
	v_not_b32_e32 v1, v16
	v_lshlrev_b32_e32 v23, 26, v44
	v_cmp_ne_u32_e32 vcc_lo, 0, v21
	v_ashrrev_i32_e32 v25, 31, v25
	v_lshlrev_b32_e32 v24, 25, v44
	v_ashrrev_i32_e32 v1, 31, v1
	v_lshlrev_b32_e32 v21, 24, v44
	v_xor_b32_e32 v0, vcc_lo, v0
	v_cmp_gt_i32_e32 vcc_lo, 0, v16
	v_not_b32_e32 v16, v20
	v_xor_b32_e32 v25, s13, v25
	v_cmp_gt_i32_e64 s13, 0, v20
	v_and_b32_e32 v0, exec_lo, v0
	v_not_b32_e32 v20, v22
	v_ashrrev_i32_e32 v16, 31, v16
	v_xor_b32_e32 v1, vcc_lo, v1
	v_cmp_gt_i32_e32 vcc_lo, 0, v22
	v_dual_mov_b32 v5, s21 :: v_dual_and_b32 v0, v0, v25
	v_not_b32_e32 v22, v23
	v_ashrrev_i32_e32 v20, 31, v20
	v_xor_b32_e32 v16, s13, v16
	s_delay_alu instid0(VALU_DEP_4)
	v_dual_mov_b32 v7, s17 :: v_dual_and_b32 v0, v0, v1
	v_cmp_gt_i32_e64 s13, 0, v23
	v_not_b32_e32 v1, v24
	v_ashrrev_i32_e32 v22, 31, v22
	v_xor_b32_e32 v20, vcc_lo, v20
	v_dual_mov_b32 v33, v3 :: v_dual_and_b32 v0, v0, v16
	v_cmp_gt_i32_e32 vcc_lo, 0, v24
	v_mov_b32_e32 v25, v11
	v_ashrrev_i32_e32 v1, 31, v1
	v_xor_b32_e32 v22, s13, v22
	v_and_b32_e32 v0, v0, v20
	v_mov_b32_e32 v24, v10
	v_not_b32_e32 v16, v21
	v_cmp_gt_i32_e64 s13, 0, v21
	v_xor_b32_e32 v1, vcc_lo, v1
	v_dual_mov_b32 v21, v15 :: v_dual_and_b32 v0, v0, v22
	s_delay_alu instid0(VALU_DEP_4) | instskip(SKIP_1) | instid1(VALU_DEP_3)
	v_ashrrev_i32_e32 v16, 31, v16
	v_dual_mov_b32 v23, v13 :: v_dual_mov_b32 v20, v14
	v_and_b32_e32 v0, v0, v1
	v_and_b32_e32 v1, 0xff, v44
	s_delay_alu instid0(VALU_DEP_4)
	v_xor_b32_e32 v10, s13, v16
	v_mov_b32_e32 v22, v12
	v_mov_b32_e32 v32, v2
	ds_store_2addr_b64 v34, v[4:5], v[6:7] offset0:4 offset1:5
	ds_store_2addr_b64 v37, v[4:5], v[6:7] offset0:2 offset1:3
	v_lshl_add_u32 v1, v1, 3, v38
	v_and_b32_e32 v0, v0, v10
	s_waitcnt lgkmcnt(0)
	s_barrier
	buffer_gl0_inv
	v_lshl_add_u32 v9, v1, 2, 32
	v_mbcnt_lo_u32_b32 v8, v0, 0
	v_cmp_ne_u32_e64 s13, 0, v0
	; wave barrier
	s_delay_alu instid0(VALU_DEP_2) | instskip(NEXT) | instid1(VALU_DEP_2)
	v_cmp_eq_u32_e32 vcc_lo, 0, v8
	s_and_b32 s25, s13, vcc_lo
	s_delay_alu instid0(SALU_CYCLE_1)
	s_and_saveexec_b32 s13, s25
	s_cbranch_execz .LBB126_6
; %bb.5:                                ;   in Loop: Header=BB126_4 Depth=2
	v_bcnt_u32_b32 v0, v0, 0
	ds_store_b32 v9, v0
.LBB126_6:                              ;   in Loop: Header=BB126_4 Depth=2
	s_or_b32 exec_lo, exec_lo, s13
	v_lshrrev_b64 v[0:1], s22, v[32:33]
	; wave barrier
	s_delay_alu instid0(VALU_DEP_1)
	v_and_b32_e32 v2, 1, v0
	v_lshlrev_b32_e32 v3, 30, v0
	v_lshlrev_b32_e32 v4, 29, v0
	;; [unrolled: 1-line block ×4, first 2 shown]
	v_add_co_u32 v2, s13, v2, -1
	s_delay_alu instid0(VALU_DEP_1)
	v_cndmask_b32_e64 v6, 0, 1, s13
	v_not_b32_e32 v12, v3
	v_cmp_gt_i32_e64 s13, 0, v3
	v_not_b32_e32 v3, v4
	v_lshlrev_b32_e32 v10, 26, v0
	v_cmp_ne_u32_e32 vcc_lo, 0, v6
	v_ashrrev_i32_e32 v6, 31, v12
	v_lshlrev_b32_e32 v11, 25, v0
	v_ashrrev_i32_e32 v3, 31, v3
	v_and_b32_e32 v1, 0xff, v0
	v_xor_b32_e32 v2, vcc_lo, v2
	v_cmp_gt_i32_e32 vcc_lo, 0, v4
	v_not_b32_e32 v4, v5
	v_xor_b32_e32 v6, s13, v6
	v_cmp_gt_i32_e64 s13, 0, v5
	v_and_b32_e32 v2, exec_lo, v2
	v_not_b32_e32 v5, v7
	v_ashrrev_i32_e32 v4, 31, v4
	v_xor_b32_e32 v3, vcc_lo, v3
	v_cmp_gt_i32_e32 vcc_lo, 0, v7
	v_and_b32_e32 v2, v2, v6
	v_not_b32_e32 v6, v10
	v_ashrrev_i32_e32 v5, 31, v5
	v_xor_b32_e32 v4, s13, v4
	v_lshlrev_b32_e32 v0, 24, v0
	v_and_b32_e32 v2, v2, v3
	v_cmp_gt_i32_e64 s13, 0, v10
	v_not_b32_e32 v3, v11
	v_ashrrev_i32_e32 v6, 31, v6
	v_xor_b32_e32 v5, vcc_lo, v5
	v_and_b32_e32 v2, v2, v4
	v_cmp_gt_i32_e32 vcc_lo, 0, v11
	v_not_b32_e32 v4, v0
	v_ashrrev_i32_e32 v3, 31, v3
	v_xor_b32_e32 v6, s13, v6
	v_and_b32_e32 v2, v2, v5
	v_lshlrev_b32_e32 v1, 3, v1
	v_cmp_gt_i32_e64 s13, 0, v0
	v_ashrrev_i32_e32 v0, 31, v4
	v_xor_b32_e32 v3, vcc_lo, v3
	v_and_b32_e32 v2, v2, v6
	v_add_lshl_u32 v1, v1, v38, 2
	s_delay_alu instid0(VALU_DEP_4) | instskip(NEXT) | instid1(VALU_DEP_3)
	v_xor_b32_e32 v0, s13, v0
	v_and_b32_e32 v2, v2, v3
	ds_load_b32 v10, v1 offset:32
	v_add_nc_u32_e32 v12, 32, v1
	; wave barrier
	v_and_b32_e32 v0, v2, v0
	s_delay_alu instid0(VALU_DEP_1) | instskip(SKIP_1) | instid1(VALU_DEP_2)
	v_mbcnt_lo_u32_b32 v11, v0, 0
	v_cmp_ne_u32_e64 s13, 0, v0
	v_cmp_eq_u32_e32 vcc_lo, 0, v11
	s_delay_alu instid0(VALU_DEP_2) | instskip(NEXT) | instid1(SALU_CYCLE_1)
	s_and_b32 s25, s13, vcc_lo
	s_and_saveexec_b32 s13, s25
	s_cbranch_execz .LBB126_8
; %bb.7:                                ;   in Loop: Header=BB126_4 Depth=2
	s_waitcnt lgkmcnt(0)
	v_bcnt_u32_b32 v0, v0, v10
	ds_store_b32 v12, v0
.LBB126_8:                              ;   in Loop: Header=BB126_4 Depth=2
	s_or_b32 exec_lo, exec_lo, s13
	v_lshrrev_b64 v[0:1], s22, v[30:31]
	; wave barrier
	s_delay_alu instid0(VALU_DEP_1)
	v_and_b32_e32 v2, 1, v0
	v_lshlrev_b32_e32 v3, 30, v0
	v_lshlrev_b32_e32 v4, 29, v0
	v_lshlrev_b32_e32 v5, 28, v0
	v_lshlrev_b32_e32 v7, 27, v0
	v_add_co_u32 v2, s13, v2, -1
	s_delay_alu instid0(VALU_DEP_1)
	v_cndmask_b32_e64 v6, 0, 1, s13
	v_not_b32_e32 v15, v3
	v_cmp_gt_i32_e64 s13, 0, v3
	v_not_b32_e32 v3, v4
	v_lshlrev_b32_e32 v13, 26, v0
	v_cmp_ne_u32_e32 vcc_lo, 0, v6
	v_ashrrev_i32_e32 v6, 31, v15
	v_lshlrev_b32_e32 v14, 25, v0
	v_ashrrev_i32_e32 v3, 31, v3
	v_and_b32_e32 v1, 0xff, v0
	v_xor_b32_e32 v2, vcc_lo, v2
	v_cmp_gt_i32_e32 vcc_lo, 0, v4
	v_not_b32_e32 v4, v5
	v_xor_b32_e32 v6, s13, v6
	v_cmp_gt_i32_e64 s13, 0, v5
	v_and_b32_e32 v2, exec_lo, v2
	v_not_b32_e32 v5, v7
	v_ashrrev_i32_e32 v4, 31, v4
	v_xor_b32_e32 v3, vcc_lo, v3
	v_cmp_gt_i32_e32 vcc_lo, 0, v7
	v_and_b32_e32 v2, v2, v6
	v_not_b32_e32 v6, v13
	v_ashrrev_i32_e32 v5, 31, v5
	v_xor_b32_e32 v4, s13, v4
	v_lshlrev_b32_e32 v0, 24, v0
	v_and_b32_e32 v2, v2, v3
	v_cmp_gt_i32_e64 s13, 0, v13
	v_not_b32_e32 v3, v14
	v_ashrrev_i32_e32 v6, 31, v6
	v_xor_b32_e32 v5, vcc_lo, v5
	v_and_b32_e32 v2, v2, v4
	v_cmp_gt_i32_e32 vcc_lo, 0, v14
	v_not_b32_e32 v4, v0
	v_ashrrev_i32_e32 v3, 31, v3
	v_xor_b32_e32 v6, s13, v6
	v_and_b32_e32 v2, v2, v5
	v_lshlrev_b32_e32 v1, 3, v1
	v_cmp_gt_i32_e64 s13, 0, v0
	v_ashrrev_i32_e32 v0, 31, v4
	v_xor_b32_e32 v3, vcc_lo, v3
	v_and_b32_e32 v2, v2, v6
	v_add_lshl_u32 v1, v1, v38, 2
	s_delay_alu instid0(VALU_DEP_4) | instskip(NEXT) | instid1(VALU_DEP_3)
	v_xor_b32_e32 v0, s13, v0
	v_and_b32_e32 v2, v2, v3
	ds_load_b32 v13, v1 offset:32
	v_add_nc_u32_e32 v15, 32, v1
	; wave barrier
	v_and_b32_e32 v0, v2, v0
	s_delay_alu instid0(VALU_DEP_1) | instskip(SKIP_1) | instid1(VALU_DEP_2)
	v_mbcnt_lo_u32_b32 v14, v0, 0
	v_cmp_ne_u32_e64 s13, 0, v0
	v_cmp_eq_u32_e32 vcc_lo, 0, v14
	s_delay_alu instid0(VALU_DEP_2) | instskip(NEXT) | instid1(SALU_CYCLE_1)
	s_and_b32 s25, s13, vcc_lo
	s_and_saveexec_b32 s13, s25
	s_cbranch_execz .LBB126_10
; %bb.9:                                ;   in Loop: Header=BB126_4 Depth=2
	s_waitcnt lgkmcnt(0)
	v_bcnt_u32_b32 v0, v0, v13
	ds_store_b32 v15, v0
.LBB126_10:                             ;   in Loop: Header=BB126_4 Depth=2
	s_or_b32 exec_lo, exec_lo, s13
	v_lshrrev_b64 v[0:1], s22, v[28:29]
	; wave barrier
	s_delay_alu instid0(VALU_DEP_1)
	v_and_b32_e32 v2, 1, v0
	v_lshlrev_b32_e32 v3, 30, v0
	v_lshlrev_b32_e32 v4, 29, v0
	;; [unrolled: 1-line block ×4, first 2 shown]
	v_add_co_u32 v2, s13, v2, -1
	s_delay_alu instid0(VALU_DEP_1)
	v_cndmask_b32_e64 v6, 0, 1, s13
	v_not_b32_e32 v45, v3
	v_cmp_gt_i32_e64 s13, 0, v3
	v_not_b32_e32 v3, v4
	v_lshlrev_b32_e32 v16, 26, v0
	v_cmp_ne_u32_e32 vcc_lo, 0, v6
	v_ashrrev_i32_e32 v6, 31, v45
	v_lshlrev_b32_e32 v44, 25, v0
	v_ashrrev_i32_e32 v3, 31, v3
	v_and_b32_e32 v1, 0xff, v0
	v_xor_b32_e32 v2, vcc_lo, v2
	v_cmp_gt_i32_e32 vcc_lo, 0, v4
	v_not_b32_e32 v4, v5
	v_xor_b32_e32 v6, s13, v6
	v_cmp_gt_i32_e64 s13, 0, v5
	v_and_b32_e32 v2, exec_lo, v2
	v_not_b32_e32 v5, v7
	v_ashrrev_i32_e32 v4, 31, v4
	v_xor_b32_e32 v3, vcc_lo, v3
	v_cmp_gt_i32_e32 vcc_lo, 0, v7
	v_and_b32_e32 v2, v2, v6
	v_not_b32_e32 v6, v16
	v_ashrrev_i32_e32 v5, 31, v5
	v_xor_b32_e32 v4, s13, v4
	v_lshlrev_b32_e32 v0, 24, v0
	v_and_b32_e32 v2, v2, v3
	v_cmp_gt_i32_e64 s13, 0, v16
	v_not_b32_e32 v3, v44
	v_ashrrev_i32_e32 v6, 31, v6
	v_xor_b32_e32 v5, vcc_lo, v5
	v_and_b32_e32 v2, v2, v4
	v_cmp_gt_i32_e32 vcc_lo, 0, v44
	v_not_b32_e32 v4, v0
	v_ashrrev_i32_e32 v3, 31, v3
	v_xor_b32_e32 v6, s13, v6
	v_and_b32_e32 v2, v2, v5
	v_lshlrev_b32_e32 v1, 3, v1
	v_cmp_gt_i32_e64 s13, 0, v0
	v_ashrrev_i32_e32 v0, 31, v4
	v_xor_b32_e32 v3, vcc_lo, v3
	v_and_b32_e32 v2, v2, v6
	v_add_lshl_u32 v1, v1, v38, 2
	s_delay_alu instid0(VALU_DEP_4) | instskip(NEXT) | instid1(VALU_DEP_3)
	v_xor_b32_e32 v0, s13, v0
	v_and_b32_e32 v2, v2, v3
	ds_load_b32 v16, v1 offset:32
	v_add_nc_u32_e32 v45, 32, v1
	; wave barrier
	v_and_b32_e32 v0, v2, v0
	s_delay_alu instid0(VALU_DEP_1) | instskip(SKIP_1) | instid1(VALU_DEP_2)
	v_mbcnt_lo_u32_b32 v44, v0, 0
	v_cmp_ne_u32_e64 s13, 0, v0
	v_cmp_eq_u32_e32 vcc_lo, 0, v44
	s_delay_alu instid0(VALU_DEP_2) | instskip(NEXT) | instid1(SALU_CYCLE_1)
	s_and_b32 s25, s13, vcc_lo
	s_and_saveexec_b32 s13, s25
	s_cbranch_execz .LBB126_12
; %bb.11:                               ;   in Loop: Header=BB126_4 Depth=2
	s_waitcnt lgkmcnt(0)
	v_bcnt_u32_b32 v0, v0, v16
	ds_store_b32 v45, v0
.LBB126_12:                             ;   in Loop: Header=BB126_4 Depth=2
	s_or_b32 exec_lo, exec_lo, s13
	v_lshrrev_b64 v[0:1], s22, v[26:27]
	; wave barrier
	s_delay_alu instid0(VALU_DEP_1)
	v_and_b32_e32 v2, 1, v0
	v_lshlrev_b32_e32 v3, 30, v0
	v_lshlrev_b32_e32 v4, 29, v0
	;; [unrolled: 1-line block ×4, first 2 shown]
	v_add_co_u32 v2, s13, v2, -1
	s_delay_alu instid0(VALU_DEP_1)
	v_cndmask_b32_e64 v6, 0, 1, s13
	v_not_b32_e32 v48, v3
	v_cmp_gt_i32_e64 s13, 0, v3
	v_not_b32_e32 v3, v4
	v_lshlrev_b32_e32 v46, 26, v0
	v_cmp_ne_u32_e32 vcc_lo, 0, v6
	v_ashrrev_i32_e32 v6, 31, v48
	v_lshlrev_b32_e32 v47, 25, v0
	v_ashrrev_i32_e32 v3, 31, v3
	v_and_b32_e32 v1, 0xff, v0
	v_xor_b32_e32 v2, vcc_lo, v2
	v_cmp_gt_i32_e32 vcc_lo, 0, v4
	v_not_b32_e32 v4, v5
	v_xor_b32_e32 v6, s13, v6
	v_cmp_gt_i32_e64 s13, 0, v5
	v_and_b32_e32 v2, exec_lo, v2
	v_not_b32_e32 v5, v7
	v_ashrrev_i32_e32 v4, 31, v4
	v_xor_b32_e32 v3, vcc_lo, v3
	v_cmp_gt_i32_e32 vcc_lo, 0, v7
	v_and_b32_e32 v2, v2, v6
	v_not_b32_e32 v6, v46
	v_ashrrev_i32_e32 v5, 31, v5
	v_xor_b32_e32 v4, s13, v4
	v_lshlrev_b32_e32 v0, 24, v0
	v_and_b32_e32 v2, v2, v3
	v_cmp_gt_i32_e64 s13, 0, v46
	v_not_b32_e32 v3, v47
	v_ashrrev_i32_e32 v6, 31, v6
	v_xor_b32_e32 v5, vcc_lo, v5
	v_and_b32_e32 v2, v2, v4
	v_cmp_gt_i32_e32 vcc_lo, 0, v47
	v_not_b32_e32 v4, v0
	v_ashrrev_i32_e32 v3, 31, v3
	v_xor_b32_e32 v6, s13, v6
	v_and_b32_e32 v2, v2, v5
	v_lshlrev_b32_e32 v1, 3, v1
	v_cmp_gt_i32_e64 s13, 0, v0
	v_ashrrev_i32_e32 v0, 31, v4
	v_xor_b32_e32 v3, vcc_lo, v3
	v_and_b32_e32 v2, v2, v6
	v_add_lshl_u32 v1, v1, v38, 2
	s_delay_alu instid0(VALU_DEP_4) | instskip(NEXT) | instid1(VALU_DEP_3)
	v_xor_b32_e32 v0, s13, v0
	v_and_b32_e32 v2, v2, v3
	ds_load_b32 v46, v1 offset:32
	v_add_nc_u32_e32 v48, 32, v1
	; wave barrier
	v_and_b32_e32 v0, v2, v0
	s_delay_alu instid0(VALU_DEP_1) | instskip(SKIP_1) | instid1(VALU_DEP_2)
	v_mbcnt_lo_u32_b32 v47, v0, 0
	v_cmp_ne_u32_e64 s13, 0, v0
	v_cmp_eq_u32_e32 vcc_lo, 0, v47
	s_delay_alu instid0(VALU_DEP_2) | instskip(NEXT) | instid1(SALU_CYCLE_1)
	s_and_b32 s25, s13, vcc_lo
	s_and_saveexec_b32 s13, s25
	s_cbranch_execz .LBB126_14
; %bb.13:                               ;   in Loop: Header=BB126_4 Depth=2
	s_waitcnt lgkmcnt(0)
	v_bcnt_u32_b32 v0, v0, v46
	ds_store_b32 v48, v0
.LBB126_14:                             ;   in Loop: Header=BB126_4 Depth=2
	s_or_b32 exec_lo, exec_lo, s13
	v_lshrrev_b64 v[0:1], s22, v[24:25]
	; wave barrier
	s_delay_alu instid0(VALU_DEP_1)
	v_and_b32_e32 v2, 1, v0
	v_lshlrev_b32_e32 v3, 30, v0
	v_lshlrev_b32_e32 v4, 29, v0
	;; [unrolled: 1-line block ×4, first 2 shown]
	v_add_co_u32 v2, s13, v2, -1
	s_delay_alu instid0(VALU_DEP_1)
	v_cndmask_b32_e64 v6, 0, 1, s13
	v_not_b32_e32 v51, v3
	v_cmp_gt_i32_e64 s13, 0, v3
	v_not_b32_e32 v3, v4
	v_lshlrev_b32_e32 v49, 26, v0
	v_cmp_ne_u32_e32 vcc_lo, 0, v6
	v_ashrrev_i32_e32 v6, 31, v51
	v_lshlrev_b32_e32 v50, 25, v0
	v_ashrrev_i32_e32 v3, 31, v3
	v_and_b32_e32 v1, 0xff, v0
	v_xor_b32_e32 v2, vcc_lo, v2
	v_cmp_gt_i32_e32 vcc_lo, 0, v4
	v_not_b32_e32 v4, v5
	v_xor_b32_e32 v6, s13, v6
	v_cmp_gt_i32_e64 s13, 0, v5
	v_and_b32_e32 v2, exec_lo, v2
	v_not_b32_e32 v5, v7
	v_ashrrev_i32_e32 v4, 31, v4
	v_xor_b32_e32 v3, vcc_lo, v3
	v_cmp_gt_i32_e32 vcc_lo, 0, v7
	v_and_b32_e32 v2, v2, v6
	v_not_b32_e32 v6, v49
	v_ashrrev_i32_e32 v5, 31, v5
	v_xor_b32_e32 v4, s13, v4
	v_lshlrev_b32_e32 v0, 24, v0
	v_and_b32_e32 v2, v2, v3
	v_cmp_gt_i32_e64 s13, 0, v49
	v_not_b32_e32 v3, v50
	v_ashrrev_i32_e32 v6, 31, v6
	v_xor_b32_e32 v5, vcc_lo, v5
	v_and_b32_e32 v2, v2, v4
	v_cmp_gt_i32_e32 vcc_lo, 0, v50
	v_not_b32_e32 v4, v0
	v_ashrrev_i32_e32 v3, 31, v3
	v_xor_b32_e32 v6, s13, v6
	v_and_b32_e32 v2, v2, v5
	v_lshlrev_b32_e32 v1, 3, v1
	v_cmp_gt_i32_e64 s13, 0, v0
	v_ashrrev_i32_e32 v0, 31, v4
	v_xor_b32_e32 v3, vcc_lo, v3
	v_and_b32_e32 v2, v2, v6
	v_add_lshl_u32 v1, v1, v38, 2
	s_delay_alu instid0(VALU_DEP_4) | instskip(NEXT) | instid1(VALU_DEP_3)
	v_xor_b32_e32 v0, s13, v0
	v_and_b32_e32 v2, v2, v3
	ds_load_b32 v49, v1 offset:32
	v_add_nc_u32_e32 v51, 32, v1
	; wave barrier
	v_and_b32_e32 v0, v2, v0
	s_delay_alu instid0(VALU_DEP_1) | instskip(SKIP_1) | instid1(VALU_DEP_2)
	v_mbcnt_lo_u32_b32 v50, v0, 0
	v_cmp_ne_u32_e64 s13, 0, v0
	v_cmp_eq_u32_e32 vcc_lo, 0, v50
	s_delay_alu instid0(VALU_DEP_2) | instskip(NEXT) | instid1(SALU_CYCLE_1)
	s_and_b32 s25, s13, vcc_lo
	s_and_saveexec_b32 s13, s25
	s_cbranch_execz .LBB126_16
; %bb.15:                               ;   in Loop: Header=BB126_4 Depth=2
	s_waitcnt lgkmcnt(0)
	v_bcnt_u32_b32 v0, v0, v49
	ds_store_b32 v51, v0
.LBB126_16:                             ;   in Loop: Header=BB126_4 Depth=2
	s_or_b32 exec_lo, exec_lo, s13
	v_lshrrev_b64 v[0:1], s22, v[22:23]
	; wave barrier
	s_delay_alu instid0(VALU_DEP_1)
	v_and_b32_e32 v2, 1, v0
	v_lshlrev_b32_e32 v3, 30, v0
	v_lshlrev_b32_e32 v4, 29, v0
	;; [unrolled: 1-line block ×4, first 2 shown]
	v_add_co_u32 v2, s13, v2, -1
	s_delay_alu instid0(VALU_DEP_1)
	v_cndmask_b32_e64 v6, 0, 1, s13
	v_not_b32_e32 v54, v3
	v_cmp_gt_i32_e64 s13, 0, v3
	v_not_b32_e32 v3, v4
	v_lshlrev_b32_e32 v52, 26, v0
	v_cmp_ne_u32_e32 vcc_lo, 0, v6
	v_ashrrev_i32_e32 v6, 31, v54
	v_lshlrev_b32_e32 v53, 25, v0
	v_ashrrev_i32_e32 v3, 31, v3
	v_and_b32_e32 v1, 0xff, v0
	v_xor_b32_e32 v2, vcc_lo, v2
	v_cmp_gt_i32_e32 vcc_lo, 0, v4
	v_not_b32_e32 v4, v5
	v_xor_b32_e32 v6, s13, v6
	v_cmp_gt_i32_e64 s13, 0, v5
	v_and_b32_e32 v2, exec_lo, v2
	v_not_b32_e32 v5, v7
	v_ashrrev_i32_e32 v4, 31, v4
	v_xor_b32_e32 v3, vcc_lo, v3
	v_cmp_gt_i32_e32 vcc_lo, 0, v7
	v_and_b32_e32 v2, v2, v6
	v_not_b32_e32 v6, v52
	v_ashrrev_i32_e32 v5, 31, v5
	v_xor_b32_e32 v4, s13, v4
	v_lshlrev_b32_e32 v0, 24, v0
	v_and_b32_e32 v2, v2, v3
	v_cmp_gt_i32_e64 s13, 0, v52
	v_not_b32_e32 v3, v53
	v_ashrrev_i32_e32 v6, 31, v6
	v_xor_b32_e32 v5, vcc_lo, v5
	v_and_b32_e32 v2, v2, v4
	v_cmp_gt_i32_e32 vcc_lo, 0, v53
	v_not_b32_e32 v4, v0
	v_ashrrev_i32_e32 v3, 31, v3
	v_xor_b32_e32 v6, s13, v6
	v_and_b32_e32 v2, v2, v5
	v_lshlrev_b32_e32 v1, 3, v1
	v_cmp_gt_i32_e64 s13, 0, v0
	v_ashrrev_i32_e32 v0, 31, v4
	v_xor_b32_e32 v3, vcc_lo, v3
	v_and_b32_e32 v2, v2, v6
	v_add_lshl_u32 v1, v1, v38, 2
	s_delay_alu instid0(VALU_DEP_4) | instskip(NEXT) | instid1(VALU_DEP_3)
	v_xor_b32_e32 v0, s13, v0
	v_and_b32_e32 v2, v2, v3
	ds_load_b32 v52, v1 offset:32
	v_add_nc_u32_e32 v54, 32, v1
	; wave barrier
	v_and_b32_e32 v0, v2, v0
	s_delay_alu instid0(VALU_DEP_1) | instskip(SKIP_1) | instid1(VALU_DEP_2)
	v_mbcnt_lo_u32_b32 v53, v0, 0
	v_cmp_ne_u32_e64 s13, 0, v0
	v_cmp_eq_u32_e32 vcc_lo, 0, v53
	s_delay_alu instid0(VALU_DEP_2) | instskip(NEXT) | instid1(SALU_CYCLE_1)
	s_and_b32 s25, s13, vcc_lo
	s_and_saveexec_b32 s13, s25
	s_cbranch_execz .LBB126_18
; %bb.17:                               ;   in Loop: Header=BB126_4 Depth=2
	s_waitcnt lgkmcnt(0)
	v_bcnt_u32_b32 v0, v0, v52
	ds_store_b32 v54, v0
.LBB126_18:                             ;   in Loop: Header=BB126_4 Depth=2
	s_or_b32 exec_lo, exec_lo, s13
	v_lshrrev_b64 v[0:1], s22, v[20:21]
	; wave barrier
	s_delay_alu instid0(VALU_DEP_1)
	v_and_b32_e32 v2, 1, v0
	v_lshlrev_b32_e32 v3, 30, v0
	v_lshlrev_b32_e32 v4, 29, v0
	v_lshlrev_b32_e32 v5, 28, v0
	v_lshlrev_b32_e32 v7, 27, v0
	v_add_co_u32 v2, s13, v2, -1
	s_delay_alu instid0(VALU_DEP_1)
	v_cndmask_b32_e64 v6, 0, 1, s13
	v_not_b32_e32 v57, v3
	v_cmp_gt_i32_e64 s13, 0, v3
	v_not_b32_e32 v3, v4
	v_lshlrev_b32_e32 v55, 26, v0
	v_cmp_ne_u32_e32 vcc_lo, 0, v6
	v_ashrrev_i32_e32 v6, 31, v57
	v_lshlrev_b32_e32 v56, 25, v0
	v_ashrrev_i32_e32 v3, 31, v3
	v_and_b32_e32 v1, 0xff, v0
	v_xor_b32_e32 v2, vcc_lo, v2
	v_cmp_gt_i32_e32 vcc_lo, 0, v4
	v_not_b32_e32 v4, v5
	v_xor_b32_e32 v6, s13, v6
	v_cmp_gt_i32_e64 s13, 0, v5
	v_and_b32_e32 v2, exec_lo, v2
	v_not_b32_e32 v5, v7
	v_ashrrev_i32_e32 v4, 31, v4
	v_xor_b32_e32 v3, vcc_lo, v3
	v_cmp_gt_i32_e32 vcc_lo, 0, v7
	v_and_b32_e32 v2, v2, v6
	v_not_b32_e32 v6, v55
	v_ashrrev_i32_e32 v5, 31, v5
	v_xor_b32_e32 v4, s13, v4
	v_lshlrev_b32_e32 v0, 24, v0
	v_and_b32_e32 v2, v2, v3
	v_cmp_gt_i32_e64 s13, 0, v55
	v_not_b32_e32 v3, v56
	v_ashrrev_i32_e32 v6, 31, v6
	v_xor_b32_e32 v5, vcc_lo, v5
	v_and_b32_e32 v2, v2, v4
	v_cmp_gt_i32_e32 vcc_lo, 0, v56
	v_not_b32_e32 v4, v0
	v_ashrrev_i32_e32 v3, 31, v3
	v_xor_b32_e32 v6, s13, v6
	v_and_b32_e32 v2, v2, v5
	v_lshlrev_b32_e32 v1, 3, v1
	v_cmp_gt_i32_e64 s13, 0, v0
	v_ashrrev_i32_e32 v0, 31, v4
	v_xor_b32_e32 v3, vcc_lo, v3
	v_and_b32_e32 v2, v2, v6
	v_add_lshl_u32 v1, v1, v38, 2
	s_delay_alu instid0(VALU_DEP_4) | instskip(NEXT) | instid1(VALU_DEP_3)
	v_xor_b32_e32 v0, s13, v0
	v_and_b32_e32 v2, v2, v3
	ds_load_b32 v55, v1 offset:32
	v_add_nc_u32_e32 v57, 32, v1
	; wave barrier
	v_and_b32_e32 v0, v2, v0
	s_delay_alu instid0(VALU_DEP_1) | instskip(SKIP_1) | instid1(VALU_DEP_2)
	v_mbcnt_lo_u32_b32 v56, v0, 0
	v_cmp_ne_u32_e64 s13, 0, v0
	v_cmp_eq_u32_e32 vcc_lo, 0, v56
	s_delay_alu instid0(VALU_DEP_2) | instskip(NEXT) | instid1(SALU_CYCLE_1)
	s_and_b32 s25, s13, vcc_lo
	s_and_saveexec_b32 s13, s25
	s_cbranch_execz .LBB126_20
; %bb.19:                               ;   in Loop: Header=BB126_4 Depth=2
	s_waitcnt lgkmcnt(0)
	v_bcnt_u32_b32 v0, v0, v55
	ds_store_b32 v57, v0
.LBB126_20:                             ;   in Loop: Header=BB126_4 Depth=2
	s_or_b32 exec_lo, exec_lo, s13
	; wave barrier
	s_waitcnt lgkmcnt(0)
	s_barrier
	buffer_gl0_inv
	ds_load_2addr_b64 v[4:7], v34 offset0:4 offset1:5
	ds_load_2addr_b64 v[0:3], v37 offset0:2 offset1:3
	s_waitcnt lgkmcnt(1)
	v_add_nc_u32_e32 v58, v5, v4
	s_delay_alu instid0(VALU_DEP_1) | instskip(SKIP_1) | instid1(VALU_DEP_1)
	v_add3_u32 v58, v58, v6, v7
	s_waitcnt lgkmcnt(0)
	v_add3_u32 v58, v58, v0, v1
	s_delay_alu instid0(VALU_DEP_1) | instskip(NEXT) | instid1(VALU_DEP_1)
	v_add3_u32 v3, v58, v2, v3
	v_mov_b32_dpp v58, v3 row_shr:1 row_mask:0xf bank_mask:0xf
	s_delay_alu instid0(VALU_DEP_1) | instskip(NEXT) | instid1(VALU_DEP_1)
	v_cndmask_b32_e64 v58, v58, 0, s0
	v_add_nc_u32_e32 v3, v58, v3
	s_delay_alu instid0(VALU_DEP_1) | instskip(NEXT) | instid1(VALU_DEP_1)
	v_mov_b32_dpp v58, v3 row_shr:2 row_mask:0xf bank_mask:0xf
	v_cndmask_b32_e64 v58, 0, v58, s1
	s_delay_alu instid0(VALU_DEP_1) | instskip(NEXT) | instid1(VALU_DEP_1)
	v_add_nc_u32_e32 v3, v3, v58
	v_mov_b32_dpp v58, v3 row_shr:4 row_mask:0xf bank_mask:0xf
	s_delay_alu instid0(VALU_DEP_1) | instskip(NEXT) | instid1(VALU_DEP_1)
	v_cndmask_b32_e64 v58, 0, v58, s2
	v_add_nc_u32_e32 v3, v3, v58
	s_delay_alu instid0(VALU_DEP_1) | instskip(NEXT) | instid1(VALU_DEP_1)
	v_mov_b32_dpp v58, v3 row_shr:8 row_mask:0xf bank_mask:0xf
	v_cndmask_b32_e64 v58, 0, v58, s3
	s_delay_alu instid0(VALU_DEP_1) | instskip(SKIP_3) | instid1(VALU_DEP_1)
	v_add_nc_u32_e32 v3, v3, v58
	ds_swizzle_b32 v58, v3 offset:swizzle(BROADCAST,32,15)
	s_waitcnt lgkmcnt(0)
	v_cndmask_b32_e64 v58, v58, 0, s4
	v_add_nc_u32_e32 v3, v3, v58
	s_and_saveexec_b32 s13, s5
	s_cbranch_execz .LBB126_22
; %bb.21:                               ;   in Loop: Header=BB126_4 Depth=2
	ds_store_b32 v40, v3
.LBB126_22:                             ;   in Loop: Header=BB126_4 Depth=2
	s_or_b32 exec_lo, exec_lo, s13
	s_waitcnt lgkmcnt(0)
	s_barrier
	buffer_gl0_inv
	s_and_saveexec_b32 s13, s6
	s_cbranch_execz .LBB126_24
; %bb.23:                               ;   in Loop: Header=BB126_4 Depth=2
	ds_load_b32 v58, v41
	s_waitcnt lgkmcnt(0)
	v_mov_b32_dpp v59, v58 row_shr:1 row_mask:0xf bank_mask:0xf
	s_delay_alu instid0(VALU_DEP_1) | instskip(NEXT) | instid1(VALU_DEP_1)
	v_cndmask_b32_e64 v59, v59, 0, s10
	v_add_nc_u32_e32 v58, v59, v58
	s_delay_alu instid0(VALU_DEP_1) | instskip(NEXT) | instid1(VALU_DEP_1)
	v_mov_b32_dpp v59, v58 row_shr:2 row_mask:0xf bank_mask:0xf
	v_cndmask_b32_e64 v59, 0, v59, s11
	s_delay_alu instid0(VALU_DEP_1) | instskip(NEXT) | instid1(VALU_DEP_1)
	v_add_nc_u32_e32 v58, v58, v59
	v_mov_b32_dpp v59, v58 row_shr:4 row_mask:0xf bank_mask:0xf
	s_delay_alu instid0(VALU_DEP_1) | instskip(NEXT) | instid1(VALU_DEP_1)
	v_cndmask_b32_e64 v59, 0, v59, s12
	v_add_nc_u32_e32 v58, v58, v59
	ds_store_b32 v41, v58
.LBB126_24:                             ;   in Loop: Header=BB126_4 Depth=2
	s_or_b32 exec_lo, exec_lo, s13
	v_mov_b32_e32 v58, 0
	s_waitcnt lgkmcnt(0)
	s_barrier
	buffer_gl0_inv
	s_and_saveexec_b32 s13, s7
	s_cbranch_execz .LBB126_26
; %bb.25:                               ;   in Loop: Header=BB126_4 Depth=2
	ds_load_b32 v58, v42
.LBB126_26:                             ;   in Loop: Header=BB126_4 Depth=2
	s_or_b32 exec_lo, exec_lo, s13
	s_waitcnt lgkmcnt(0)
	v_add_nc_u32_e32 v3, v58, v3
	s_cmp_gt_u32 s22, 55
	ds_bpermute_b32 v3, v39, v3
	s_waitcnt lgkmcnt(0)
	v_cndmask_b32_e64 v3, v3, v58, s8
	s_delay_alu instid0(VALU_DEP_1) | instskip(NEXT) | instid1(VALU_DEP_1)
	v_cndmask_b32_e64 v3, v3, 0, s9
	v_add_nc_u32_e32 v4, v3, v4
	s_delay_alu instid0(VALU_DEP_1) | instskip(NEXT) | instid1(VALU_DEP_1)
	v_add_nc_u32_e32 v5, v4, v5
	v_add_nc_u32_e32 v6, v5, v6
	s_delay_alu instid0(VALU_DEP_1) | instskip(NEXT) | instid1(VALU_DEP_1)
	v_add_nc_u32_e32 v58, v6, v7
	v_add_nc_u32_e32 v59, v58, v0
	s_delay_alu instid0(VALU_DEP_1) | instskip(NEXT) | instid1(VALU_DEP_1)
	v_add_nc_u32_e32 v0, v59, v1
	v_add_nc_u32_e32 v1, v0, v2
	ds_store_2addr_b64 v34, v[3:4], v[5:6] offset0:4 offset1:5
	ds_store_2addr_b64 v37, v[58:59], v[0:1] offset0:2 offset1:3
	s_waitcnt lgkmcnt(0)
	s_barrier
	buffer_gl0_inv
	ds_load_b32 v0, v9
	ds_load_b32 v1, v12
	;; [unrolled: 1-line block ×8, first 2 shown]
	s_waitcnt lgkmcnt(7)
	v_add_nc_u32_e32 v57, v0, v8
	s_waitcnt lgkmcnt(6)
	v_add3_u32 v54, v11, v10, v1
	s_waitcnt lgkmcnt(5)
	v_add3_u32 v51, v14, v13, v2
	;; [unrolled: 2-line block ×7, first 2 shown]
	s_cbranch_scc0 .LBB126_3
; %bb.27:                               ;   in Loop: Header=BB126_2 Depth=1
                                        ; implicit-def: $vgpr14_vgpr15
                                        ; implicit-def: $vgpr10_vgpr11
                                        ; implicit-def: $vgpr6_vgpr7
                                        ; implicit-def: $vgpr2_vgpr3
                                        ; implicit-def: $sgpr22_sgpr23
	s_branch .LBB126_1
.LBB126_28:
	v_lshlrev_b32_e32 v0, 3, v17
	s_add_u32 s0, s18, s14
	s_addc_u32 s1, s19, s15
	s_delay_alu instid0(VALU_DEP_1) | instskip(NEXT) | instid1(VALU_DEP_1)
	v_add_co_u32 v23, s2, s0, v0
	v_add_co_ci_u32_e64 v24, null, s1, 0, s2
	s_delay_alu instid0(VALU_DEP_2) | instskip(NEXT) | instid1(VALU_DEP_2)
	v_add_co_u32 v17, vcc_lo, 0x1000, v23
	v_add_co_ci_u32_e32 v18, vcc_lo, 0, v24, vcc_lo
	v_add_co_u32 v19, vcc_lo, v23, 0x2000
	v_add_co_ci_u32_e32 v20, vcc_lo, 0, v24, vcc_lo
	;; [unrolled: 2-line block ×3, first 2 shown]
	global_store_b64 v[19:20], v[5:6], off
	v_add_co_u32 v5, vcc_lo, 0x3000, v23
	v_add_co_ci_u32_e32 v6, vcc_lo, 0, v24, vcc_lo
	s_clause 0x6
	global_store_b64 v0, v[13:14], s[0:1]
	global_store_b64 v0, v[15:16], s[0:1] offset:2048
	global_store_b64 v[17:18], v[11:12], off offset:2048
	global_store_b64 v[21:22], v[7:8], off offset:2048
	global_store_b64 v[5:6], v[1:2], off
	global_store_b64 v[19:20], v[9:10], off offset:-4096
	global_store_b64 v[5:6], v[3:4], off offset:2048
	s_nop 0
	s_sendmsg sendmsg(MSG_DEALLOC_VGPRS)
	s_endpgm
	.section	.rodata,"a",@progbits
	.p2align	6, 0x0
	.amdhsa_kernel _Z16sort_keys_kernelI22helper_blocked_blockedxLj256ELj8ELj10EEvPKT0_PS1_
		.amdhsa_group_segment_fixed_size 16384
		.amdhsa_private_segment_fixed_size 0
		.amdhsa_kernarg_size 272
		.amdhsa_user_sgpr_count 15
		.amdhsa_user_sgpr_dispatch_ptr 0
		.amdhsa_user_sgpr_queue_ptr 0
		.amdhsa_user_sgpr_kernarg_segment_ptr 1
		.amdhsa_user_sgpr_dispatch_id 0
		.amdhsa_user_sgpr_private_segment_size 0
		.amdhsa_wavefront_size32 1
		.amdhsa_uses_dynamic_stack 0
		.amdhsa_enable_private_segment 0
		.amdhsa_system_sgpr_workgroup_id_x 1
		.amdhsa_system_sgpr_workgroup_id_y 0
		.amdhsa_system_sgpr_workgroup_id_z 0
		.amdhsa_system_sgpr_workgroup_info 0
		.amdhsa_system_vgpr_workitem_id 2
		.amdhsa_next_free_vgpr 60
		.amdhsa_next_free_sgpr 26
		.amdhsa_reserve_vcc 1
		.amdhsa_float_round_mode_32 0
		.amdhsa_float_round_mode_16_64 0
		.amdhsa_float_denorm_mode_32 3
		.amdhsa_float_denorm_mode_16_64 3
		.amdhsa_dx10_clamp 1
		.amdhsa_ieee_mode 1
		.amdhsa_fp16_overflow 0
		.amdhsa_workgroup_processor_mode 1
		.amdhsa_memory_ordered 1
		.amdhsa_forward_progress 0
		.amdhsa_shared_vgpr_count 0
		.amdhsa_exception_fp_ieee_invalid_op 0
		.amdhsa_exception_fp_denorm_src 0
		.amdhsa_exception_fp_ieee_div_zero 0
		.amdhsa_exception_fp_ieee_overflow 0
		.amdhsa_exception_fp_ieee_underflow 0
		.amdhsa_exception_fp_ieee_inexact 0
		.amdhsa_exception_int_div_zero 0
	.end_amdhsa_kernel
	.section	.text._Z16sort_keys_kernelI22helper_blocked_blockedxLj256ELj8ELj10EEvPKT0_PS1_,"axG",@progbits,_Z16sort_keys_kernelI22helper_blocked_blockedxLj256ELj8ELj10EEvPKT0_PS1_,comdat
.Lfunc_end126:
	.size	_Z16sort_keys_kernelI22helper_blocked_blockedxLj256ELj8ELj10EEvPKT0_PS1_, .Lfunc_end126-_Z16sort_keys_kernelI22helper_blocked_blockedxLj256ELj8ELj10EEvPKT0_PS1_
                                        ; -- End function
	.section	.AMDGPU.csdata,"",@progbits
; Kernel info:
; codeLenInByte = 4724
; NumSgprs: 28
; NumVgprs: 60
; ScratchSize: 0
; MemoryBound: 0
; FloatMode: 240
; IeeeMode: 1
; LDSByteSize: 16384 bytes/workgroup (compile time only)
; SGPRBlocks: 3
; VGPRBlocks: 7
; NumSGPRsForWavesPerEU: 28
; NumVGPRsForWavesPerEU: 60
; Occupancy: 16
; WaveLimiterHint : 1
; COMPUTE_PGM_RSRC2:SCRATCH_EN: 0
; COMPUTE_PGM_RSRC2:USER_SGPR: 15
; COMPUTE_PGM_RSRC2:TRAP_HANDLER: 0
; COMPUTE_PGM_RSRC2:TGID_X_EN: 1
; COMPUTE_PGM_RSRC2:TGID_Y_EN: 0
; COMPUTE_PGM_RSRC2:TGID_Z_EN: 0
; COMPUTE_PGM_RSRC2:TIDIG_COMP_CNT: 2
	.section	.text._Z17sort_pairs_kernelI22helper_blocked_blockedxLj256ELj8ELj10EEvPKT0_PS1_,"axG",@progbits,_Z17sort_pairs_kernelI22helper_blocked_blockedxLj256ELj8ELj10EEvPKT0_PS1_,comdat
	.protected	_Z17sort_pairs_kernelI22helper_blocked_blockedxLj256ELj8ELj10EEvPKT0_PS1_ ; -- Begin function _Z17sort_pairs_kernelI22helper_blocked_blockedxLj256ELj8ELj10EEvPKT0_PS1_
	.globl	_Z17sort_pairs_kernelI22helper_blocked_blockedxLj256ELj8ELj10EEvPKT0_PS1_
	.p2align	8
	.type	_Z17sort_pairs_kernelI22helper_blocked_blockedxLj256ELj8ELj10EEvPKT0_PS1_,@function
_Z17sort_pairs_kernelI22helper_blocked_blockedxLj256ELj8ELj10EEvPKT0_PS1_: ; @_Z17sort_pairs_kernelI22helper_blocked_blockedxLj256ELj8ELj10EEvPKT0_PS1_
; %bb.0:
	s_clause 0x1
	s_load_b128 s[16:19], s[0:1], 0x0
	s_load_b32 s12, s[0:1], 0x1c
	v_and_b32_e32 v49, 0x3ff, v0
	s_mov_b32 s21, 0
	s_lshl_b32 s20, s15, 11
	s_mov_b32 s24, s21
	s_lshl_b64 s[14:15], s[20:21], 3
	v_lshlrev_b32_e32 v19, 3, v49
	s_mov_b32 s20, s21
	s_waitcnt lgkmcnt(0)
	s_add_u32 s0, s16, s14
	s_addc_u32 s1, s17, s15
	v_add_co_u32 v7, s2, s0, v19
	s_delay_alu instid0(VALU_DEP_1)
	v_add_co_ci_u32_e64 v8, null, s1, 0, s2
	s_clause 0x1
	global_load_b64 v[9:10], v19, s[0:1]
	global_load_b64 v[11:12], v19, s[0:1] offset:2048
	v_add_co_u32 v1, vcc_lo, v7, 0x2000
	v_add_co_ci_u32_e32 v2, vcc_lo, 0, v8, vcc_lo
	v_add_co_u32 v3, vcc_lo, 0x1000, v7
	v_add_co_ci_u32_e32 v4, vcc_lo, 0, v8, vcc_lo
	s_lshr_b32 s13, s12, 16
	s_clause 0x1
	global_load_b64 v[13:14], v[1:2], off offset:-4096
	global_load_b64 v[15:16], v[3:4], off offset:2048
	v_add_co_u32 v3, vcc_lo, 0x2000, v7
	v_add_co_ci_u32_e32 v4, vcc_lo, 0, v8, vcc_lo
	v_add_co_u32 v17, vcc_lo, 0x3000, v7
	global_load_b64 v[5:6], v[1:2], off
	v_add_co_ci_u32_e32 v18, vcc_lo, 0, v8, vcc_lo
	s_clause 0x2
	global_load_b64 v[7:8], v[3:4], off offset:2048
	global_load_b64 v[1:2], v[17:18], off
	global_load_b64 v[3:4], v[17:18], off offset:2048
	v_mbcnt_lo_u32_b32 v17, -1, 0
	v_bfe_u32 v18, v0, 10, 10
	v_bfe_u32 v0, v0, 20, 10
	s_and_b32 s12, s12, 0xffff
	s_mov_b32 s16, s21
	v_add_nc_u32_e32 v22, -1, v17
	v_and_b32_e32 v20, 15, v17
	v_and_b32_e32 v21, 16, v17
	;; [unrolled: 1-line block ×3, first 2 shown]
	v_mad_u32_u24 v0, v0, s13, v18
	v_cmp_gt_i32_e32 vcc_lo, 0, v22
	v_cmp_eq_u32_e64 s1, 0, v20
	v_cmp_lt_u32_e64 s2, 1, v20
	v_cmp_lt_u32_e64 s3, 3, v20
	;; [unrolled: 1-line block ×3, first 2 shown]
	v_cndmask_b32_e32 v20, v22, v17, vcc_lo
	v_and_b32_e32 v24, 0xe0, v49
	v_cmp_eq_u32_e64 s5, 0, v21
	v_lshrrev_b32_e32 v21, 3, v49
	v_cmp_eq_u32_e64 s9, 0, v23
	v_cmp_lt_u32_e64 s10, 1, v23
	v_or_b32_e32 v22, v17, v24
	v_cmp_lt_u32_e64 s11, 3, v23
	v_or_b32_e32 v23, 31, v24
	v_and_b32_e32 v69, 28, v21
	v_cmp_eq_u32_e64 s0, 0, v17
	v_lshlrev_b32_e32 v71, 6, v22
	v_and_or_b32 v19, 0x700, v19, v17
	v_mad_u64_u32 v[17:18], null, v0, s12, v[49:50]
	v_cmp_eq_u32_e64 s12, v23, v49
	v_lshlrev_b32_e32 v66, 5, v49
	v_mul_u32_u24_e32 v33, 60, v49
	v_lshlrev_b32_e32 v72, 3, v19
	v_cmp_gt_u32_e64 s6, 8, v49
	v_cmp_lt_u32_e64 s7, 31, v49
	v_mad_i32_i24 v70, 0xffffffe4, v49, v66
	v_lshrrev_b32_e32 v74, 5, v17
	v_cmp_eq_u32_e64 s8, 0, v49
	v_add_nc_u32_e32 v67, 32, v66
	v_lshlrev_b32_e32 v68, 2, v20
	v_add_nc_u32_e32 v73, -4, v69
	v_add_nc_u32_e32 v75, v70, v33
	s_mov_b32 s17, s21
	s_waitcnt vmcnt(7)
	v_add_co_u32 v21, vcc_lo, v9, 1
	v_add_co_ci_u32_e32 v22, vcc_lo, 0, v10, vcc_lo
	s_waitcnt vmcnt(6)
	v_add_co_u32 v23, vcc_lo, v11, 1
	v_add_co_ci_u32_e32 v24, vcc_lo, 0, v12, vcc_lo
	;; [unrolled: 3-line block ×8, first 2 shown]
	s_branch .LBB127_2
.LBB127_1:                              ;   in Loop: Header=BB127_2 Depth=1
	v_lshlrev_b32_e32 v0, 3, v82
	v_lshlrev_b32_e32 v33, 3, v81
	;; [unrolled: 1-line block ×3, first 2 shown]
	s_barrier
	buffer_gl0_inv
	ds_store_b64 v0, v[20:21]
	ds_store_b64 v33, v[30:31]
	;; [unrolled: 1-line block ×3, first 2 shown]
	v_lshlrev_b32_e32 v20, 3, v79
	v_lshlrev_b32_e32 v21, 3, v78
	;; [unrolled: 1-line block ×5, first 2 shown]
	ds_store_b64 v20, v[26:27]
	ds_store_b64 v21, v[24:25]
	;; [unrolled: 1-line block ×5, first 2 shown]
	s_waitcnt lgkmcnt(0)
	s_barrier
	buffer_gl0_inv
	ds_load_2addr_b64 v[9:12], v75 offset1:1
	ds_load_2addr_b64 v[13:16], v75 offset0:2 offset1:3
	ds_load_2addr_b64 v[5:8], v75 offset0:4 offset1:5
	ds_load_2addr_b64 v[1:4], v75 offset0:6 offset1:7
	s_waitcnt lgkmcnt(0)
	s_barrier
	buffer_gl0_inv
	ds_store_b64 v0, v[64:65]
	ds_store_b64 v33, v[62:63]
	;; [unrolled: 1-line block ×8, first 2 shown]
	s_waitcnt lgkmcnt(0)
	s_barrier
	buffer_gl0_inv
	ds_load_2addr_b64 v[21:24], v75 offset1:1
	ds_load_2addr_b64 v[25:28], v75 offset0:2 offset1:3
	ds_load_2addr_b64 v[29:32], v75 offset0:4 offset1:5
	;; [unrolled: 1-line block ×3, first 2 shown]
	s_add_i32 s24, s24, 1
	s_delay_alu instid0(SALU_CYCLE_1)
	s_cmp_eq_u32 s24, 10
	v_xor_b32_e32 v10, 0x80000000, v10
	v_xor_b32_e32 v12, 0x80000000, v12
	;; [unrolled: 1-line block ×8, first 2 shown]
	s_cbranch_scc1 .LBB127_28
.LBB127_2:                              ; =>This Loop Header: Depth=1
                                        ;     Child Loop BB127_4 Depth 2
	v_xor_b32_e32 v10, 0x80000000, v10
	v_xor_b32_e32 v12, 0x80000000, v12
	;; [unrolled: 1-line block ×8, first 2 shown]
	ds_store_2addr_b64 v71, v[9:10], v[11:12] offset1:1
	ds_store_2addr_b64 v71, v[13:14], v[15:16] offset0:2 offset1:3
	ds_store_2addr_b64 v71, v[5:6], v[7:8] offset0:4 offset1:5
	;; [unrolled: 1-line block ×3, first 2 shown]
	; wave barrier
	ds_load_2addr_b64 v[33:36], v72 offset1:32
	ds_load_2addr_b64 v[37:40], v72 offset0:64 offset1:96
	ds_load_2addr_b64 v[41:44], v72 offset0:128 offset1:160
	;; [unrolled: 1-line block ×3, first 2 shown]
	; wave barrier
	s_waitcnt lgkmcnt(11)
	ds_store_2addr_b64 v71, v[21:22], v[23:24] offset1:1
	s_waitcnt lgkmcnt(11)
	ds_store_2addr_b64 v71, v[25:26], v[27:28] offset0:2 offset1:3
	s_waitcnt lgkmcnt(11)
	ds_store_2addr_b64 v71, v[29:30], v[31:32] offset0:4 offset1:5
	;; [unrolled: 2-line block ×3, first 2 shown]
	; wave barrier
	ds_load_2addr_b64 v[0:3], v72 offset1:32
	ds_load_2addr_b64 v[4:7], v72 offset0:64 offset1:96
	ds_load_2addr_b64 v[8:11], v72 offset0:128 offset1:160
	;; [unrolled: 1-line block ×3, first 2 shown]
	s_mov_b64 s[22:23], 0
	s_waitcnt lgkmcnt(0)
	s_barrier
	s_branch .LBB127_4
.LBB127_3:                              ;   in Loop: Header=BB127_4 Depth=2
	v_lshlrev_b32_e32 v0, 3, v82
	v_lshlrev_b32_e32 v3, 3, v79
	v_lshlrev_b32_e32 v1, 3, v81
	v_lshlrev_b32_e32 v4, 3, v78
	v_lshlrev_b32_e32 v2, 3, v80
	v_lshlrev_b32_e32 v5, 3, v77
	v_lshlrev_b32_e32 v6, 3, v76
	v_lshlrev_b32_e32 v7, 3, v32
	s_barrier
	buffer_gl0_inv
	ds_store_b64 v0, v[20:21]
	ds_store_b64 v1, v[30:31]
	;; [unrolled: 1-line block ×8, first 2 shown]
	s_waitcnt lgkmcnt(0)
	s_barrier
	buffer_gl0_inv
	ds_load_2addr_b64 v[33:36], v72 offset1:32
	ds_load_2addr_b64 v[37:40], v72 offset0:64 offset1:96
	ds_load_2addr_b64 v[41:44], v72 offset0:128 offset1:160
	;; [unrolled: 1-line block ×3, first 2 shown]
	s_waitcnt lgkmcnt(0)
	s_barrier
	buffer_gl0_inv
	ds_store_b64 v0, v[64:65]
	ds_store_b64 v1, v[62:63]
	;; [unrolled: 1-line block ×8, first 2 shown]
	s_waitcnt lgkmcnt(0)
	s_barrier
	buffer_gl0_inv
	ds_load_2addr_b64 v[0:3], v72 offset1:32
	ds_load_2addr_b64 v[4:7], v72 offset0:64 offset1:96
	ds_load_2addr_b64 v[8:11], v72 offset0:128 offset1:160
	;; [unrolled: 1-line block ×3, first 2 shown]
	s_add_u32 s22, s22, 8
	s_addc_u32 s23, s23, 0
	s_waitcnt lgkmcnt(0)
	s_barrier
	s_cbranch_execz .LBB127_1
.LBB127_4:                              ;   Parent Loop BB127_2 Depth=1
                                        ; =>  This Inner Loop Header: Depth=2
	v_dual_mov_b32 v20, v33 :: v_dual_mov_b32 v21, v34
	v_dual_mov_b32 v28, v37 :: v_dual_mov_b32 v29, v38
	;; [unrolled: 1-line block ×3, first 2 shown]
	s_delay_alu instid0(VALU_DEP_3) | instskip(SKIP_3) | instid1(VALU_DEP_4)
	v_lshrrev_b64 v[32:33], s22, v[20:21]
	v_dual_mov_b32 v30, v35 :: v_dual_mov_b32 v31, v36
	v_mov_b32_e32 v59, v7
	v_dual_mov_b32 v26, v39 :: v_dual_mov_b32 v27, v40
	v_and_b32_e32 v33, 1, v32
	v_dual_mov_b32 v51, v15 :: v_dual_lshlrev_b32 v34, 30, v32
	v_dual_mov_b32 v50, v14 :: v_dual_lshlrev_b32 v35, 29, v32
	s_delay_alu instid0(VALU_DEP_3) | instskip(NEXT) | instid1(VALU_DEP_1)
	v_add_co_u32 v33, s13, v33, -1
	v_cndmask_b32_e64 v37, 0, 1, s13
	s_delay_alu instid0(VALU_DEP_4) | instskip(SKIP_2) | instid1(VALU_DEP_4)
	v_not_b32_e32 v41, v34
	v_dual_mov_b32 v53, v13 :: v_dual_lshlrev_b32 v36, 28, v32
	v_cmp_gt_i32_e64 s13, 0, v34
	v_cmp_ne_u32_e32 vcc_lo, 0, v37
	s_delay_alu instid0(VALU_DEP_4)
	v_ashrrev_i32_e32 v41, 31, v41
	v_mov_b32_e32 v52, v12
	v_not_b32_e32 v34, v35
	v_dual_mov_b32 v55, v11 :: v_dual_lshlrev_b32 v38, 27, v32
	v_xor_b32_e32 v33, vcc_lo, v33
	v_cmp_gt_i32_e32 vcc_lo, 0, v35
	v_not_b32_e32 v35, v36
	v_ashrrev_i32_e32 v34, 31, v34
	v_xor_b32_e32 v41, s13, v41
	v_dual_mov_b32 v58, v6 :: v_dual_and_b32 v33, exec_lo, v33
	v_dual_mov_b32 v54, v10 :: v_dual_lshlrev_b32 v39, 26, v32
	v_cmp_gt_i32_e64 s13, 0, v36
	v_not_b32_e32 v36, v38
	v_ashrrev_i32_e32 v35, 31, v35
	v_xor_b32_e32 v34, vcc_lo, v34
	v_and_b32_e32 v33, v33, v41
	v_dual_mov_b32 v61, v5 :: v_dual_lshlrev_b32 v40, 25, v32
	v_mov_b32_e32 v57, v9
	v_cmp_gt_i32_e32 vcc_lo, 0, v38
	v_not_b32_e32 v38, v39
	v_ashrrev_i32_e32 v36, 31, v36
	v_xor_b32_e32 v35, s13, v35
	v_dual_mov_b32 v60, v4 :: v_dual_and_b32 v33, v33, v34
	v_dual_mov_b32 v63, v3 :: v_dual_mov_b32 v62, v2
	v_dual_mov_b32 v56, v8 :: v_dual_lshlrev_b32 v37, 24, v32
	v_cmp_gt_i32_e64 s13, 0, v39
	v_not_b32_e32 v34, v40
	v_ashrrev_i32_e32 v38, 31, v38
	v_xor_b32_e32 v36, vcc_lo, v36
	v_and_b32_e32 v33, v33, v35
	v_dual_mov_b32 v3, s20 :: v_dual_mov_b32 v4, s21
	v_cmp_gt_i32_e32 vcc_lo, 0, v40
	v_not_b32_e32 v35, v37
	v_ashrrev_i32_e32 v34, 31, v34
	v_xor_b32_e32 v38, s13, v38
	v_and_b32_e32 v33, v33, v36
	v_dual_mov_b32 v5, s16 :: v_dual_mov_b32 v6, s17
	v_cmp_gt_i32_e64 s13, 0, v37
	v_ashrrev_i32_e32 v14, 31, v35
	v_xor_b32_e32 v15, vcc_lo, v34
	v_and_b32_e32 v33, v33, v38
	v_dual_mov_b32 v65, v1 :: v_dual_mov_b32 v64, v0
	s_delay_alu instid0(VALU_DEP_4) | instskip(SKIP_1) | instid1(VALU_DEP_4)
	v_xor_b32_e32 v8, s13, v14
	v_and_b32_e32 v0, 0xff, v32
	v_dual_mov_b32 v16, v47 :: v_dual_and_b32 v9, v33, v15
	v_dual_mov_b32 v17, v48 :: v_dual_mov_b32 v18, v45
	s_delay_alu instid0(VALU_DEP_2) | instskip(NEXT) | instid1(VALU_DEP_4)
	v_dual_mov_b32 v19, v46 :: v_dual_and_b32 v2, v9, v8
	v_lshl_add_u32 v0, v0, 3, v74
	v_dual_mov_b32 v22, v43 :: v_dual_mov_b32 v23, v44
	buffer_gl0_inv
	v_mbcnt_lo_u32_b32 v8, v2, 0
	v_cmp_ne_u32_e64 s13, 0, v2
	v_lshl_add_u32 v9, v0, 2, 32
	ds_store_2addr_b64 v66, v[3:4], v[5:6] offset0:4 offset1:5
	ds_store_2addr_b64 v67, v[3:4], v[5:6] offset0:2 offset1:3
	s_waitcnt lgkmcnt(0)
	v_cmp_eq_u32_e32 vcc_lo, 0, v8
	s_barrier
	buffer_gl0_inv
	; wave barrier
	s_and_b32 s25, s13, vcc_lo
	s_delay_alu instid0(SALU_CYCLE_1)
	s_and_saveexec_b32 s13, s25
	s_cbranch_execz .LBB127_6
; %bb.5:                                ;   in Loop: Header=BB127_4 Depth=2
	v_bcnt_u32_b32 v0, v2, 0
	ds_store_b32 v9, v0
.LBB127_6:                              ;   in Loop: Header=BB127_4 Depth=2
	s_or_b32 exec_lo, exec_lo, s13
	v_lshrrev_b64 v[0:1], s22, v[30:31]
	; wave barrier
	s_delay_alu instid0(VALU_DEP_1)
	v_and_b32_e32 v2, 1, v0
	v_lshlrev_b32_e32 v3, 30, v0
	v_lshlrev_b32_e32 v4, 29, v0
	;; [unrolled: 1-line block ×4, first 2 shown]
	v_add_co_u32 v2, s13, v2, -1
	s_delay_alu instid0(VALU_DEP_1)
	v_cndmask_b32_e64 v6, 0, 1, s13
	v_not_b32_e32 v12, v3
	v_cmp_gt_i32_e64 s13, 0, v3
	v_not_b32_e32 v3, v4
	v_lshlrev_b32_e32 v10, 26, v0
	v_cmp_ne_u32_e32 vcc_lo, 0, v6
	v_ashrrev_i32_e32 v6, 31, v12
	v_lshlrev_b32_e32 v11, 25, v0
	v_ashrrev_i32_e32 v3, 31, v3
	v_and_b32_e32 v1, 0xff, v0
	v_xor_b32_e32 v2, vcc_lo, v2
	v_cmp_gt_i32_e32 vcc_lo, 0, v4
	v_not_b32_e32 v4, v5
	v_xor_b32_e32 v6, s13, v6
	v_cmp_gt_i32_e64 s13, 0, v5
	v_and_b32_e32 v2, exec_lo, v2
	v_not_b32_e32 v5, v7
	v_ashrrev_i32_e32 v4, 31, v4
	v_xor_b32_e32 v3, vcc_lo, v3
	v_cmp_gt_i32_e32 vcc_lo, 0, v7
	v_and_b32_e32 v2, v2, v6
	v_not_b32_e32 v6, v10
	v_ashrrev_i32_e32 v5, 31, v5
	v_xor_b32_e32 v4, s13, v4
	v_lshlrev_b32_e32 v0, 24, v0
	v_and_b32_e32 v2, v2, v3
	v_cmp_gt_i32_e64 s13, 0, v10
	v_not_b32_e32 v3, v11
	v_ashrrev_i32_e32 v6, 31, v6
	v_xor_b32_e32 v5, vcc_lo, v5
	v_and_b32_e32 v2, v2, v4
	v_cmp_gt_i32_e32 vcc_lo, 0, v11
	v_not_b32_e32 v4, v0
	v_ashrrev_i32_e32 v3, 31, v3
	v_xor_b32_e32 v6, s13, v6
	v_and_b32_e32 v2, v2, v5
	v_lshlrev_b32_e32 v1, 3, v1
	v_cmp_gt_i32_e64 s13, 0, v0
	v_ashrrev_i32_e32 v0, 31, v4
	v_xor_b32_e32 v3, vcc_lo, v3
	v_and_b32_e32 v2, v2, v6
	v_add_lshl_u32 v1, v1, v74, 2
	s_delay_alu instid0(VALU_DEP_4) | instskip(NEXT) | instid1(VALU_DEP_3)
	v_xor_b32_e32 v0, s13, v0
	v_and_b32_e32 v2, v2, v3
	ds_load_b32 v10, v1 offset:32
	v_add_nc_u32_e32 v12, 32, v1
	; wave barrier
	v_and_b32_e32 v0, v2, v0
	s_delay_alu instid0(VALU_DEP_1) | instskip(SKIP_1) | instid1(VALU_DEP_2)
	v_mbcnt_lo_u32_b32 v11, v0, 0
	v_cmp_ne_u32_e64 s13, 0, v0
	v_cmp_eq_u32_e32 vcc_lo, 0, v11
	s_delay_alu instid0(VALU_DEP_2) | instskip(NEXT) | instid1(SALU_CYCLE_1)
	s_and_b32 s25, s13, vcc_lo
	s_and_saveexec_b32 s13, s25
	s_cbranch_execz .LBB127_8
; %bb.7:                                ;   in Loop: Header=BB127_4 Depth=2
	s_waitcnt lgkmcnt(0)
	v_bcnt_u32_b32 v0, v0, v10
	ds_store_b32 v12, v0
.LBB127_8:                              ;   in Loop: Header=BB127_4 Depth=2
	s_or_b32 exec_lo, exec_lo, s13
	v_lshrrev_b64 v[0:1], s22, v[28:29]
	; wave barrier
	s_delay_alu instid0(VALU_DEP_1)
	v_and_b32_e32 v2, 1, v0
	v_lshlrev_b32_e32 v3, 30, v0
	v_lshlrev_b32_e32 v4, 29, v0
	;; [unrolled: 1-line block ×4, first 2 shown]
	v_add_co_u32 v2, s13, v2, -1
	s_delay_alu instid0(VALU_DEP_1)
	v_cndmask_b32_e64 v6, 0, 1, s13
	v_not_b32_e32 v15, v3
	v_cmp_gt_i32_e64 s13, 0, v3
	v_not_b32_e32 v3, v4
	v_lshlrev_b32_e32 v13, 26, v0
	v_cmp_ne_u32_e32 vcc_lo, 0, v6
	v_ashrrev_i32_e32 v6, 31, v15
	v_lshlrev_b32_e32 v14, 25, v0
	v_ashrrev_i32_e32 v3, 31, v3
	v_and_b32_e32 v1, 0xff, v0
	v_xor_b32_e32 v2, vcc_lo, v2
	v_cmp_gt_i32_e32 vcc_lo, 0, v4
	v_not_b32_e32 v4, v5
	v_xor_b32_e32 v6, s13, v6
	v_cmp_gt_i32_e64 s13, 0, v5
	v_and_b32_e32 v2, exec_lo, v2
	v_not_b32_e32 v5, v7
	v_ashrrev_i32_e32 v4, 31, v4
	v_xor_b32_e32 v3, vcc_lo, v3
	v_cmp_gt_i32_e32 vcc_lo, 0, v7
	v_and_b32_e32 v2, v2, v6
	v_not_b32_e32 v6, v13
	v_ashrrev_i32_e32 v5, 31, v5
	v_xor_b32_e32 v4, s13, v4
	v_lshlrev_b32_e32 v0, 24, v0
	v_and_b32_e32 v2, v2, v3
	v_cmp_gt_i32_e64 s13, 0, v13
	v_not_b32_e32 v3, v14
	v_ashrrev_i32_e32 v6, 31, v6
	v_xor_b32_e32 v5, vcc_lo, v5
	v_and_b32_e32 v2, v2, v4
	v_cmp_gt_i32_e32 vcc_lo, 0, v14
	v_not_b32_e32 v4, v0
	v_ashrrev_i32_e32 v3, 31, v3
	v_xor_b32_e32 v6, s13, v6
	v_and_b32_e32 v2, v2, v5
	v_lshlrev_b32_e32 v1, 3, v1
	v_cmp_gt_i32_e64 s13, 0, v0
	v_ashrrev_i32_e32 v0, 31, v4
	v_xor_b32_e32 v3, vcc_lo, v3
	v_and_b32_e32 v2, v2, v6
	v_add_lshl_u32 v1, v1, v74, 2
	s_delay_alu instid0(VALU_DEP_4) | instskip(NEXT) | instid1(VALU_DEP_3)
	v_xor_b32_e32 v0, s13, v0
	v_and_b32_e32 v2, v2, v3
	ds_load_b32 v13, v1 offset:32
	v_add_nc_u32_e32 v15, 32, v1
	; wave barrier
	v_and_b32_e32 v0, v2, v0
	s_delay_alu instid0(VALU_DEP_1) | instskip(SKIP_1) | instid1(VALU_DEP_2)
	v_mbcnt_lo_u32_b32 v14, v0, 0
	v_cmp_ne_u32_e64 s13, 0, v0
	v_cmp_eq_u32_e32 vcc_lo, 0, v14
	s_delay_alu instid0(VALU_DEP_2) | instskip(NEXT) | instid1(SALU_CYCLE_1)
	s_and_b32 s25, s13, vcc_lo
	s_and_saveexec_b32 s13, s25
	s_cbranch_execz .LBB127_10
; %bb.9:                                ;   in Loop: Header=BB127_4 Depth=2
	s_waitcnt lgkmcnt(0)
	v_bcnt_u32_b32 v0, v0, v13
	ds_store_b32 v15, v0
.LBB127_10:                             ;   in Loop: Header=BB127_4 Depth=2
	s_or_b32 exec_lo, exec_lo, s13
	v_lshrrev_b64 v[0:1], s22, v[26:27]
	; wave barrier
	s_delay_alu instid0(VALU_DEP_1)
	v_and_b32_e32 v2, 1, v0
	v_lshlrev_b32_e32 v3, 30, v0
	v_lshlrev_b32_e32 v4, 29, v0
	;; [unrolled: 1-line block ×4, first 2 shown]
	v_add_co_u32 v2, s13, v2, -1
	s_delay_alu instid0(VALU_DEP_1)
	v_cndmask_b32_e64 v6, 0, 1, s13
	v_not_b32_e32 v34, v3
	v_cmp_gt_i32_e64 s13, 0, v3
	v_not_b32_e32 v3, v4
	v_lshlrev_b32_e32 v32, 26, v0
	v_cmp_ne_u32_e32 vcc_lo, 0, v6
	v_ashrrev_i32_e32 v6, 31, v34
	v_lshlrev_b32_e32 v33, 25, v0
	v_ashrrev_i32_e32 v3, 31, v3
	v_and_b32_e32 v1, 0xff, v0
	v_xor_b32_e32 v2, vcc_lo, v2
	v_cmp_gt_i32_e32 vcc_lo, 0, v4
	v_not_b32_e32 v4, v5
	v_xor_b32_e32 v6, s13, v6
	v_cmp_gt_i32_e64 s13, 0, v5
	v_and_b32_e32 v2, exec_lo, v2
	v_not_b32_e32 v5, v7
	v_ashrrev_i32_e32 v4, 31, v4
	v_xor_b32_e32 v3, vcc_lo, v3
	v_cmp_gt_i32_e32 vcc_lo, 0, v7
	v_and_b32_e32 v2, v2, v6
	v_not_b32_e32 v6, v32
	v_ashrrev_i32_e32 v5, 31, v5
	v_xor_b32_e32 v4, s13, v4
	v_lshlrev_b32_e32 v0, 24, v0
	v_and_b32_e32 v2, v2, v3
	v_cmp_gt_i32_e64 s13, 0, v32
	v_not_b32_e32 v3, v33
	v_ashrrev_i32_e32 v6, 31, v6
	v_xor_b32_e32 v5, vcc_lo, v5
	v_and_b32_e32 v2, v2, v4
	v_cmp_gt_i32_e32 vcc_lo, 0, v33
	v_not_b32_e32 v4, v0
	v_ashrrev_i32_e32 v3, 31, v3
	v_xor_b32_e32 v6, s13, v6
	v_and_b32_e32 v2, v2, v5
	v_lshlrev_b32_e32 v1, 3, v1
	v_cmp_gt_i32_e64 s13, 0, v0
	v_ashrrev_i32_e32 v0, 31, v4
	v_xor_b32_e32 v3, vcc_lo, v3
	v_and_b32_e32 v2, v2, v6
	v_add_lshl_u32 v1, v1, v74, 2
	s_delay_alu instid0(VALU_DEP_4) | instskip(NEXT) | instid1(VALU_DEP_3)
	v_xor_b32_e32 v0, s13, v0
	v_and_b32_e32 v2, v2, v3
	ds_load_b32 v32, v1 offset:32
	v_add_nc_u32_e32 v34, 32, v1
	; wave barrier
	v_and_b32_e32 v0, v2, v0
	s_delay_alu instid0(VALU_DEP_1) | instskip(SKIP_1) | instid1(VALU_DEP_2)
	v_mbcnt_lo_u32_b32 v33, v0, 0
	v_cmp_ne_u32_e64 s13, 0, v0
	v_cmp_eq_u32_e32 vcc_lo, 0, v33
	s_delay_alu instid0(VALU_DEP_2) | instskip(NEXT) | instid1(SALU_CYCLE_1)
	s_and_b32 s25, s13, vcc_lo
	s_and_saveexec_b32 s13, s25
	s_cbranch_execz .LBB127_12
; %bb.11:                               ;   in Loop: Header=BB127_4 Depth=2
	s_waitcnt lgkmcnt(0)
	v_bcnt_u32_b32 v0, v0, v32
	ds_store_b32 v34, v0
.LBB127_12:                             ;   in Loop: Header=BB127_4 Depth=2
	s_or_b32 exec_lo, exec_lo, s13
	v_lshrrev_b64 v[0:1], s22, v[24:25]
	; wave barrier
	s_delay_alu instid0(VALU_DEP_1)
	v_and_b32_e32 v2, 1, v0
	v_lshlrev_b32_e32 v3, 30, v0
	v_lshlrev_b32_e32 v4, 29, v0
	;; [unrolled: 1-line block ×4, first 2 shown]
	v_add_co_u32 v2, s13, v2, -1
	s_delay_alu instid0(VALU_DEP_1)
	v_cndmask_b32_e64 v6, 0, 1, s13
	v_not_b32_e32 v37, v3
	v_cmp_gt_i32_e64 s13, 0, v3
	v_not_b32_e32 v3, v4
	v_lshlrev_b32_e32 v35, 26, v0
	v_cmp_ne_u32_e32 vcc_lo, 0, v6
	v_ashrrev_i32_e32 v6, 31, v37
	v_lshlrev_b32_e32 v36, 25, v0
	v_ashrrev_i32_e32 v3, 31, v3
	v_and_b32_e32 v1, 0xff, v0
	v_xor_b32_e32 v2, vcc_lo, v2
	v_cmp_gt_i32_e32 vcc_lo, 0, v4
	v_not_b32_e32 v4, v5
	v_xor_b32_e32 v6, s13, v6
	v_cmp_gt_i32_e64 s13, 0, v5
	v_and_b32_e32 v2, exec_lo, v2
	v_not_b32_e32 v5, v7
	v_ashrrev_i32_e32 v4, 31, v4
	v_xor_b32_e32 v3, vcc_lo, v3
	v_cmp_gt_i32_e32 vcc_lo, 0, v7
	v_and_b32_e32 v2, v2, v6
	v_not_b32_e32 v6, v35
	v_ashrrev_i32_e32 v5, 31, v5
	v_xor_b32_e32 v4, s13, v4
	v_lshlrev_b32_e32 v0, 24, v0
	v_and_b32_e32 v2, v2, v3
	v_cmp_gt_i32_e64 s13, 0, v35
	v_not_b32_e32 v3, v36
	v_ashrrev_i32_e32 v6, 31, v6
	v_xor_b32_e32 v5, vcc_lo, v5
	v_and_b32_e32 v2, v2, v4
	v_cmp_gt_i32_e32 vcc_lo, 0, v36
	v_not_b32_e32 v4, v0
	v_ashrrev_i32_e32 v3, 31, v3
	v_xor_b32_e32 v6, s13, v6
	v_and_b32_e32 v2, v2, v5
	v_lshlrev_b32_e32 v1, 3, v1
	v_cmp_gt_i32_e64 s13, 0, v0
	v_ashrrev_i32_e32 v0, 31, v4
	v_xor_b32_e32 v3, vcc_lo, v3
	v_and_b32_e32 v2, v2, v6
	v_add_lshl_u32 v1, v1, v74, 2
	s_delay_alu instid0(VALU_DEP_4) | instskip(NEXT) | instid1(VALU_DEP_3)
	v_xor_b32_e32 v0, s13, v0
	v_and_b32_e32 v2, v2, v3
	ds_load_b32 v35, v1 offset:32
	v_add_nc_u32_e32 v37, 32, v1
	; wave barrier
	v_and_b32_e32 v0, v2, v0
	s_delay_alu instid0(VALU_DEP_1) | instskip(SKIP_1) | instid1(VALU_DEP_2)
	v_mbcnt_lo_u32_b32 v36, v0, 0
	v_cmp_ne_u32_e64 s13, 0, v0
	v_cmp_eq_u32_e32 vcc_lo, 0, v36
	s_delay_alu instid0(VALU_DEP_2) | instskip(NEXT) | instid1(SALU_CYCLE_1)
	s_and_b32 s25, s13, vcc_lo
	s_and_saveexec_b32 s13, s25
	s_cbranch_execz .LBB127_14
; %bb.13:                               ;   in Loop: Header=BB127_4 Depth=2
	s_waitcnt lgkmcnt(0)
	v_bcnt_u32_b32 v0, v0, v35
	ds_store_b32 v37, v0
.LBB127_14:                             ;   in Loop: Header=BB127_4 Depth=2
	s_or_b32 exec_lo, exec_lo, s13
	v_lshrrev_b64 v[0:1], s22, v[22:23]
	; wave barrier
	s_delay_alu instid0(VALU_DEP_1)
	v_and_b32_e32 v2, 1, v0
	v_lshlrev_b32_e32 v3, 30, v0
	v_lshlrev_b32_e32 v4, 29, v0
	;; [unrolled: 1-line block ×4, first 2 shown]
	v_add_co_u32 v2, s13, v2, -1
	s_delay_alu instid0(VALU_DEP_1)
	v_cndmask_b32_e64 v6, 0, 1, s13
	v_not_b32_e32 v40, v3
	v_cmp_gt_i32_e64 s13, 0, v3
	v_not_b32_e32 v3, v4
	v_lshlrev_b32_e32 v38, 26, v0
	v_cmp_ne_u32_e32 vcc_lo, 0, v6
	v_ashrrev_i32_e32 v6, 31, v40
	v_lshlrev_b32_e32 v39, 25, v0
	v_ashrrev_i32_e32 v3, 31, v3
	v_and_b32_e32 v1, 0xff, v0
	v_xor_b32_e32 v2, vcc_lo, v2
	v_cmp_gt_i32_e32 vcc_lo, 0, v4
	v_not_b32_e32 v4, v5
	v_xor_b32_e32 v6, s13, v6
	v_cmp_gt_i32_e64 s13, 0, v5
	v_and_b32_e32 v2, exec_lo, v2
	v_not_b32_e32 v5, v7
	v_ashrrev_i32_e32 v4, 31, v4
	v_xor_b32_e32 v3, vcc_lo, v3
	v_cmp_gt_i32_e32 vcc_lo, 0, v7
	v_and_b32_e32 v2, v2, v6
	v_not_b32_e32 v6, v38
	v_ashrrev_i32_e32 v5, 31, v5
	v_xor_b32_e32 v4, s13, v4
	v_lshlrev_b32_e32 v0, 24, v0
	v_and_b32_e32 v2, v2, v3
	v_cmp_gt_i32_e64 s13, 0, v38
	v_not_b32_e32 v3, v39
	v_ashrrev_i32_e32 v6, 31, v6
	v_xor_b32_e32 v5, vcc_lo, v5
	v_and_b32_e32 v2, v2, v4
	v_cmp_gt_i32_e32 vcc_lo, 0, v39
	v_not_b32_e32 v4, v0
	v_ashrrev_i32_e32 v3, 31, v3
	v_xor_b32_e32 v6, s13, v6
	v_and_b32_e32 v2, v2, v5
	v_lshlrev_b32_e32 v1, 3, v1
	v_cmp_gt_i32_e64 s13, 0, v0
	v_ashrrev_i32_e32 v0, 31, v4
	v_xor_b32_e32 v3, vcc_lo, v3
	v_and_b32_e32 v2, v2, v6
	v_add_lshl_u32 v1, v1, v74, 2
	s_delay_alu instid0(VALU_DEP_4) | instskip(NEXT) | instid1(VALU_DEP_3)
	v_xor_b32_e32 v0, s13, v0
	v_and_b32_e32 v2, v2, v3
	ds_load_b32 v38, v1 offset:32
	v_add_nc_u32_e32 v40, 32, v1
	; wave barrier
	v_and_b32_e32 v0, v2, v0
	s_delay_alu instid0(VALU_DEP_1) | instskip(SKIP_1) | instid1(VALU_DEP_2)
	v_mbcnt_lo_u32_b32 v39, v0, 0
	v_cmp_ne_u32_e64 s13, 0, v0
	v_cmp_eq_u32_e32 vcc_lo, 0, v39
	s_delay_alu instid0(VALU_DEP_2) | instskip(NEXT) | instid1(SALU_CYCLE_1)
	s_and_b32 s25, s13, vcc_lo
	s_and_saveexec_b32 s13, s25
	s_cbranch_execz .LBB127_16
; %bb.15:                               ;   in Loop: Header=BB127_4 Depth=2
	s_waitcnt lgkmcnt(0)
	v_bcnt_u32_b32 v0, v0, v38
	ds_store_b32 v40, v0
.LBB127_16:                             ;   in Loop: Header=BB127_4 Depth=2
	s_or_b32 exec_lo, exec_lo, s13
	v_lshrrev_b64 v[0:1], s22, v[18:19]
	; wave barrier
	s_delay_alu instid0(VALU_DEP_1)
	v_and_b32_e32 v2, 1, v0
	v_lshlrev_b32_e32 v3, 30, v0
	v_lshlrev_b32_e32 v4, 29, v0
	;; [unrolled: 1-line block ×4, first 2 shown]
	v_add_co_u32 v2, s13, v2, -1
	s_delay_alu instid0(VALU_DEP_1)
	v_cndmask_b32_e64 v6, 0, 1, s13
	v_not_b32_e32 v43, v3
	v_cmp_gt_i32_e64 s13, 0, v3
	v_not_b32_e32 v3, v4
	v_lshlrev_b32_e32 v41, 26, v0
	v_cmp_ne_u32_e32 vcc_lo, 0, v6
	v_ashrrev_i32_e32 v6, 31, v43
	v_lshlrev_b32_e32 v42, 25, v0
	v_ashrrev_i32_e32 v3, 31, v3
	v_and_b32_e32 v1, 0xff, v0
	v_xor_b32_e32 v2, vcc_lo, v2
	v_cmp_gt_i32_e32 vcc_lo, 0, v4
	v_not_b32_e32 v4, v5
	v_xor_b32_e32 v6, s13, v6
	v_cmp_gt_i32_e64 s13, 0, v5
	v_and_b32_e32 v2, exec_lo, v2
	v_not_b32_e32 v5, v7
	v_ashrrev_i32_e32 v4, 31, v4
	v_xor_b32_e32 v3, vcc_lo, v3
	v_cmp_gt_i32_e32 vcc_lo, 0, v7
	v_and_b32_e32 v2, v2, v6
	v_not_b32_e32 v6, v41
	v_ashrrev_i32_e32 v5, 31, v5
	v_xor_b32_e32 v4, s13, v4
	v_lshlrev_b32_e32 v0, 24, v0
	v_and_b32_e32 v2, v2, v3
	v_cmp_gt_i32_e64 s13, 0, v41
	v_not_b32_e32 v3, v42
	v_ashrrev_i32_e32 v6, 31, v6
	v_xor_b32_e32 v5, vcc_lo, v5
	v_and_b32_e32 v2, v2, v4
	v_cmp_gt_i32_e32 vcc_lo, 0, v42
	v_not_b32_e32 v4, v0
	v_ashrrev_i32_e32 v3, 31, v3
	v_xor_b32_e32 v6, s13, v6
	v_and_b32_e32 v2, v2, v5
	v_lshlrev_b32_e32 v1, 3, v1
	v_cmp_gt_i32_e64 s13, 0, v0
	v_ashrrev_i32_e32 v0, 31, v4
	v_xor_b32_e32 v3, vcc_lo, v3
	v_and_b32_e32 v2, v2, v6
	v_add_lshl_u32 v1, v1, v74, 2
	s_delay_alu instid0(VALU_DEP_4) | instskip(NEXT) | instid1(VALU_DEP_3)
	v_xor_b32_e32 v0, s13, v0
	v_and_b32_e32 v2, v2, v3
	ds_load_b32 v41, v1 offset:32
	v_add_nc_u32_e32 v43, 32, v1
	; wave barrier
	v_and_b32_e32 v0, v2, v0
	s_delay_alu instid0(VALU_DEP_1) | instskip(SKIP_1) | instid1(VALU_DEP_2)
	v_mbcnt_lo_u32_b32 v42, v0, 0
	v_cmp_ne_u32_e64 s13, 0, v0
	v_cmp_eq_u32_e32 vcc_lo, 0, v42
	s_delay_alu instid0(VALU_DEP_2) | instskip(NEXT) | instid1(SALU_CYCLE_1)
	s_and_b32 s25, s13, vcc_lo
	s_and_saveexec_b32 s13, s25
	s_cbranch_execz .LBB127_18
; %bb.17:                               ;   in Loop: Header=BB127_4 Depth=2
	s_waitcnt lgkmcnt(0)
	v_bcnt_u32_b32 v0, v0, v41
	ds_store_b32 v43, v0
.LBB127_18:                             ;   in Loop: Header=BB127_4 Depth=2
	s_or_b32 exec_lo, exec_lo, s13
	v_lshrrev_b64 v[0:1], s22, v[16:17]
	; wave barrier
	s_delay_alu instid0(VALU_DEP_1)
	v_and_b32_e32 v2, 1, v0
	v_lshlrev_b32_e32 v3, 30, v0
	v_lshlrev_b32_e32 v4, 29, v0
	;; [unrolled: 1-line block ×4, first 2 shown]
	v_add_co_u32 v2, s13, v2, -1
	s_delay_alu instid0(VALU_DEP_1)
	v_cndmask_b32_e64 v6, 0, 1, s13
	v_not_b32_e32 v46, v3
	v_cmp_gt_i32_e64 s13, 0, v3
	v_not_b32_e32 v3, v4
	v_lshlrev_b32_e32 v44, 26, v0
	v_cmp_ne_u32_e32 vcc_lo, 0, v6
	v_ashrrev_i32_e32 v6, 31, v46
	v_lshlrev_b32_e32 v45, 25, v0
	v_ashrrev_i32_e32 v3, 31, v3
	v_and_b32_e32 v1, 0xff, v0
	v_xor_b32_e32 v2, vcc_lo, v2
	v_cmp_gt_i32_e32 vcc_lo, 0, v4
	v_not_b32_e32 v4, v5
	v_xor_b32_e32 v6, s13, v6
	v_cmp_gt_i32_e64 s13, 0, v5
	v_and_b32_e32 v2, exec_lo, v2
	v_not_b32_e32 v5, v7
	v_ashrrev_i32_e32 v4, 31, v4
	v_xor_b32_e32 v3, vcc_lo, v3
	v_cmp_gt_i32_e32 vcc_lo, 0, v7
	v_and_b32_e32 v2, v2, v6
	v_not_b32_e32 v6, v44
	v_ashrrev_i32_e32 v5, 31, v5
	v_xor_b32_e32 v4, s13, v4
	v_lshlrev_b32_e32 v0, 24, v0
	v_and_b32_e32 v2, v2, v3
	v_cmp_gt_i32_e64 s13, 0, v44
	v_not_b32_e32 v3, v45
	v_ashrrev_i32_e32 v6, 31, v6
	v_xor_b32_e32 v5, vcc_lo, v5
	v_and_b32_e32 v2, v2, v4
	v_cmp_gt_i32_e32 vcc_lo, 0, v45
	v_not_b32_e32 v4, v0
	v_ashrrev_i32_e32 v3, 31, v3
	v_xor_b32_e32 v6, s13, v6
	v_and_b32_e32 v2, v2, v5
	v_lshlrev_b32_e32 v1, 3, v1
	v_cmp_gt_i32_e64 s13, 0, v0
	v_ashrrev_i32_e32 v0, 31, v4
	v_xor_b32_e32 v3, vcc_lo, v3
	v_and_b32_e32 v2, v2, v6
	v_add_lshl_u32 v1, v1, v74, 2
	s_delay_alu instid0(VALU_DEP_4) | instskip(NEXT) | instid1(VALU_DEP_3)
	v_xor_b32_e32 v0, s13, v0
	v_and_b32_e32 v2, v2, v3
	ds_load_b32 v44, v1 offset:32
	v_add_nc_u32_e32 v46, 32, v1
	; wave barrier
	v_and_b32_e32 v0, v2, v0
	s_delay_alu instid0(VALU_DEP_1) | instskip(SKIP_1) | instid1(VALU_DEP_2)
	v_mbcnt_lo_u32_b32 v45, v0, 0
	v_cmp_ne_u32_e64 s13, 0, v0
	v_cmp_eq_u32_e32 vcc_lo, 0, v45
	s_delay_alu instid0(VALU_DEP_2) | instskip(NEXT) | instid1(SALU_CYCLE_1)
	s_and_b32 s25, s13, vcc_lo
	s_and_saveexec_b32 s13, s25
	s_cbranch_execz .LBB127_20
; %bb.19:                               ;   in Loop: Header=BB127_4 Depth=2
	s_waitcnt lgkmcnt(0)
	v_bcnt_u32_b32 v0, v0, v44
	ds_store_b32 v46, v0
.LBB127_20:                             ;   in Loop: Header=BB127_4 Depth=2
	s_or_b32 exec_lo, exec_lo, s13
	; wave barrier
	s_waitcnt lgkmcnt(0)
	s_barrier
	buffer_gl0_inv
	ds_load_2addr_b64 v[4:7], v66 offset0:4 offset1:5
	ds_load_2addr_b64 v[0:3], v67 offset0:2 offset1:3
	s_waitcnt lgkmcnt(1)
	v_add_nc_u32_e32 v47, v5, v4
	s_delay_alu instid0(VALU_DEP_1) | instskip(SKIP_1) | instid1(VALU_DEP_1)
	v_add3_u32 v47, v47, v6, v7
	s_waitcnt lgkmcnt(0)
	v_add3_u32 v47, v47, v0, v1
	s_delay_alu instid0(VALU_DEP_1) | instskip(NEXT) | instid1(VALU_DEP_1)
	v_add3_u32 v3, v47, v2, v3
	v_mov_b32_dpp v47, v3 row_shr:1 row_mask:0xf bank_mask:0xf
	s_delay_alu instid0(VALU_DEP_1) | instskip(NEXT) | instid1(VALU_DEP_1)
	v_cndmask_b32_e64 v47, v47, 0, s1
	v_add_nc_u32_e32 v3, v47, v3
	s_delay_alu instid0(VALU_DEP_1) | instskip(NEXT) | instid1(VALU_DEP_1)
	v_mov_b32_dpp v47, v3 row_shr:2 row_mask:0xf bank_mask:0xf
	v_cndmask_b32_e64 v47, 0, v47, s2
	s_delay_alu instid0(VALU_DEP_1) | instskip(NEXT) | instid1(VALU_DEP_1)
	v_add_nc_u32_e32 v3, v3, v47
	v_mov_b32_dpp v47, v3 row_shr:4 row_mask:0xf bank_mask:0xf
	s_delay_alu instid0(VALU_DEP_1) | instskip(NEXT) | instid1(VALU_DEP_1)
	v_cndmask_b32_e64 v47, 0, v47, s3
	v_add_nc_u32_e32 v3, v3, v47
	s_delay_alu instid0(VALU_DEP_1) | instskip(NEXT) | instid1(VALU_DEP_1)
	v_mov_b32_dpp v47, v3 row_shr:8 row_mask:0xf bank_mask:0xf
	v_cndmask_b32_e64 v47, 0, v47, s4
	s_delay_alu instid0(VALU_DEP_1) | instskip(SKIP_3) | instid1(VALU_DEP_1)
	v_add_nc_u32_e32 v3, v3, v47
	ds_swizzle_b32 v47, v3 offset:swizzle(BROADCAST,32,15)
	s_waitcnt lgkmcnt(0)
	v_cndmask_b32_e64 v47, v47, 0, s5
	v_add_nc_u32_e32 v3, v3, v47
	s_and_saveexec_b32 s13, s12
	s_cbranch_execz .LBB127_22
; %bb.21:                               ;   in Loop: Header=BB127_4 Depth=2
	ds_store_b32 v69, v3
.LBB127_22:                             ;   in Loop: Header=BB127_4 Depth=2
	s_or_b32 exec_lo, exec_lo, s13
	s_waitcnt lgkmcnt(0)
	s_barrier
	buffer_gl0_inv
	s_and_saveexec_b32 s13, s6
	s_cbranch_execz .LBB127_24
; %bb.23:                               ;   in Loop: Header=BB127_4 Depth=2
	ds_load_b32 v47, v70
	s_waitcnt lgkmcnt(0)
	v_mov_b32_dpp v48, v47 row_shr:1 row_mask:0xf bank_mask:0xf
	s_delay_alu instid0(VALU_DEP_1) | instskip(NEXT) | instid1(VALU_DEP_1)
	v_cndmask_b32_e64 v48, v48, 0, s9
	v_add_nc_u32_e32 v47, v48, v47
	s_delay_alu instid0(VALU_DEP_1) | instskip(NEXT) | instid1(VALU_DEP_1)
	v_mov_b32_dpp v48, v47 row_shr:2 row_mask:0xf bank_mask:0xf
	v_cndmask_b32_e64 v48, 0, v48, s10
	s_delay_alu instid0(VALU_DEP_1) | instskip(NEXT) | instid1(VALU_DEP_1)
	v_add_nc_u32_e32 v47, v47, v48
	v_mov_b32_dpp v48, v47 row_shr:4 row_mask:0xf bank_mask:0xf
	s_delay_alu instid0(VALU_DEP_1) | instskip(NEXT) | instid1(VALU_DEP_1)
	v_cndmask_b32_e64 v48, 0, v48, s11
	v_add_nc_u32_e32 v47, v47, v48
	ds_store_b32 v70, v47
.LBB127_24:                             ;   in Loop: Header=BB127_4 Depth=2
	s_or_b32 exec_lo, exec_lo, s13
	v_mov_b32_e32 v47, 0
	s_waitcnt lgkmcnt(0)
	s_barrier
	buffer_gl0_inv
	s_and_saveexec_b32 s13, s7
	s_cbranch_execz .LBB127_26
; %bb.25:                               ;   in Loop: Header=BB127_4 Depth=2
	ds_load_b32 v47, v73
.LBB127_26:                             ;   in Loop: Header=BB127_4 Depth=2
	s_or_b32 exec_lo, exec_lo, s13
	s_waitcnt lgkmcnt(0)
	v_add_nc_u32_e32 v3, v47, v3
	s_cmp_gt_u32 s22, 55
	ds_bpermute_b32 v3, v68, v3
	s_waitcnt lgkmcnt(0)
	v_cndmask_b32_e64 v3, v3, v47, s0
	s_delay_alu instid0(VALU_DEP_1) | instskip(NEXT) | instid1(VALU_DEP_1)
	v_cndmask_b32_e64 v3, v3, 0, s8
	v_add_nc_u32_e32 v4, v3, v4
	s_delay_alu instid0(VALU_DEP_1) | instskip(NEXT) | instid1(VALU_DEP_1)
	v_add_nc_u32_e32 v5, v4, v5
	v_add_nc_u32_e32 v6, v5, v6
	s_delay_alu instid0(VALU_DEP_1) | instskip(NEXT) | instid1(VALU_DEP_1)
	v_add_nc_u32_e32 v47, v6, v7
	;; [unrolled: 3-line block ×3, first 2 shown]
	v_add_nc_u32_e32 v1, v0, v2
	ds_store_2addr_b64 v66, v[3:4], v[5:6] offset0:4 offset1:5
	ds_store_2addr_b64 v67, v[47:48], v[0:1] offset0:2 offset1:3
	s_waitcnt lgkmcnt(0)
	s_barrier
	buffer_gl0_inv
	ds_load_b32 v0, v9
	ds_load_b32 v1, v12
	;; [unrolled: 1-line block ×8, first 2 shown]
	s_waitcnt lgkmcnt(7)
	v_add_nc_u32_e32 v82, v0, v8
	s_waitcnt lgkmcnt(6)
	v_add3_u32 v81, v11, v10, v1
	s_waitcnt lgkmcnt(5)
	v_add3_u32 v80, v14, v13, v2
	;; [unrolled: 2-line block ×7, first 2 shown]
	s_cbranch_scc0 .LBB127_3
; %bb.27:                               ;   in Loop: Header=BB127_2 Depth=1
                                        ; implicit-def: $vgpr47_vgpr48
                                        ; implicit-def: $vgpr43_vgpr44
                                        ; implicit-def: $vgpr39_vgpr40
                                        ; implicit-def: $vgpr35_vgpr36
                                        ; implicit-def: $vgpr14_vgpr15
                                        ; implicit-def: $vgpr10_vgpr11
                                        ; implicit-def: $vgpr6_vgpr7
                                        ; implicit-def: $vgpr2_vgpr3
                                        ; implicit-def: $sgpr22_sgpr23
	s_branch .LBB127_1
.LBB127_28:
	s_waitcnt lgkmcnt(3)
	v_add_co_u32 v9, vcc_lo, v9, v21
	v_add_co_ci_u32_e32 v10, vcc_lo, v10, v22, vcc_lo
	v_add_co_u32 v11, vcc_lo, v11, v23
	v_add_co_ci_u32_e32 v12, vcc_lo, v12, v24, vcc_lo
	s_waitcnt lgkmcnt(2)
	v_add_co_u32 v13, vcc_lo, v13, v25
	v_add_co_ci_u32_e32 v14, vcc_lo, v14, v26, vcc_lo
	v_add_co_u32 v15, vcc_lo, v15, v27
	v_add_co_ci_u32_e32 v16, vcc_lo, v16, v28, vcc_lo
	s_waitcnt lgkmcnt(1)
	v_add_co_u32 v5, vcc_lo, v5, v29
	v_add_co_ci_u32_e32 v6, vcc_lo, v6, v30, vcc_lo
	v_lshlrev_b32_e32 v23, 3, v49
	v_add_co_u32 v7, vcc_lo, v7, v31
	v_add_co_ci_u32_e32 v8, vcc_lo, v8, v32, vcc_lo
	s_add_u32 s0, s18, s14
	s_waitcnt lgkmcnt(0)
	v_add_co_u32 v0, vcc_lo, v1, v17
	s_addc_u32 s1, s19, s15
	v_add_co_u32 v24, s2, s0, v23
	v_add_co_ci_u32_e32 v1, vcc_lo, v2, v18, vcc_lo
	v_add_co_ci_u32_e64 v25, null, s1, 0, s2
	v_add_co_u32 v2, vcc_lo, v3, v19
	v_add_co_ci_u32_e32 v3, vcc_lo, v4, v20, vcc_lo
	v_add_co_u32 v17, vcc_lo, 0x1000, v24
	s_delay_alu instid0(VALU_DEP_4)
	v_add_co_ci_u32_e32 v18, vcc_lo, 0, v25, vcc_lo
	v_add_co_u32 v19, vcc_lo, v24, 0x2000
	v_add_co_ci_u32_e32 v20, vcc_lo, 0, v25, vcc_lo
	v_add_co_u32 v21, vcc_lo, 0x2000, v24
	;; [unrolled: 2-line block ×3, first 2 shown]
	global_store_b64 v[19:20], v[5:6], off
	v_add_co_ci_u32_e32 v5, vcc_lo, 0, v25, vcc_lo
	s_clause 0x6
	global_store_b64 v23, v[9:10], s[0:1]
	global_store_b64 v23, v[11:12], s[0:1] offset:2048
	global_store_b64 v[17:18], v[15:16], off offset:2048
	global_store_b64 v[21:22], v[7:8], off offset:2048
	global_store_b64 v[4:5], v[0:1], off
	global_store_b64 v[19:20], v[13:14], off offset:-4096
	global_store_b64 v[4:5], v[2:3], off offset:2048
	s_nop 0
	s_sendmsg sendmsg(MSG_DEALLOC_VGPRS)
	s_endpgm
	.section	.rodata,"a",@progbits
	.p2align	6, 0x0
	.amdhsa_kernel _Z17sort_pairs_kernelI22helper_blocked_blockedxLj256ELj8ELj10EEvPKT0_PS1_
		.amdhsa_group_segment_fixed_size 16384
		.amdhsa_private_segment_fixed_size 0
		.amdhsa_kernarg_size 272
		.amdhsa_user_sgpr_count 15
		.amdhsa_user_sgpr_dispatch_ptr 0
		.amdhsa_user_sgpr_queue_ptr 0
		.amdhsa_user_sgpr_kernarg_segment_ptr 1
		.amdhsa_user_sgpr_dispatch_id 0
		.amdhsa_user_sgpr_private_segment_size 0
		.amdhsa_wavefront_size32 1
		.amdhsa_uses_dynamic_stack 0
		.amdhsa_enable_private_segment 0
		.amdhsa_system_sgpr_workgroup_id_x 1
		.amdhsa_system_sgpr_workgroup_id_y 0
		.amdhsa_system_sgpr_workgroup_id_z 0
		.amdhsa_system_sgpr_workgroup_info 0
		.amdhsa_system_vgpr_workitem_id 2
		.amdhsa_next_free_vgpr 83
		.amdhsa_next_free_sgpr 26
		.amdhsa_reserve_vcc 1
		.amdhsa_float_round_mode_32 0
		.amdhsa_float_round_mode_16_64 0
		.amdhsa_float_denorm_mode_32 3
		.amdhsa_float_denorm_mode_16_64 3
		.amdhsa_dx10_clamp 1
		.amdhsa_ieee_mode 1
		.amdhsa_fp16_overflow 0
		.amdhsa_workgroup_processor_mode 1
		.amdhsa_memory_ordered 1
		.amdhsa_forward_progress 0
		.amdhsa_shared_vgpr_count 0
		.amdhsa_exception_fp_ieee_invalid_op 0
		.amdhsa_exception_fp_denorm_src 0
		.amdhsa_exception_fp_ieee_div_zero 0
		.amdhsa_exception_fp_ieee_overflow 0
		.amdhsa_exception_fp_ieee_underflow 0
		.amdhsa_exception_fp_ieee_inexact 0
		.amdhsa_exception_int_div_zero 0
	.end_amdhsa_kernel
	.section	.text._Z17sort_pairs_kernelI22helper_blocked_blockedxLj256ELj8ELj10EEvPKT0_PS1_,"axG",@progbits,_Z17sort_pairs_kernelI22helper_blocked_blockedxLj256ELj8ELj10EEvPKT0_PS1_,comdat
.Lfunc_end127:
	.size	_Z17sort_pairs_kernelI22helper_blocked_blockedxLj256ELj8ELj10EEvPKT0_PS1_, .Lfunc_end127-_Z17sort_pairs_kernelI22helper_blocked_blockedxLj256ELj8ELj10EEvPKT0_PS1_
                                        ; -- End function
	.section	.AMDGPU.csdata,"",@progbits
; Kernel info:
; codeLenInByte = 5312
; NumSgprs: 28
; NumVgprs: 83
; ScratchSize: 0
; MemoryBound: 0
; FloatMode: 240
; IeeeMode: 1
; LDSByteSize: 16384 bytes/workgroup (compile time only)
; SGPRBlocks: 3
; VGPRBlocks: 10
; NumSGPRsForWavesPerEU: 28
; NumVGPRsForWavesPerEU: 83
; Occupancy: 16
; WaveLimiterHint : 1
; COMPUTE_PGM_RSRC2:SCRATCH_EN: 0
; COMPUTE_PGM_RSRC2:USER_SGPR: 15
; COMPUTE_PGM_RSRC2:TRAP_HANDLER: 0
; COMPUTE_PGM_RSRC2:TGID_X_EN: 1
; COMPUTE_PGM_RSRC2:TGID_Y_EN: 0
; COMPUTE_PGM_RSRC2:TGID_Z_EN: 0
; COMPUTE_PGM_RSRC2:TIDIG_COMP_CNT: 2
	.section	.text._Z16sort_keys_kernelI22helper_blocked_blockedxLj320ELj1ELj10EEvPKT0_PS1_,"axG",@progbits,_Z16sort_keys_kernelI22helper_blocked_blockedxLj320ELj1ELj10EEvPKT0_PS1_,comdat
	.protected	_Z16sort_keys_kernelI22helper_blocked_blockedxLj320ELj1ELj10EEvPKT0_PS1_ ; -- Begin function _Z16sort_keys_kernelI22helper_blocked_blockedxLj320ELj1ELj10EEvPKT0_PS1_
	.globl	_Z16sort_keys_kernelI22helper_blocked_blockedxLj320ELj1ELj10EEvPKT0_PS1_
	.p2align	8
	.type	_Z16sort_keys_kernelI22helper_blocked_blockedxLj320ELj1ELj10EEvPKT0_PS1_,@function
_Z16sort_keys_kernelI22helper_blocked_blockedxLj320ELj1ELj10EEvPKT0_PS1_: ; @_Z16sort_keys_kernelI22helper_blocked_blockedxLj320ELj1ELj10EEvPKT0_PS1_
; %bb.0:
	s_clause 0x1
	s_load_b128 s[16:19], s[0:1], 0x0
	s_load_b32 s9, s[0:1], 0x1c
	v_and_b32_e32 v8, 0x3ff, v0
	s_mov_b32 s11, 0
	s_mul_i32 s10, s15, 0x140
	v_mbcnt_lo_u32_b32 v5, -1, 0
	s_lshl_b64 s[12:13], s[10:11], 3
	v_lshlrev_b32_e32 v1, 3, v8
	s_mov_b32 s10, s11
	v_bfe_u32 v3, v0, 10, 10
	v_and_b32_e32 v6, 16, v5
	v_dual_mov_b32 v12, s11 :: v_dual_add_nc_u32 v7, -1, v5
	v_bfe_u32 v0, v0, 20, 10
	v_dual_mov_b32 v11, s10 :: v_dual_and_b32 v4, 15, v5
	s_delay_alu instid0(VALU_DEP_4) | instskip(NEXT) | instid1(VALU_DEP_4)
	v_cmp_eq_u32_e64 s5, 0, v6
	v_cmp_gt_i32_e32 vcc_lo, 0, v7
	s_delay_alu instid0(VALU_DEP_3)
	v_cmp_lt_u32_e64 s2, 1, v4
	s_waitcnt lgkmcnt(0)
	s_add_u32 s0, s16, s12
	s_addc_u32 s1, s17, s13
	s_lshr_b32 s10, s9, 16
	global_load_b64 v[1:2], v1, s[0:1]
	s_mov_b32 s1, s11
	s_mov_b32 s0, s11
	s_delay_alu instid0(SALU_CYCLE_1)
	v_dual_mov_b32 v10, s1 :: v_dual_mov_b32 v9, s0
	v_dual_cndmask_b32 v7, v7, v5 :: v_dual_and_b32 v6, 0x1e0, v8
	v_cmp_eq_u32_e64 s1, 0, v4
	v_cmp_lt_u32_e64 s3, 3, v4
	v_cmp_lt_u32_e64 s4, 7, v4
	v_lshrrev_b32_e32 v4, 3, v8
	v_mad_u32_u24 v0, v0, s10, v3
	v_lshlrev_b32_e32 v15, 5, v8
	v_min_u32_e32 v14, 0x120, v6
	s_and_b32 s9, s9, 0xffff
	v_and_b32_e32 v17, 60, v4
	v_mad_u64_u32 v[3:4], null, v0, s9, v[8:9]
	v_lshlrev_b32_e32 v13, 2, v8
	v_or_b32_e32 v0, v5, v6
	v_or_b32_e32 v4, 31, v14
	v_mad_i32_i24 v19, 0xffffffe4, v8, v15
	v_cmp_eq_u32_e64 s0, 0, v5
	v_cmp_gt_u32_e64 s6, 10, v8
	v_cmp_lt_u32_e64 s7, 31, v8
	v_cmp_eq_u32_e64 s8, 0, v8
	v_add_nc_u32_e32 v16, 40, v15
	v_lshlrev_b32_e32 v18, 2, v7
	v_add_nc_u32_e32 v20, -4, v17
	v_lshlrev_b32_e32 v21, 3, v0
	v_cmp_eq_u32_e64 s9, v4, v8
	v_lshrrev_b32_e32 v22, 5, v3
	v_add_nc_u32_e32 v23, v19, v13
	s_waitcnt vmcnt(0)
	v_xor_b32_e32 v2, 0x80000000, v2
	s_branch .LBB128_2
.LBB128_1:                              ;   in Loop: Header=BB128_2 Depth=1
	s_delay_alu instid0(VALU_DEP_1)
	v_lshlrev_b32_e32 v0, 3, v0
	s_barrier
	buffer_gl0_inv
	s_add_i32 s11, s11, 1
	ds_store_b64 v0, v[13:14]
	s_waitcnt lgkmcnt(0)
	s_barrier
	buffer_gl0_inv
	ds_load_b64 v[1:2], v23
	s_cmp_eq_u32 s11, 10
	s_cbranch_scc1 .LBB128_14
.LBB128_2:                              ; =>This Loop Header: Depth=1
                                        ;     Child Loop BB128_4 Depth 2
	s_mov_b64 s[14:15], 0
	s_branch .LBB128_4
.LBB128_3:                              ;   in Loop: Header=BB128_4 Depth=2
	s_delay_alu instid0(VALU_DEP_1)
	v_lshlrev_b32_e32 v1, 3, v0
	s_barrier
	buffer_gl0_inv
	s_add_u32 s14, s14, 8
	ds_store_b64 v1, v[13:14]
	s_waitcnt lgkmcnt(0)
	s_barrier
	buffer_gl0_inv
	ds_load_b64 v[1:2], v21
	s_addc_u32 s15, s15, 0
	s_waitcnt lgkmcnt(0)
	s_barrier
	buffer_gl0_inv
	s_cbranch_execz .LBB128_1
.LBB128_4:                              ;   Parent Loop BB128_2 Depth=1
                                        ; =>  This Inner Loop Header: Depth=2
	s_waitcnt lgkmcnt(0)
	v_dual_mov_b32 v14, v2 :: v_dual_mov_b32 v13, v1
	ds_store_2addr_b64 v15, v[11:12], v[9:10] offset0:5 offset1:6
	ds_store_2addr_b64 v16, v[11:12], v[9:10] offset0:2 offset1:3
	s_waitcnt lgkmcnt(0)
	s_barrier
	buffer_gl0_inv
	v_lshrrev_b64 v[1:2], s14, v[13:14]
	; wave barrier
	s_delay_alu instid0(VALU_DEP_1)
	v_and_b32_e32 v0, 1, v1
	v_lshlrev_b32_e32 v2, 30, v1
	v_lshlrev_b32_e32 v3, 29, v1
	;; [unrolled: 1-line block ×4, first 2 shown]
	v_add_co_u32 v0, s10, v0, -1
	s_delay_alu instid0(VALU_DEP_1)
	v_cndmask_b32_e64 v5, 0, 1, s10
	v_not_b32_e32 v25, v2
	v_cmp_gt_i32_e64 s10, 0, v2
	v_not_b32_e32 v2, v3
	v_lshlrev_b32_e32 v7, 26, v1
	v_cmp_ne_u32_e32 vcc_lo, 0, v5
	v_ashrrev_i32_e32 v25, 31, v25
	v_lshlrev_b32_e32 v24, 25, v1
	v_ashrrev_i32_e32 v2, 31, v2
	v_lshlrev_b32_e32 v5, 24, v1
	v_xor_b32_e32 v0, vcc_lo, v0
	v_cmp_gt_i32_e32 vcc_lo, 0, v3
	v_not_b32_e32 v3, v4
	v_xor_b32_e32 v25, s10, v25
	v_cmp_gt_i32_e64 s10, 0, v4
	v_and_b32_e32 v0, exec_lo, v0
	v_not_b32_e32 v4, v6
	v_ashrrev_i32_e32 v3, 31, v3
	v_xor_b32_e32 v2, vcc_lo, v2
	v_cmp_gt_i32_e32 vcc_lo, 0, v6
	v_and_b32_e32 v0, v0, v25
	v_not_b32_e32 v6, v7
	v_ashrrev_i32_e32 v4, 31, v4
	v_xor_b32_e32 v3, s10, v3
	v_cmp_gt_i32_e64 s10, 0, v7
	v_and_b32_e32 v0, v0, v2
	v_not_b32_e32 v2, v24
	v_ashrrev_i32_e32 v6, 31, v6
	v_xor_b32_e32 v4, vcc_lo, v4
	v_cmp_gt_i32_e32 vcc_lo, 0, v24
	v_and_b32_e32 v0, v0, v3
	v_not_b32_e32 v3, v5
	v_ashrrev_i32_e32 v2, 31, v2
	v_xor_b32_e32 v6, s10, v6
	v_cmp_gt_i32_e64 s10, 0, v5
	v_and_b32_e32 v0, v0, v4
	v_ashrrev_i32_e32 v3, 31, v3
	v_xor_b32_e32 v2, vcc_lo, v2
	v_and_b32_e32 v1, 0xff, v1
	s_delay_alu instid0(VALU_DEP_4) | instskip(NEXT) | instid1(VALU_DEP_4)
	v_and_b32_e32 v0, v0, v6
	v_xor_b32_e32 v3, s10, v3
	s_delay_alu instid0(VALU_DEP_3) | instskip(NEXT) | instid1(VALU_DEP_3)
	v_mad_u32_u24 v1, v1, 10, v22
	v_and_b32_e32 v0, v0, v2
	s_delay_alu instid0(VALU_DEP_2) | instskip(NEXT) | instid1(VALU_DEP_2)
	v_lshl_add_u32 v25, v1, 2, 40
	v_and_b32_e32 v0, v0, v3
	s_delay_alu instid0(VALU_DEP_1) | instskip(SKIP_1) | instid1(VALU_DEP_2)
	v_mbcnt_lo_u32_b32 v24, v0, 0
	v_cmp_ne_u32_e64 s10, 0, v0
	v_cmp_eq_u32_e32 vcc_lo, 0, v24
	s_delay_alu instid0(VALU_DEP_2) | instskip(NEXT) | instid1(SALU_CYCLE_1)
	s_and_b32 s16, s10, vcc_lo
	s_and_saveexec_b32 s10, s16
	s_cbranch_execz .LBB128_6
; %bb.5:                                ;   in Loop: Header=BB128_4 Depth=2
	v_bcnt_u32_b32 v0, v0, 0
	ds_store_b32 v25, v0
.LBB128_6:                              ;   in Loop: Header=BB128_4 Depth=2
	s_or_b32 exec_lo, exec_lo, s10
	; wave barrier
	s_waitcnt lgkmcnt(0)
	s_barrier
	buffer_gl0_inv
	ds_load_2addr_b64 v[4:7], v15 offset0:5 offset1:6
	ds_load_2addr_b64 v[0:3], v16 offset0:2 offset1:3
	s_waitcnt lgkmcnt(1)
	v_add_nc_u32_e32 v26, v5, v4
	s_delay_alu instid0(VALU_DEP_1) | instskip(SKIP_1) | instid1(VALU_DEP_1)
	v_add3_u32 v26, v26, v6, v7
	s_waitcnt lgkmcnt(0)
	v_add3_u32 v26, v26, v0, v1
	s_delay_alu instid0(VALU_DEP_1) | instskip(NEXT) | instid1(VALU_DEP_1)
	v_add3_u32 v3, v26, v2, v3
	v_mov_b32_dpp v26, v3 row_shr:1 row_mask:0xf bank_mask:0xf
	s_delay_alu instid0(VALU_DEP_1) | instskip(NEXT) | instid1(VALU_DEP_1)
	v_cndmask_b32_e64 v26, v26, 0, s1
	v_add_nc_u32_e32 v3, v26, v3
	s_delay_alu instid0(VALU_DEP_1) | instskip(NEXT) | instid1(VALU_DEP_1)
	v_mov_b32_dpp v26, v3 row_shr:2 row_mask:0xf bank_mask:0xf
	v_cndmask_b32_e64 v26, 0, v26, s2
	s_delay_alu instid0(VALU_DEP_1) | instskip(NEXT) | instid1(VALU_DEP_1)
	v_add_nc_u32_e32 v3, v3, v26
	v_mov_b32_dpp v26, v3 row_shr:4 row_mask:0xf bank_mask:0xf
	s_delay_alu instid0(VALU_DEP_1) | instskip(NEXT) | instid1(VALU_DEP_1)
	v_cndmask_b32_e64 v26, 0, v26, s3
	v_add_nc_u32_e32 v3, v3, v26
	s_delay_alu instid0(VALU_DEP_1) | instskip(NEXT) | instid1(VALU_DEP_1)
	v_mov_b32_dpp v26, v3 row_shr:8 row_mask:0xf bank_mask:0xf
	v_cndmask_b32_e64 v26, 0, v26, s4
	s_delay_alu instid0(VALU_DEP_1) | instskip(SKIP_3) | instid1(VALU_DEP_1)
	v_add_nc_u32_e32 v3, v3, v26
	ds_swizzle_b32 v26, v3 offset:swizzle(BROADCAST,32,15)
	s_waitcnt lgkmcnt(0)
	v_cndmask_b32_e64 v26, v26, 0, s5
	v_add_nc_u32_e32 v3, v3, v26
	s_and_saveexec_b32 s10, s9
	s_cbranch_execz .LBB128_8
; %bb.7:                                ;   in Loop: Header=BB128_4 Depth=2
	ds_store_b32 v17, v3
.LBB128_8:                              ;   in Loop: Header=BB128_4 Depth=2
	s_or_b32 exec_lo, exec_lo, s10
	s_waitcnt lgkmcnt(0)
	s_barrier
	buffer_gl0_inv
	s_and_saveexec_b32 s10, s6
	s_cbranch_execz .LBB128_10
; %bb.9:                                ;   in Loop: Header=BB128_4 Depth=2
	ds_load_b32 v26, v19
	s_waitcnt lgkmcnt(0)
	v_mov_b32_dpp v27, v26 row_shr:1 row_mask:0xf bank_mask:0xf
	s_delay_alu instid0(VALU_DEP_1) | instskip(NEXT) | instid1(VALU_DEP_1)
	v_cndmask_b32_e64 v27, v27, 0, s1
	v_add_nc_u32_e32 v26, v27, v26
	s_delay_alu instid0(VALU_DEP_1) | instskip(NEXT) | instid1(VALU_DEP_1)
	v_mov_b32_dpp v27, v26 row_shr:2 row_mask:0xf bank_mask:0xf
	v_cndmask_b32_e64 v27, 0, v27, s2
	s_delay_alu instid0(VALU_DEP_1) | instskip(NEXT) | instid1(VALU_DEP_1)
	v_add_nc_u32_e32 v26, v26, v27
	v_mov_b32_dpp v27, v26 row_shr:4 row_mask:0xf bank_mask:0xf
	s_delay_alu instid0(VALU_DEP_1) | instskip(NEXT) | instid1(VALU_DEP_1)
	v_cndmask_b32_e64 v27, 0, v27, s3
	v_add_nc_u32_e32 v26, v26, v27
	s_delay_alu instid0(VALU_DEP_1) | instskip(NEXT) | instid1(VALU_DEP_1)
	v_mov_b32_dpp v27, v26 row_shr:8 row_mask:0xf bank_mask:0xf
	v_cndmask_b32_e64 v27, 0, v27, s4
	s_delay_alu instid0(VALU_DEP_1)
	v_add_nc_u32_e32 v26, v26, v27
	ds_store_b32 v19, v26
.LBB128_10:                             ;   in Loop: Header=BB128_4 Depth=2
	s_or_b32 exec_lo, exec_lo, s10
	v_mov_b32_e32 v26, 0
	s_waitcnt lgkmcnt(0)
	s_barrier
	buffer_gl0_inv
	s_and_saveexec_b32 s10, s7
	s_cbranch_execz .LBB128_12
; %bb.11:                               ;   in Loop: Header=BB128_4 Depth=2
	ds_load_b32 v26, v20
.LBB128_12:                             ;   in Loop: Header=BB128_4 Depth=2
	s_or_b32 exec_lo, exec_lo, s10
	s_waitcnt lgkmcnt(0)
	v_add_nc_u32_e32 v3, v26, v3
	s_cmp_gt_u32 s14, 55
	ds_bpermute_b32 v3, v18, v3
	s_waitcnt lgkmcnt(0)
	v_cndmask_b32_e64 v3, v3, v26, s0
	s_delay_alu instid0(VALU_DEP_1) | instskip(NEXT) | instid1(VALU_DEP_1)
	v_cndmask_b32_e64 v3, v3, 0, s8
	v_add_nc_u32_e32 v4, v3, v4
	s_delay_alu instid0(VALU_DEP_1) | instskip(NEXT) | instid1(VALU_DEP_1)
	v_add_nc_u32_e32 v5, v4, v5
	v_add_nc_u32_e32 v6, v5, v6
	s_delay_alu instid0(VALU_DEP_1) | instskip(NEXT) | instid1(VALU_DEP_1)
	v_add_nc_u32_e32 v26, v6, v7
	;; [unrolled: 3-line block ×3, first 2 shown]
	v_add_nc_u32_e32 v1, v0, v2
	ds_store_2addr_b64 v15, v[3:4], v[5:6] offset0:5 offset1:6
	ds_store_2addr_b64 v16, v[26:27], v[0:1] offset0:2 offset1:3
	s_waitcnt lgkmcnt(0)
	s_barrier
	buffer_gl0_inv
	ds_load_b32 v0, v25
	s_waitcnt lgkmcnt(0)
	v_add_nc_u32_e32 v0, v0, v24
	s_cbranch_scc0 .LBB128_3
; %bb.13:                               ;   in Loop: Header=BB128_2 Depth=1
                                        ; implicit-def: $vgpr1_vgpr2
                                        ; implicit-def: $sgpr14_sgpr15
	s_branch .LBB128_1
.LBB128_14:
	s_waitcnt lgkmcnt(0)
	v_xor_b32_e32 v2, 0x80000000, v2
	v_lshlrev_b32_e32 v0, 3, v8
	s_add_u32 s0, s18, s12
	s_addc_u32 s1, s19, s13
	global_store_b64 v0, v[1:2], s[0:1]
	s_nop 0
	s_sendmsg sendmsg(MSG_DEALLOC_VGPRS)
	s_endpgm
	.section	.rodata,"a",@progbits
	.p2align	6, 0x0
	.amdhsa_kernel _Z16sort_keys_kernelI22helper_blocked_blockedxLj320ELj1ELj10EEvPKT0_PS1_
		.amdhsa_group_segment_fixed_size 10288
		.amdhsa_private_segment_fixed_size 0
		.amdhsa_kernarg_size 272
		.amdhsa_user_sgpr_count 15
		.amdhsa_user_sgpr_dispatch_ptr 0
		.amdhsa_user_sgpr_queue_ptr 0
		.amdhsa_user_sgpr_kernarg_segment_ptr 1
		.amdhsa_user_sgpr_dispatch_id 0
		.amdhsa_user_sgpr_private_segment_size 0
		.amdhsa_wavefront_size32 1
		.amdhsa_uses_dynamic_stack 0
		.amdhsa_enable_private_segment 0
		.amdhsa_system_sgpr_workgroup_id_x 1
		.amdhsa_system_sgpr_workgroup_id_y 0
		.amdhsa_system_sgpr_workgroup_id_z 0
		.amdhsa_system_sgpr_workgroup_info 0
		.amdhsa_system_vgpr_workitem_id 2
		.amdhsa_next_free_vgpr 28
		.amdhsa_next_free_sgpr 20
		.amdhsa_reserve_vcc 1
		.amdhsa_float_round_mode_32 0
		.amdhsa_float_round_mode_16_64 0
		.amdhsa_float_denorm_mode_32 3
		.amdhsa_float_denorm_mode_16_64 3
		.amdhsa_dx10_clamp 1
		.amdhsa_ieee_mode 1
		.amdhsa_fp16_overflow 0
		.amdhsa_workgroup_processor_mode 1
		.amdhsa_memory_ordered 1
		.amdhsa_forward_progress 0
		.amdhsa_shared_vgpr_count 0
		.amdhsa_exception_fp_ieee_invalid_op 0
		.amdhsa_exception_fp_denorm_src 0
		.amdhsa_exception_fp_ieee_div_zero 0
		.amdhsa_exception_fp_ieee_overflow 0
		.amdhsa_exception_fp_ieee_underflow 0
		.amdhsa_exception_fp_ieee_inexact 0
		.amdhsa_exception_int_div_zero 0
	.end_amdhsa_kernel
	.section	.text._Z16sort_keys_kernelI22helper_blocked_blockedxLj320ELj1ELj10EEvPKT0_PS1_,"axG",@progbits,_Z16sort_keys_kernelI22helper_blocked_blockedxLj320ELj1ELj10EEvPKT0_PS1_,comdat
.Lfunc_end128:
	.size	_Z16sort_keys_kernelI22helper_blocked_blockedxLj320ELj1ELj10EEvPKT0_PS1_, .Lfunc_end128-_Z16sort_keys_kernelI22helper_blocked_blockedxLj320ELj1ELj10EEvPKT0_PS1_
                                        ; -- End function
	.section	.AMDGPU.csdata,"",@progbits
; Kernel info:
; codeLenInByte = 1476
; NumSgprs: 22
; NumVgprs: 28
; ScratchSize: 0
; MemoryBound: 0
; FloatMode: 240
; IeeeMode: 1
; LDSByteSize: 10288 bytes/workgroup (compile time only)
; SGPRBlocks: 2
; VGPRBlocks: 3
; NumSGPRsForWavesPerEU: 22
; NumVGPRsForWavesPerEU: 28
; Occupancy: 15
; WaveLimiterHint : 0
; COMPUTE_PGM_RSRC2:SCRATCH_EN: 0
; COMPUTE_PGM_RSRC2:USER_SGPR: 15
; COMPUTE_PGM_RSRC2:TRAP_HANDLER: 0
; COMPUTE_PGM_RSRC2:TGID_X_EN: 1
; COMPUTE_PGM_RSRC2:TGID_Y_EN: 0
; COMPUTE_PGM_RSRC2:TGID_Z_EN: 0
; COMPUTE_PGM_RSRC2:TIDIG_COMP_CNT: 2
	.section	.text._Z17sort_pairs_kernelI22helper_blocked_blockedxLj320ELj1ELj10EEvPKT0_PS1_,"axG",@progbits,_Z17sort_pairs_kernelI22helper_blocked_blockedxLj320ELj1ELj10EEvPKT0_PS1_,comdat
	.protected	_Z17sort_pairs_kernelI22helper_blocked_blockedxLj320ELj1ELj10EEvPKT0_PS1_ ; -- Begin function _Z17sort_pairs_kernelI22helper_blocked_blockedxLj320ELj1ELj10EEvPKT0_PS1_
	.globl	_Z17sort_pairs_kernelI22helper_blocked_blockedxLj320ELj1ELj10EEvPKT0_PS1_
	.p2align	8
	.type	_Z17sort_pairs_kernelI22helper_blocked_blockedxLj320ELj1ELj10EEvPKT0_PS1_,@function
_Z17sort_pairs_kernelI22helper_blocked_blockedxLj320ELj1ELj10EEvPKT0_PS1_: ; @_Z17sort_pairs_kernelI22helper_blocked_blockedxLj320ELj1ELj10EEvPKT0_PS1_
; %bb.0:
	s_clause 0x1
	s_load_b128 s[16:19], s[0:1], 0x0
	s_load_b32 s9, s[0:1], 0x1c
	v_and_b32_e32 v8, 0x3ff, v0
	s_mov_b32 s11, 0
	s_mul_i32 s10, s15, 0x140
	v_mbcnt_lo_u32_b32 v5, -1, 0
	s_lshl_b64 s[12:13], s[10:11], 3
	v_lshlrev_b32_e32 v1, 3, v8
	s_mov_b32 s10, s11
	v_bfe_u32 v3, v0, 10, 10
	v_bfe_u32 v0, v0, 20, 10
	v_and_b32_e32 v4, 15, v5
	v_and_b32_e32 v6, 16, v5
	v_dual_mov_b32 v12, s11 :: v_dual_add_nc_u32 v7, -1, v5
	v_mov_b32_e32 v11, s10
	s_delay_alu instid0(VALU_DEP_4)
	v_cmp_lt_u32_e64 s2, 1, v4
	v_cmp_lt_u32_e64 s3, 3, v4
	;; [unrolled: 1-line block ×3, first 2 shown]
	v_cmp_eq_u32_e64 s5, 0, v6
	s_waitcnt lgkmcnt(0)
	s_add_u32 s0, s16, s12
	s_addc_u32 s1, s17, s13
	s_lshr_b32 s10, s9, 16
	global_load_b64 v[1:2], v1, s[0:1]
	s_mov_b32 s1, s11
	s_mov_b32 s0, s11
	s_delay_alu instid0(SALU_CYCLE_1)
	v_dual_mov_b32 v10, s1 :: v_dual_mov_b32 v9, s0
	v_cmp_eq_u32_e64 s1, 0, v4
	v_cmp_gt_i32_e32 vcc_lo, 0, v7
	v_and_b32_e32 v6, 0x1e0, v8
	v_lshrrev_b32_e32 v4, 3, v8
	v_mad_u32_u24 v0, v0, s10, v3
	s_and_b32 s9, s9, 0xffff
	v_cndmask_b32_e32 v7, v7, v5, vcc_lo
	v_lshlrev_b32_e32 v17, 5, v8
	v_min_u32_e32 v14, 0x120, v6
	v_and_b32_e32 v19, 60, v4
	v_mad_u64_u32 v[3:4], null, v0, s9, v[8:9]
	v_lshlrev_b32_e32 v13, 2, v8
	v_or_b32_e32 v0, v5, v6
	v_or_b32_e32 v4, 31, v14
	v_mad_i32_i24 v21, 0xffffffe4, v8, v17
	v_cmp_eq_u32_e64 s0, 0, v5
	v_cmp_gt_u32_e64 s6, 10, v8
	v_lshrrev_b32_e32 v24, 5, v3
	v_cmp_lt_u32_e64 s7, 31, v8
	v_cmp_eq_u32_e64 s8, 0, v8
	v_add_nc_u32_e32 v18, 40, v17
	v_lshlrev_b32_e32 v20, 2, v7
	v_add_nc_u32_e32 v22, -4, v19
	v_lshlrev_b32_e32 v23, 3, v0
	v_cmp_eq_u32_e64 s9, v4, v8
	v_add_nc_u32_e32 v25, v21, v13
	s_waitcnt vmcnt(0)
	v_add_co_u32 v3, vcc_lo, v1, 1
	v_add_co_ci_u32_e32 v4, vcc_lo, 0, v2, vcc_lo
	v_xor_b32_e32 v2, 0x80000000, v2
	s_branch .LBB129_2
.LBB129_1:                              ;   in Loop: Header=BB129_2 Depth=1
	s_delay_alu instid0(VALU_DEP_1)
	v_lshlrev_b32_e32 v0, 3, v0
	s_barrier
	buffer_gl0_inv
	s_add_i32 s11, s11, 1
	ds_store_b64 v0, v[13:14]
	s_waitcnt lgkmcnt(0)
	s_barrier
	buffer_gl0_inv
	ds_load_b64 v[1:2], v25
	s_waitcnt lgkmcnt(0)
	s_barrier
	buffer_gl0_inv
	ds_store_b64 v0, v[15:16]
	s_waitcnt lgkmcnt(0)
	s_barrier
	buffer_gl0_inv
	ds_load_b64 v[3:4], v25
	s_cmp_lg_u32 s11, 10
	s_cbranch_scc0 .LBB129_14
.LBB129_2:                              ; =>This Loop Header: Depth=1
                                        ;     Child Loop BB129_4 Depth 2
	s_mov_b64 s[14:15], 0
	s_branch .LBB129_4
.LBB129_3:                              ;   in Loop: Header=BB129_4 Depth=2
	s_delay_alu instid0(VALU_DEP_1)
	v_lshlrev_b32_e32 v3, 3, v0
	s_barrier
	buffer_gl0_inv
	s_add_u32 s14, s14, 8
	ds_store_b64 v3, v[13:14]
	s_waitcnt lgkmcnt(0)
	s_barrier
	buffer_gl0_inv
	ds_load_b64 v[1:2], v23
	s_waitcnt lgkmcnt(0)
	s_barrier
	buffer_gl0_inv
	ds_store_b64 v3, v[15:16]
	s_waitcnt lgkmcnt(0)
	s_barrier
	buffer_gl0_inv
	ds_load_b64 v[3:4], v23
	s_addc_u32 s15, s15, 0
	s_waitcnt lgkmcnt(0)
	s_barrier
	buffer_gl0_inv
	s_cbranch_execz .LBB129_1
.LBB129_4:                              ;   Parent Loop BB129_2 Depth=1
                                        ; =>  This Inner Loop Header: Depth=2
	s_delay_alu instid0(VALU_DEP_1)
	v_dual_mov_b32 v14, v2 :: v_dual_mov_b32 v13, v1
	ds_store_2addr_b64 v17, v[11:12], v[9:10] offset0:5 offset1:6
	ds_store_2addr_b64 v18, v[11:12], v[9:10] offset0:2 offset1:3
	s_waitcnt lgkmcnt(0)
	s_barrier
	buffer_gl0_inv
	v_lshrrev_b64 v[1:2], s14, v[13:14]
	; wave barrier
	s_delay_alu instid0(VALU_DEP_1)
	v_and_b32_e32 v0, 1, v1
	v_lshlrev_b32_e32 v2, 30, v1
	v_lshlrev_b32_e32 v5, 29, v1
	;; [unrolled: 1-line block ×4, first 2 shown]
	v_add_co_u32 v0, s10, v0, -1
	s_delay_alu instid0(VALU_DEP_1)
	v_cndmask_b32_e64 v7, 0, 1, s10
	v_not_b32_e32 v27, v2
	v_cmp_gt_i32_e64 s10, 0, v2
	v_not_b32_e32 v2, v5
	v_lshlrev_b32_e32 v16, 26, v1
	v_cmp_ne_u32_e32 vcc_lo, 0, v7
	v_ashrrev_i32_e32 v27, 31, v27
	v_lshlrev_b32_e32 v26, 25, v1
	v_ashrrev_i32_e32 v2, 31, v2
	v_lshlrev_b32_e32 v7, 24, v1
	v_xor_b32_e32 v0, vcc_lo, v0
	v_cmp_gt_i32_e32 vcc_lo, 0, v5
	v_not_b32_e32 v5, v6
	v_xor_b32_e32 v27, s10, v27
	v_cmp_gt_i32_e64 s10, 0, v6
	v_and_b32_e32 v0, exec_lo, v0
	v_not_b32_e32 v6, v15
	v_ashrrev_i32_e32 v5, 31, v5
	v_xor_b32_e32 v2, vcc_lo, v2
	v_cmp_gt_i32_e32 vcc_lo, 0, v15
	v_and_b32_e32 v0, v0, v27
	v_not_b32_e32 v15, v16
	v_ashrrev_i32_e32 v6, 31, v6
	v_xor_b32_e32 v5, s10, v5
	v_cmp_gt_i32_e64 s10, 0, v16
	v_and_b32_e32 v0, v0, v2
	v_not_b32_e32 v2, v26
	v_ashrrev_i32_e32 v15, 31, v15
	v_xor_b32_e32 v6, vcc_lo, v6
	v_cmp_gt_i32_e32 vcc_lo, 0, v26
	v_and_b32_e32 v0, v0, v5
	v_not_b32_e32 v5, v7
	v_ashrrev_i32_e32 v2, 31, v2
	v_xor_b32_e32 v15, s10, v15
	v_cmp_gt_i32_e64 s10, 0, v7
	v_and_b32_e32 v0, v0, v6
	v_ashrrev_i32_e32 v5, 31, v5
	v_xor_b32_e32 v2, vcc_lo, v2
	v_and_b32_e32 v1, 0xff, v1
	s_delay_alu instid0(VALU_DEP_4) | instskip(SKIP_2) | instid1(VALU_DEP_4)
	v_and_b32_e32 v0, v0, v15
	v_mov_b32_e32 v16, v4
	v_xor_b32_e32 v5, s10, v5
	v_mad_u32_u24 v1, v1, 10, v24
	s_delay_alu instid0(VALU_DEP_4) | instskip(NEXT) | instid1(VALU_DEP_2)
	v_dual_mov_b32 v15, v3 :: v_dual_and_b32 v0, v0, v2
	v_lshl_add_u32 v27, v1, 2, 40
	s_delay_alu instid0(VALU_DEP_2) | instskip(NEXT) | instid1(VALU_DEP_1)
	v_and_b32_e32 v0, v0, v5
	v_mbcnt_lo_u32_b32 v26, v0, 0
	v_cmp_ne_u32_e64 s10, 0, v0
	s_delay_alu instid0(VALU_DEP_2) | instskip(NEXT) | instid1(VALU_DEP_2)
	v_cmp_eq_u32_e32 vcc_lo, 0, v26
	s_and_b32 s16, s10, vcc_lo
	s_delay_alu instid0(SALU_CYCLE_1)
	s_and_saveexec_b32 s10, s16
	s_cbranch_execz .LBB129_6
; %bb.5:                                ;   in Loop: Header=BB129_4 Depth=2
	v_bcnt_u32_b32 v0, v0, 0
	ds_store_b32 v27, v0
.LBB129_6:                              ;   in Loop: Header=BB129_4 Depth=2
	s_or_b32 exec_lo, exec_lo, s10
	; wave barrier
	s_waitcnt lgkmcnt(0)
	s_barrier
	buffer_gl0_inv
	ds_load_2addr_b64 v[4:7], v17 offset0:5 offset1:6
	ds_load_2addr_b64 v[0:3], v18 offset0:2 offset1:3
	s_waitcnt lgkmcnt(1)
	v_add_nc_u32_e32 v28, v5, v4
	s_delay_alu instid0(VALU_DEP_1) | instskip(SKIP_1) | instid1(VALU_DEP_1)
	v_add3_u32 v28, v28, v6, v7
	s_waitcnt lgkmcnt(0)
	v_add3_u32 v28, v28, v0, v1
	s_delay_alu instid0(VALU_DEP_1) | instskip(NEXT) | instid1(VALU_DEP_1)
	v_add3_u32 v3, v28, v2, v3
	v_mov_b32_dpp v28, v3 row_shr:1 row_mask:0xf bank_mask:0xf
	s_delay_alu instid0(VALU_DEP_1) | instskip(NEXT) | instid1(VALU_DEP_1)
	v_cndmask_b32_e64 v28, v28, 0, s1
	v_add_nc_u32_e32 v3, v28, v3
	s_delay_alu instid0(VALU_DEP_1) | instskip(NEXT) | instid1(VALU_DEP_1)
	v_mov_b32_dpp v28, v3 row_shr:2 row_mask:0xf bank_mask:0xf
	v_cndmask_b32_e64 v28, 0, v28, s2
	s_delay_alu instid0(VALU_DEP_1) | instskip(NEXT) | instid1(VALU_DEP_1)
	v_add_nc_u32_e32 v3, v3, v28
	v_mov_b32_dpp v28, v3 row_shr:4 row_mask:0xf bank_mask:0xf
	s_delay_alu instid0(VALU_DEP_1) | instskip(NEXT) | instid1(VALU_DEP_1)
	v_cndmask_b32_e64 v28, 0, v28, s3
	v_add_nc_u32_e32 v3, v3, v28
	s_delay_alu instid0(VALU_DEP_1) | instskip(NEXT) | instid1(VALU_DEP_1)
	v_mov_b32_dpp v28, v3 row_shr:8 row_mask:0xf bank_mask:0xf
	v_cndmask_b32_e64 v28, 0, v28, s4
	s_delay_alu instid0(VALU_DEP_1) | instskip(SKIP_3) | instid1(VALU_DEP_1)
	v_add_nc_u32_e32 v3, v3, v28
	ds_swizzle_b32 v28, v3 offset:swizzle(BROADCAST,32,15)
	s_waitcnt lgkmcnt(0)
	v_cndmask_b32_e64 v28, v28, 0, s5
	v_add_nc_u32_e32 v3, v3, v28
	s_and_saveexec_b32 s10, s9
	s_cbranch_execz .LBB129_8
; %bb.7:                                ;   in Loop: Header=BB129_4 Depth=2
	ds_store_b32 v19, v3
.LBB129_8:                              ;   in Loop: Header=BB129_4 Depth=2
	s_or_b32 exec_lo, exec_lo, s10
	s_waitcnt lgkmcnt(0)
	s_barrier
	buffer_gl0_inv
	s_and_saveexec_b32 s10, s6
	s_cbranch_execz .LBB129_10
; %bb.9:                                ;   in Loop: Header=BB129_4 Depth=2
	ds_load_b32 v28, v21
	s_waitcnt lgkmcnt(0)
	v_mov_b32_dpp v29, v28 row_shr:1 row_mask:0xf bank_mask:0xf
	s_delay_alu instid0(VALU_DEP_1) | instskip(NEXT) | instid1(VALU_DEP_1)
	v_cndmask_b32_e64 v29, v29, 0, s1
	v_add_nc_u32_e32 v28, v29, v28
	s_delay_alu instid0(VALU_DEP_1) | instskip(NEXT) | instid1(VALU_DEP_1)
	v_mov_b32_dpp v29, v28 row_shr:2 row_mask:0xf bank_mask:0xf
	v_cndmask_b32_e64 v29, 0, v29, s2
	s_delay_alu instid0(VALU_DEP_1) | instskip(NEXT) | instid1(VALU_DEP_1)
	v_add_nc_u32_e32 v28, v28, v29
	v_mov_b32_dpp v29, v28 row_shr:4 row_mask:0xf bank_mask:0xf
	s_delay_alu instid0(VALU_DEP_1) | instskip(NEXT) | instid1(VALU_DEP_1)
	v_cndmask_b32_e64 v29, 0, v29, s3
	v_add_nc_u32_e32 v28, v28, v29
	s_delay_alu instid0(VALU_DEP_1) | instskip(NEXT) | instid1(VALU_DEP_1)
	v_mov_b32_dpp v29, v28 row_shr:8 row_mask:0xf bank_mask:0xf
	v_cndmask_b32_e64 v29, 0, v29, s4
	s_delay_alu instid0(VALU_DEP_1)
	v_add_nc_u32_e32 v28, v28, v29
	ds_store_b32 v21, v28
.LBB129_10:                             ;   in Loop: Header=BB129_4 Depth=2
	s_or_b32 exec_lo, exec_lo, s10
	v_mov_b32_e32 v28, 0
	s_waitcnt lgkmcnt(0)
	s_barrier
	buffer_gl0_inv
	s_and_saveexec_b32 s10, s7
	s_cbranch_execz .LBB129_12
; %bb.11:                               ;   in Loop: Header=BB129_4 Depth=2
	ds_load_b32 v28, v22
.LBB129_12:                             ;   in Loop: Header=BB129_4 Depth=2
	s_or_b32 exec_lo, exec_lo, s10
	s_waitcnt lgkmcnt(0)
	v_add_nc_u32_e32 v3, v28, v3
	s_cmp_gt_u32 s14, 55
	ds_bpermute_b32 v3, v20, v3
	s_waitcnt lgkmcnt(0)
	v_cndmask_b32_e64 v3, v3, v28, s0
	s_delay_alu instid0(VALU_DEP_1) | instskip(NEXT) | instid1(VALU_DEP_1)
	v_cndmask_b32_e64 v3, v3, 0, s8
	v_add_nc_u32_e32 v4, v3, v4
	s_delay_alu instid0(VALU_DEP_1) | instskip(NEXT) | instid1(VALU_DEP_1)
	v_add_nc_u32_e32 v5, v4, v5
	v_add_nc_u32_e32 v6, v5, v6
	s_delay_alu instid0(VALU_DEP_1) | instskip(NEXT) | instid1(VALU_DEP_1)
	v_add_nc_u32_e32 v28, v6, v7
	;; [unrolled: 3-line block ×3, first 2 shown]
	v_add_nc_u32_e32 v1, v0, v2
	ds_store_2addr_b64 v17, v[3:4], v[5:6] offset0:5 offset1:6
	ds_store_2addr_b64 v18, v[28:29], v[0:1] offset0:2 offset1:3
	s_waitcnt lgkmcnt(0)
	s_barrier
	buffer_gl0_inv
	ds_load_b32 v0, v27
	s_waitcnt lgkmcnt(0)
	v_add_nc_u32_e32 v0, v0, v26
	s_cbranch_scc0 .LBB129_3
; %bb.13:                               ;   in Loop: Header=BB129_2 Depth=1
                                        ; implicit-def: $vgpr3_vgpr4
                                        ; implicit-def: $vgpr1_vgpr2
                                        ; implicit-def: $sgpr14_sgpr15
	s_branch .LBB129_1
.LBB129_14:
	s_waitcnt lgkmcnt(0)
	v_add_co_u32 v0, vcc_lo, v3, v1
	v_add_co_ci_u32_e32 v1, vcc_lo, v4, v2, vcc_lo
	v_lshlrev_b32_e32 v2, 3, v8
	s_delay_alu instid0(VALU_DEP_3) | instskip(NEXT) | instid1(VALU_DEP_3)
	v_add_co_u32 v0, vcc_lo, v0, 0
	v_add_co_ci_u32_e32 v1, vcc_lo, 0x80000000, v1, vcc_lo
	s_add_u32 s0, s18, s12
	s_addc_u32 s1, s19, s13
	global_store_b64 v2, v[0:1], s[0:1]
	s_nop 0
	s_sendmsg sendmsg(MSG_DEALLOC_VGPRS)
	s_endpgm
	.section	.rodata,"a",@progbits
	.p2align	6, 0x0
	.amdhsa_kernel _Z17sort_pairs_kernelI22helper_blocked_blockedxLj320ELj1ELj10EEvPKT0_PS1_
		.amdhsa_group_segment_fixed_size 10288
		.amdhsa_private_segment_fixed_size 0
		.amdhsa_kernarg_size 272
		.amdhsa_user_sgpr_count 15
		.amdhsa_user_sgpr_dispatch_ptr 0
		.amdhsa_user_sgpr_queue_ptr 0
		.amdhsa_user_sgpr_kernarg_segment_ptr 1
		.amdhsa_user_sgpr_dispatch_id 0
		.amdhsa_user_sgpr_private_segment_size 0
		.amdhsa_wavefront_size32 1
		.amdhsa_uses_dynamic_stack 0
		.amdhsa_enable_private_segment 0
		.amdhsa_system_sgpr_workgroup_id_x 1
		.amdhsa_system_sgpr_workgroup_id_y 0
		.amdhsa_system_sgpr_workgroup_id_z 0
		.amdhsa_system_sgpr_workgroup_info 0
		.amdhsa_system_vgpr_workitem_id 2
		.amdhsa_next_free_vgpr 30
		.amdhsa_next_free_sgpr 20
		.amdhsa_reserve_vcc 1
		.amdhsa_float_round_mode_32 0
		.amdhsa_float_round_mode_16_64 0
		.amdhsa_float_denorm_mode_32 3
		.amdhsa_float_denorm_mode_16_64 3
		.amdhsa_dx10_clamp 1
		.amdhsa_ieee_mode 1
		.amdhsa_fp16_overflow 0
		.amdhsa_workgroup_processor_mode 1
		.amdhsa_memory_ordered 1
		.amdhsa_forward_progress 0
		.amdhsa_shared_vgpr_count 0
		.amdhsa_exception_fp_ieee_invalid_op 0
		.amdhsa_exception_fp_denorm_src 0
		.amdhsa_exception_fp_ieee_div_zero 0
		.amdhsa_exception_fp_ieee_overflow 0
		.amdhsa_exception_fp_ieee_underflow 0
		.amdhsa_exception_fp_ieee_inexact 0
		.amdhsa_exception_int_div_zero 0
	.end_amdhsa_kernel
	.section	.text._Z17sort_pairs_kernelI22helper_blocked_blockedxLj320ELj1ELj10EEvPKT0_PS1_,"axG",@progbits,_Z17sort_pairs_kernelI22helper_blocked_blockedxLj320ELj1ELj10EEvPKT0_PS1_,comdat
.Lfunc_end129:
	.size	_Z17sort_pairs_kernelI22helper_blocked_blockedxLj320ELj1ELj10EEvPKT0_PS1_, .Lfunc_end129-_Z17sort_pairs_kernelI22helper_blocked_blockedxLj320ELj1ELj10EEvPKT0_PS1_
                                        ; -- End function
	.section	.AMDGPU.csdata,"",@progbits
; Kernel info:
; codeLenInByte = 1612
; NumSgprs: 22
; NumVgprs: 30
; ScratchSize: 0
; MemoryBound: 0
; FloatMode: 240
; IeeeMode: 1
; LDSByteSize: 10288 bytes/workgroup (compile time only)
; SGPRBlocks: 2
; VGPRBlocks: 3
; NumSGPRsForWavesPerEU: 22
; NumVGPRsForWavesPerEU: 30
; Occupancy: 15
; WaveLimiterHint : 0
; COMPUTE_PGM_RSRC2:SCRATCH_EN: 0
; COMPUTE_PGM_RSRC2:USER_SGPR: 15
; COMPUTE_PGM_RSRC2:TRAP_HANDLER: 0
; COMPUTE_PGM_RSRC2:TGID_X_EN: 1
; COMPUTE_PGM_RSRC2:TGID_Y_EN: 0
; COMPUTE_PGM_RSRC2:TGID_Z_EN: 0
; COMPUTE_PGM_RSRC2:TIDIG_COMP_CNT: 2
	.section	.text._Z16sort_keys_kernelI22helper_blocked_blockedxLj320ELj3ELj10EEvPKT0_PS1_,"axG",@progbits,_Z16sort_keys_kernelI22helper_blocked_blockedxLj320ELj3ELj10EEvPKT0_PS1_,comdat
	.protected	_Z16sort_keys_kernelI22helper_blocked_blockedxLj320ELj3ELj10EEvPKT0_PS1_ ; -- Begin function _Z16sort_keys_kernelI22helper_blocked_blockedxLj320ELj3ELj10EEvPKT0_PS1_
	.globl	_Z16sort_keys_kernelI22helper_blocked_blockedxLj320ELj3ELj10EEvPKT0_PS1_
	.p2align	8
	.type	_Z16sort_keys_kernelI22helper_blocked_blockedxLj320ELj3ELj10EEvPKT0_PS1_,@function
_Z16sort_keys_kernelI22helper_blocked_blockedxLj320ELj3ELj10EEvPKT0_PS1_: ; @_Z16sort_keys_kernelI22helper_blocked_blockedxLj320ELj3ELj10EEvPKT0_PS1_
; %bb.0:
	s_clause 0x1
	s_load_b128 s[16:19], s[0:1], 0x0
	s_load_b32 s2, s[0:1], 0x1c
	s_mov_b32 s11, 0
	s_mul_i32 s10, s15, 0x3c0
	v_bfe_u32 v9, v0, 10, 10
	s_lshl_b64 s[12:13], s[10:11], 3
	s_mov_b32 s10, s11
	v_and_b32_e32 v8, 0x3ff, v0
	v_bfe_u32 v0, v0, 20, 10
	v_mbcnt_lo_u32_b32 v12, -1, 0
	s_mov_b32 s14, s11
	s_mov_b32 s15, s11
	v_lshlrev_b32_e32 v3, 3, v8
	v_lshrrev_b32_e32 v7, 5, v8
	v_cmp_eq_u32_e64 s8, 0, v12
	s_delay_alu instid0(VALU_DEP_2)
	v_mul_u32_u24_e32 v11, 0x60, v7
	v_lshlrev_b32_e32 v25, 2, v7
	s_waitcnt lgkmcnt(0)
	s_add_u32 s0, s16, s12
	s_addc_u32 s1, s17, s13
	v_add_co_u32 v1, s3, s0, v3
	s_delay_alu instid0(VALU_DEP_1) | instskip(SKIP_1) | instid1(VALU_DEP_3)
	v_add_co_ci_u32_e64 v2, null, s1, 0, s3
	v_lshlrev_b32_e32 v13, 3, v11
	v_add_co_u32 v5, vcc_lo, 0x1000, v1
	s_delay_alu instid0(VALU_DEP_3) | instskip(NEXT) | instid1(VALU_DEP_3)
	v_add_co_ci_u32_e32 v6, vcc_lo, 0, v2, vcc_lo
	v_mad_u32_u24 v20, v12, 24, v13
	s_clause 0x2
	global_load_b64 v[1:2], v3, s[0:1]
	global_load_b64 v[3:4], v3, s[0:1] offset:2560
	global_load_b64 v[5:6], v[5:6], off offset:1024
	s_lshr_b32 s0, s2, 16
	v_add_nc_u32_e32 v13, -1, v12
	v_mad_u32_u24 v0, v0, s0, v9
	s_and_b32 s0, s2, 0xffff
	v_add_nc_u32_e32 v27, -4, v25
	s_delay_alu instid0(VALU_DEP_3) | instskip(NEXT) | instid1(VALU_DEP_3)
	v_cmp_gt_i32_e32 vcc_lo, 0, v13
	v_mad_u64_u32 v[9:10], null, v0, s0, v[8:9]
	v_and_b32_e32 v10, 15, v12
	v_or_b32_e32 v0, v12, v11
	s_delay_alu instid0(VALU_DEP_2) | instskip(NEXT) | instid1(VALU_DEP_4)
	v_cmp_eq_u32_e64 s0, 0, v10
	v_lshrrev_b32_e32 v23, 5, v9
	v_and_b32_e32 v9, 16, v12
	v_cmp_lt_u32_e64 s1, 1, v10
	v_cmp_lt_u32_e64 s2, 3, v10
	;; [unrolled: 1-line block ×3, first 2 shown]
	v_lshlrev_b32_e32 v21, 3, v0
	v_cmp_eq_u32_e64 s4, 0, v9
	v_cndmask_b32_e32 v9, v13, v12, vcc_lo
	s_delay_alu instid0(VALU_DEP_1)
	v_dual_mov_b32 v9, s10 :: v_dual_lshlrev_b32 v24, 2, v9
	v_and_b32_e32 v11, 0x1e0, v8
	v_lshlrev_b32_e32 v19, 5, v8
	v_cmp_gt_u32_e64 s6, 10, v8
	v_cmp_lt_u32_e64 s7, 31, v8
	v_cmp_eq_u32_e64 s9, 0, v8
	v_min_u32_e32 v0, 0x120, v11
	v_mad_i32_i24 v26, 0xffffffe4, v8, v19
	v_add_nc_u32_e32 v22, 40, v19
	v_mov_b32_e32 v10, s11
	s_delay_alu instid0(VALU_DEP_4) | instskip(NEXT) | instid1(VALU_DEP_1)
	v_or_b32_e32 v0, 31, v0
	v_cmp_eq_u32_e64 s5, v0, v8
	v_mul_u32_u24_e32 v0, 3, v11
	s_delay_alu instid0(VALU_DEP_1) | instskip(SKIP_1) | instid1(VALU_DEP_2)
	v_or_b32_e32 v0, v12, v0
	v_dual_mov_b32 v11, s14 :: v_dual_mov_b32 v12, s15
	v_lshlrev_b32_e32 v28, 3, v0
	v_mul_u32_u24_e32 v0, 20, v8
	s_delay_alu instid0(VALU_DEP_1)
	v_add_nc_u32_e32 v29, v26, v0
	s_branch .LBB130_2
.LBB130_1:                              ;   in Loop: Header=BB130_2 Depth=1
	v_lshlrev_b32_e32 v0, 3, v30
	v_lshlrev_b32_e32 v1, 3, v7
	;; [unrolled: 1-line block ×3, first 2 shown]
	s_barrier
	buffer_gl0_inv
	ds_store_b64 v0, v[13:14]
	ds_store_b64 v1, v[17:18]
	;; [unrolled: 1-line block ×3, first 2 shown]
	s_waitcnt lgkmcnt(0)
	s_barrier
	buffer_gl0_inv
	ds_load_2addr_b64 v[1:4], v29 offset1:1
	ds_load_b64 v[5:6], v29 offset:16
	s_add_i32 s11, s11, 1
	s_delay_alu instid0(SALU_CYCLE_1)
	s_cmp_eq_u32 s11, 10
	s_waitcnt lgkmcnt(1)
	v_xor_b32_e32 v2, 0x80000000, v2
	v_xor_b32_e32 v4, 0x80000000, v4
	s_waitcnt lgkmcnt(0)
	v_xor_b32_e32 v6, 0x80000000, v6
	s_cbranch_scc1 .LBB130_18
.LBB130_2:                              ; =>This Loop Header: Depth=1
                                        ;     Child Loop BB130_4 Depth 2
	s_waitcnt vmcnt(2)
	v_xor_b32_e32 v2, 0x80000000, v2
	s_waitcnt vmcnt(1)
	v_xor_b32_e32 v4, 0x80000000, v4
	;; [unrolled: 2-line block ×3, first 2 shown]
	s_mov_b64 s[14:15], 0
	ds_store_2addr_b64 v20, v[1:2], v[3:4] offset1:1
	ds_store_b64 v20, v[5:6] offset:16
	; wave barrier
	ds_load_2addr_b64 v[0:3], v21 offset1:32
	ds_load_b64 v[4:5], v21 offset:512
	s_waitcnt lgkmcnt(0)
	s_barrier
	buffer_gl0_inv
	; wave barrier
	s_barrier
	s_branch .LBB130_4
.LBB130_3:                              ;   in Loop: Header=BB130_4 Depth=2
	v_lshlrev_b32_e32 v0, 3, v30
	v_lshlrev_b32_e32 v1, 3, v7
	s_delay_alu instid0(VALU_DEP_3)
	v_lshlrev_b32_e32 v2, 3, v6
	s_barrier
	buffer_gl0_inv
	ds_store_b64 v0, v[13:14]
	ds_store_b64 v1, v[17:18]
	;; [unrolled: 1-line block ×3, first 2 shown]
	s_waitcnt lgkmcnt(0)
	s_barrier
	buffer_gl0_inv
	ds_load_2addr_b64 v[0:3], v28 offset1:32
	ds_load_b64 v[4:5], v28 offset:512
	s_add_u32 s14, s14, 8
	s_addc_u32 s15, s15, 0
	s_waitcnt lgkmcnt(0)
	s_barrier
	s_cbranch_execz .LBB130_1
.LBB130_4:                              ;   Parent Loop BB130_2 Depth=1
                                        ; =>  This Inner Loop Header: Depth=2
	v_dual_mov_b32 v14, v1 :: v_dual_mov_b32 v13, v0
	buffer_gl0_inv
	ds_store_2addr_b64 v19, v[9:10], v[11:12] offset0:5 offset1:6
	ds_store_2addr_b64 v22, v[9:10], v[11:12] offset0:2 offset1:3
	s_waitcnt lgkmcnt(0)
	s_barrier
	v_lshrrev_b64 v[6:7], s14, v[13:14]
	buffer_gl0_inv
	; wave barrier
	v_and_b32_e32 v0, 1, v6
	v_lshlrev_b32_e32 v1, 30, v6
	v_lshlrev_b32_e32 v7, 29, v6
	;; [unrolled: 1-line block ×4, first 2 shown]
	v_add_co_u32 v0, s10, v0, -1
	s_delay_alu instid0(VALU_DEP_1)
	v_cndmask_b32_e64 v16, 0, 1, s10
	v_not_b32_e32 v31, v1
	v_cmp_gt_i32_e64 s10, 0, v1
	v_not_b32_e32 v1, v7
	v_lshlrev_b32_e32 v18, 26, v6
	v_cmp_ne_u32_e32 vcc_lo, 0, v16
	v_ashrrev_i32_e32 v31, 31, v31
	v_lshlrev_b32_e32 v30, 25, v6
	v_ashrrev_i32_e32 v1, 31, v1
	v_lshlrev_b32_e32 v16, 24, v6
	v_xor_b32_e32 v0, vcc_lo, v0
	v_cmp_gt_i32_e32 vcc_lo, 0, v7
	v_not_b32_e32 v7, v15
	v_xor_b32_e32 v31, s10, v31
	v_cmp_gt_i32_e64 s10, 0, v15
	v_and_b32_e32 v0, exec_lo, v0
	v_not_b32_e32 v15, v17
	v_ashrrev_i32_e32 v7, 31, v7
	v_xor_b32_e32 v1, vcc_lo, v1
	v_cmp_gt_i32_e32 vcc_lo, 0, v17
	v_and_b32_e32 v0, v0, v31
	v_not_b32_e32 v17, v18
	v_ashrrev_i32_e32 v15, 31, v15
	v_xor_b32_e32 v7, s10, v7
	v_cmp_gt_i32_e64 s10, 0, v18
	v_and_b32_e32 v0, v0, v1
	v_not_b32_e32 v1, v30
	v_ashrrev_i32_e32 v17, 31, v17
	v_xor_b32_e32 v15, vcc_lo, v15
	v_cmp_gt_i32_e32 vcc_lo, 0, v30
	v_and_b32_e32 v0, v0, v7
	v_not_b32_e32 v7, v16
	v_ashrrev_i32_e32 v1, 31, v1
	v_xor_b32_e32 v17, s10, v17
	v_cmp_gt_i32_e64 s10, 0, v16
	v_and_b32_e32 v0, v0, v15
	v_ashrrev_i32_e32 v7, 31, v7
	v_xor_b32_e32 v1, vcc_lo, v1
	v_dual_mov_b32 v16, v5 :: v_dual_mov_b32 v15, v4
	s_delay_alu instid0(VALU_DEP_4) | instskip(NEXT) | instid1(VALU_DEP_4)
	v_and_b32_e32 v0, v0, v17
	v_xor_b32_e32 v7, s10, v7
	v_dual_mov_b32 v18, v3 :: v_dual_mov_b32 v17, v2
	s_delay_alu instid0(VALU_DEP_3) | instskip(SKIP_1) | instid1(VALU_DEP_2)
	v_and_b32_e32 v0, v0, v1
	v_and_b32_e32 v1, 0xff, v6
	v_and_b32_e32 v0, v0, v7
	s_delay_alu instid0(VALU_DEP_2) | instskip(NEXT) | instid1(VALU_DEP_2)
	v_mad_u32_u24 v1, v1, 10, v23
	v_mbcnt_lo_u32_b32 v30, v0, 0
	v_cmp_ne_u32_e64 s10, 0, v0
	s_delay_alu instid0(VALU_DEP_3) | instskip(NEXT) | instid1(VALU_DEP_3)
	v_lshl_add_u32 v31, v1, 2, 40
	v_cmp_eq_u32_e32 vcc_lo, 0, v30
	s_delay_alu instid0(VALU_DEP_3) | instskip(NEXT) | instid1(SALU_CYCLE_1)
	s_and_b32 s16, s10, vcc_lo
	s_and_saveexec_b32 s10, s16
	s_cbranch_execz .LBB130_6
; %bb.5:                                ;   in Loop: Header=BB130_4 Depth=2
	v_bcnt_u32_b32 v0, v0, 0
	ds_store_b32 v31, v0
.LBB130_6:                              ;   in Loop: Header=BB130_4 Depth=2
	s_or_b32 exec_lo, exec_lo, s10
	v_lshrrev_b64 v[0:1], s14, v[17:18]
	; wave barrier
	s_delay_alu instid0(VALU_DEP_1)
	v_and_b32_e32 v2, 1, v0
	v_lshlrev_b32_e32 v3, 30, v0
	v_lshlrev_b32_e32 v4, 29, v0
	;; [unrolled: 1-line block ×4, first 2 shown]
	v_add_co_u32 v2, s10, v2, -1
	s_delay_alu instid0(VALU_DEP_1)
	v_cndmask_b32_e64 v6, 0, 1, s10
	v_not_b32_e32 v34, v3
	v_cmp_gt_i32_e64 s10, 0, v3
	v_not_b32_e32 v3, v4
	v_lshlrev_b32_e32 v32, 26, v0
	v_cmp_ne_u32_e32 vcc_lo, 0, v6
	v_ashrrev_i32_e32 v6, 31, v34
	v_lshlrev_b32_e32 v33, 25, v0
	v_ashrrev_i32_e32 v3, 31, v3
	v_and_b32_e32 v1, 0xff, v0
	v_xor_b32_e32 v2, vcc_lo, v2
	v_cmp_gt_i32_e32 vcc_lo, 0, v4
	v_not_b32_e32 v4, v5
	v_xor_b32_e32 v6, s10, v6
	v_cmp_gt_i32_e64 s10, 0, v5
	v_and_b32_e32 v2, exec_lo, v2
	v_not_b32_e32 v5, v7
	v_ashrrev_i32_e32 v4, 31, v4
	v_xor_b32_e32 v3, vcc_lo, v3
	v_cmp_gt_i32_e32 vcc_lo, 0, v7
	v_and_b32_e32 v2, v2, v6
	v_not_b32_e32 v6, v32
	v_ashrrev_i32_e32 v5, 31, v5
	v_xor_b32_e32 v4, s10, v4
	v_lshlrev_b32_e32 v0, 24, v0
	v_and_b32_e32 v2, v2, v3
	v_cmp_gt_i32_e64 s10, 0, v32
	v_not_b32_e32 v3, v33
	v_ashrrev_i32_e32 v6, 31, v6
	v_xor_b32_e32 v5, vcc_lo, v5
	v_and_b32_e32 v2, v2, v4
	v_cmp_gt_i32_e32 vcc_lo, 0, v33
	v_not_b32_e32 v4, v0
	v_ashrrev_i32_e32 v3, 31, v3
	v_xor_b32_e32 v6, s10, v6
	v_and_b32_e32 v2, v2, v5
	v_mul_u32_u24_e32 v1, 10, v1
	v_cmp_gt_i32_e64 s10, 0, v0
	v_ashrrev_i32_e32 v0, 31, v4
	v_xor_b32_e32 v3, vcc_lo, v3
	v_and_b32_e32 v2, v2, v6
	v_add_lshl_u32 v1, v1, v23, 2
	s_delay_alu instid0(VALU_DEP_4) | instskip(NEXT) | instid1(VALU_DEP_3)
	v_xor_b32_e32 v0, s10, v0
	v_and_b32_e32 v2, v2, v3
	ds_load_b32 v32, v1 offset:40
	v_add_nc_u32_e32 v34, 40, v1
	; wave barrier
	v_and_b32_e32 v0, v2, v0
	s_delay_alu instid0(VALU_DEP_1) | instskip(SKIP_1) | instid1(VALU_DEP_2)
	v_mbcnt_lo_u32_b32 v33, v0, 0
	v_cmp_ne_u32_e64 s10, 0, v0
	v_cmp_eq_u32_e32 vcc_lo, 0, v33
	s_delay_alu instid0(VALU_DEP_2) | instskip(NEXT) | instid1(SALU_CYCLE_1)
	s_and_b32 s16, s10, vcc_lo
	s_and_saveexec_b32 s10, s16
	s_cbranch_execz .LBB130_8
; %bb.7:                                ;   in Loop: Header=BB130_4 Depth=2
	s_waitcnt lgkmcnt(0)
	v_bcnt_u32_b32 v0, v0, v32
	ds_store_b32 v34, v0
.LBB130_8:                              ;   in Loop: Header=BB130_4 Depth=2
	s_or_b32 exec_lo, exec_lo, s10
	v_lshrrev_b64 v[0:1], s14, v[15:16]
	; wave barrier
	s_delay_alu instid0(VALU_DEP_1)
	v_and_b32_e32 v2, 1, v0
	v_lshlrev_b32_e32 v3, 30, v0
	v_lshlrev_b32_e32 v4, 29, v0
	;; [unrolled: 1-line block ×4, first 2 shown]
	v_add_co_u32 v2, s10, v2, -1
	s_delay_alu instid0(VALU_DEP_1)
	v_cndmask_b32_e64 v6, 0, 1, s10
	v_not_b32_e32 v37, v3
	v_cmp_gt_i32_e64 s10, 0, v3
	v_not_b32_e32 v3, v4
	v_lshlrev_b32_e32 v35, 26, v0
	v_cmp_ne_u32_e32 vcc_lo, 0, v6
	v_ashrrev_i32_e32 v6, 31, v37
	v_lshlrev_b32_e32 v36, 25, v0
	v_ashrrev_i32_e32 v3, 31, v3
	v_and_b32_e32 v1, 0xff, v0
	v_xor_b32_e32 v2, vcc_lo, v2
	v_cmp_gt_i32_e32 vcc_lo, 0, v4
	v_not_b32_e32 v4, v5
	v_xor_b32_e32 v6, s10, v6
	v_cmp_gt_i32_e64 s10, 0, v5
	v_and_b32_e32 v2, exec_lo, v2
	v_not_b32_e32 v5, v7
	v_ashrrev_i32_e32 v4, 31, v4
	v_xor_b32_e32 v3, vcc_lo, v3
	v_cmp_gt_i32_e32 vcc_lo, 0, v7
	v_and_b32_e32 v2, v2, v6
	v_not_b32_e32 v6, v35
	v_ashrrev_i32_e32 v5, 31, v5
	v_xor_b32_e32 v4, s10, v4
	v_lshlrev_b32_e32 v0, 24, v0
	v_and_b32_e32 v2, v2, v3
	v_cmp_gt_i32_e64 s10, 0, v35
	v_not_b32_e32 v3, v36
	v_ashrrev_i32_e32 v6, 31, v6
	v_xor_b32_e32 v5, vcc_lo, v5
	v_and_b32_e32 v2, v2, v4
	v_cmp_gt_i32_e32 vcc_lo, 0, v36
	v_not_b32_e32 v4, v0
	v_ashrrev_i32_e32 v3, 31, v3
	v_xor_b32_e32 v6, s10, v6
	v_and_b32_e32 v2, v2, v5
	v_mul_u32_u24_e32 v1, 10, v1
	v_cmp_gt_i32_e64 s10, 0, v0
	v_ashrrev_i32_e32 v0, 31, v4
	v_xor_b32_e32 v3, vcc_lo, v3
	v_and_b32_e32 v2, v2, v6
	v_add_lshl_u32 v1, v1, v23, 2
	s_delay_alu instid0(VALU_DEP_4) | instskip(NEXT) | instid1(VALU_DEP_3)
	v_xor_b32_e32 v0, s10, v0
	v_and_b32_e32 v2, v2, v3
	ds_load_b32 v35, v1 offset:40
	v_add_nc_u32_e32 v37, 40, v1
	; wave barrier
	v_and_b32_e32 v0, v2, v0
	s_delay_alu instid0(VALU_DEP_1) | instskip(SKIP_1) | instid1(VALU_DEP_2)
	v_mbcnt_lo_u32_b32 v36, v0, 0
	v_cmp_ne_u32_e64 s10, 0, v0
	v_cmp_eq_u32_e32 vcc_lo, 0, v36
	s_delay_alu instid0(VALU_DEP_2) | instskip(NEXT) | instid1(SALU_CYCLE_1)
	s_and_b32 s16, s10, vcc_lo
	s_and_saveexec_b32 s10, s16
	s_cbranch_execz .LBB130_10
; %bb.9:                                ;   in Loop: Header=BB130_4 Depth=2
	s_waitcnt lgkmcnt(0)
	v_bcnt_u32_b32 v0, v0, v35
	ds_store_b32 v37, v0
.LBB130_10:                             ;   in Loop: Header=BB130_4 Depth=2
	s_or_b32 exec_lo, exec_lo, s10
	; wave barrier
	s_waitcnt lgkmcnt(0)
	s_barrier
	buffer_gl0_inv
	ds_load_2addr_b64 v[4:7], v19 offset0:5 offset1:6
	ds_load_2addr_b64 v[0:3], v22 offset0:2 offset1:3
	s_waitcnt lgkmcnt(1)
	v_add_nc_u32_e32 v38, v5, v4
	s_delay_alu instid0(VALU_DEP_1) | instskip(SKIP_1) | instid1(VALU_DEP_1)
	v_add3_u32 v38, v38, v6, v7
	s_waitcnt lgkmcnt(0)
	v_add3_u32 v38, v38, v0, v1
	s_delay_alu instid0(VALU_DEP_1) | instskip(NEXT) | instid1(VALU_DEP_1)
	v_add3_u32 v3, v38, v2, v3
	v_mov_b32_dpp v38, v3 row_shr:1 row_mask:0xf bank_mask:0xf
	s_delay_alu instid0(VALU_DEP_1) | instskip(NEXT) | instid1(VALU_DEP_1)
	v_cndmask_b32_e64 v38, v38, 0, s0
	v_add_nc_u32_e32 v3, v38, v3
	s_delay_alu instid0(VALU_DEP_1) | instskip(NEXT) | instid1(VALU_DEP_1)
	v_mov_b32_dpp v38, v3 row_shr:2 row_mask:0xf bank_mask:0xf
	v_cndmask_b32_e64 v38, 0, v38, s1
	s_delay_alu instid0(VALU_DEP_1) | instskip(NEXT) | instid1(VALU_DEP_1)
	v_add_nc_u32_e32 v3, v3, v38
	v_mov_b32_dpp v38, v3 row_shr:4 row_mask:0xf bank_mask:0xf
	s_delay_alu instid0(VALU_DEP_1) | instskip(NEXT) | instid1(VALU_DEP_1)
	v_cndmask_b32_e64 v38, 0, v38, s2
	v_add_nc_u32_e32 v3, v3, v38
	s_delay_alu instid0(VALU_DEP_1) | instskip(NEXT) | instid1(VALU_DEP_1)
	v_mov_b32_dpp v38, v3 row_shr:8 row_mask:0xf bank_mask:0xf
	v_cndmask_b32_e64 v38, 0, v38, s3
	s_delay_alu instid0(VALU_DEP_1) | instskip(SKIP_3) | instid1(VALU_DEP_1)
	v_add_nc_u32_e32 v3, v3, v38
	ds_swizzle_b32 v38, v3 offset:swizzle(BROADCAST,32,15)
	s_waitcnt lgkmcnt(0)
	v_cndmask_b32_e64 v38, v38, 0, s4
	v_add_nc_u32_e32 v3, v3, v38
	s_and_saveexec_b32 s10, s5
	s_cbranch_execz .LBB130_12
; %bb.11:                               ;   in Loop: Header=BB130_4 Depth=2
	ds_store_b32 v25, v3
.LBB130_12:                             ;   in Loop: Header=BB130_4 Depth=2
	s_or_b32 exec_lo, exec_lo, s10
	s_waitcnt lgkmcnt(0)
	s_barrier
	buffer_gl0_inv
	s_and_saveexec_b32 s10, s6
	s_cbranch_execz .LBB130_14
; %bb.13:                               ;   in Loop: Header=BB130_4 Depth=2
	ds_load_b32 v38, v26
	s_waitcnt lgkmcnt(0)
	v_mov_b32_dpp v39, v38 row_shr:1 row_mask:0xf bank_mask:0xf
	s_delay_alu instid0(VALU_DEP_1) | instskip(NEXT) | instid1(VALU_DEP_1)
	v_cndmask_b32_e64 v39, v39, 0, s0
	v_add_nc_u32_e32 v38, v39, v38
	s_delay_alu instid0(VALU_DEP_1) | instskip(NEXT) | instid1(VALU_DEP_1)
	v_mov_b32_dpp v39, v38 row_shr:2 row_mask:0xf bank_mask:0xf
	v_cndmask_b32_e64 v39, 0, v39, s1
	s_delay_alu instid0(VALU_DEP_1) | instskip(NEXT) | instid1(VALU_DEP_1)
	v_add_nc_u32_e32 v38, v38, v39
	v_mov_b32_dpp v39, v38 row_shr:4 row_mask:0xf bank_mask:0xf
	s_delay_alu instid0(VALU_DEP_1) | instskip(NEXT) | instid1(VALU_DEP_1)
	v_cndmask_b32_e64 v39, 0, v39, s2
	v_add_nc_u32_e32 v38, v38, v39
	s_delay_alu instid0(VALU_DEP_1) | instskip(NEXT) | instid1(VALU_DEP_1)
	v_mov_b32_dpp v39, v38 row_shr:8 row_mask:0xf bank_mask:0xf
	v_cndmask_b32_e64 v39, 0, v39, s3
	s_delay_alu instid0(VALU_DEP_1)
	v_add_nc_u32_e32 v38, v38, v39
	ds_store_b32 v26, v38
.LBB130_14:                             ;   in Loop: Header=BB130_4 Depth=2
	s_or_b32 exec_lo, exec_lo, s10
	v_mov_b32_e32 v38, 0
	s_waitcnt lgkmcnt(0)
	s_barrier
	buffer_gl0_inv
	s_and_saveexec_b32 s10, s7
	s_cbranch_execz .LBB130_16
; %bb.15:                               ;   in Loop: Header=BB130_4 Depth=2
	ds_load_b32 v38, v27
.LBB130_16:                             ;   in Loop: Header=BB130_4 Depth=2
	s_or_b32 exec_lo, exec_lo, s10
	s_waitcnt lgkmcnt(0)
	v_add_nc_u32_e32 v3, v38, v3
	s_cmp_gt_u32 s14, 55
	ds_bpermute_b32 v3, v24, v3
	s_waitcnt lgkmcnt(0)
	v_cndmask_b32_e64 v3, v3, v38, s8
	s_delay_alu instid0(VALU_DEP_1) | instskip(NEXT) | instid1(VALU_DEP_1)
	v_cndmask_b32_e64 v3, v3, 0, s9
	v_add_nc_u32_e32 v4, v3, v4
	s_delay_alu instid0(VALU_DEP_1) | instskip(NEXT) | instid1(VALU_DEP_1)
	v_add_nc_u32_e32 v5, v4, v5
	v_add_nc_u32_e32 v6, v5, v6
	s_delay_alu instid0(VALU_DEP_1) | instskip(NEXT) | instid1(VALU_DEP_1)
	v_add_nc_u32_e32 v38, v6, v7
	;; [unrolled: 3-line block ×3, first 2 shown]
	v_add_nc_u32_e32 v1, v0, v2
	ds_store_2addr_b64 v19, v[3:4], v[5:6] offset0:5 offset1:6
	ds_store_2addr_b64 v22, v[38:39], v[0:1] offset0:2 offset1:3
	s_waitcnt lgkmcnt(0)
	s_barrier
	buffer_gl0_inv
	ds_load_b32 v0, v31
	ds_load_b32 v1, v34
	;; [unrolled: 1-line block ×3, first 2 shown]
	s_waitcnt lgkmcnt(2)
	v_add_nc_u32_e32 v30, v0, v30
	s_waitcnt lgkmcnt(1)
	v_add3_u32 v7, v33, v32, v1
	s_waitcnt lgkmcnt(0)
	v_add3_u32 v6, v36, v35, v2
	s_cbranch_scc0 .LBB130_3
; %bb.17:                               ;   in Loop: Header=BB130_2 Depth=1
                                        ; implicit-def: $vgpr4_vgpr5
                                        ; implicit-def: $vgpr2_vgpr3
                                        ; implicit-def: $sgpr14_sgpr15
	s_branch .LBB130_1
.LBB130_18:
	v_lshlrev_b32_e32 v0, 3, v8
	s_add_u32 s0, s18, s12
	s_addc_u32 s1, s19, s13
	s_delay_alu instid0(VALU_DEP_1) | instskip(NEXT) | instid1(VALU_DEP_1)
	v_add_co_u32 v7, s2, s0, v0
	v_add_co_ci_u32_e64 v8, null, s1, 0, s2
	s_delay_alu instid0(VALU_DEP_2) | instskip(NEXT) | instid1(VALU_DEP_2)
	v_add_co_u32 v7, vcc_lo, 0x1000, v7
	v_add_co_ci_u32_e32 v8, vcc_lo, 0, v8, vcc_lo
	s_clause 0x2
	global_store_b64 v0, v[1:2], s[0:1]
	global_store_b64 v0, v[3:4], s[0:1] offset:2560
	global_store_b64 v[7:8], v[5:6], off offset:1024
	s_nop 0
	s_sendmsg sendmsg(MSG_DEALLOC_VGPRS)
	s_endpgm
	.section	.rodata,"a",@progbits
	.p2align	6, 0x0
	.amdhsa_kernel _Z16sort_keys_kernelI22helper_blocked_blockedxLj320ELj3ELj10EEvPKT0_PS1_
		.amdhsa_group_segment_fixed_size 10288
		.amdhsa_private_segment_fixed_size 0
		.amdhsa_kernarg_size 272
		.amdhsa_user_sgpr_count 15
		.amdhsa_user_sgpr_dispatch_ptr 0
		.amdhsa_user_sgpr_queue_ptr 0
		.amdhsa_user_sgpr_kernarg_segment_ptr 1
		.amdhsa_user_sgpr_dispatch_id 0
		.amdhsa_user_sgpr_private_segment_size 0
		.amdhsa_wavefront_size32 1
		.amdhsa_uses_dynamic_stack 0
		.amdhsa_enable_private_segment 0
		.amdhsa_system_sgpr_workgroup_id_x 1
		.amdhsa_system_sgpr_workgroup_id_y 0
		.amdhsa_system_sgpr_workgroup_id_z 0
		.amdhsa_system_sgpr_workgroup_info 0
		.amdhsa_system_vgpr_workitem_id 2
		.amdhsa_next_free_vgpr 40
		.amdhsa_next_free_sgpr 20
		.amdhsa_reserve_vcc 1
		.amdhsa_float_round_mode_32 0
		.amdhsa_float_round_mode_16_64 0
		.amdhsa_float_denorm_mode_32 3
		.amdhsa_float_denorm_mode_16_64 3
		.amdhsa_dx10_clamp 1
		.amdhsa_ieee_mode 1
		.amdhsa_fp16_overflow 0
		.amdhsa_workgroup_processor_mode 1
		.amdhsa_memory_ordered 1
		.amdhsa_forward_progress 0
		.amdhsa_shared_vgpr_count 0
		.amdhsa_exception_fp_ieee_invalid_op 0
		.amdhsa_exception_fp_denorm_src 0
		.amdhsa_exception_fp_ieee_div_zero 0
		.amdhsa_exception_fp_ieee_overflow 0
		.amdhsa_exception_fp_ieee_underflow 0
		.amdhsa_exception_fp_ieee_inexact 0
		.amdhsa_exception_int_div_zero 0
	.end_amdhsa_kernel
	.section	.text._Z16sort_keys_kernelI22helper_blocked_blockedxLj320ELj3ELj10EEvPKT0_PS1_,"axG",@progbits,_Z16sort_keys_kernelI22helper_blocked_blockedxLj320ELj3ELj10EEvPKT0_PS1_,comdat
.Lfunc_end130:
	.size	_Z16sort_keys_kernelI22helper_blocked_blockedxLj320ELj3ELj10EEvPKT0_PS1_, .Lfunc_end130-_Z16sort_keys_kernelI22helper_blocked_blockedxLj320ELj3ELj10EEvPKT0_PS1_
                                        ; -- End function
	.section	.AMDGPU.csdata,"",@progbits
; Kernel info:
; codeLenInByte = 2516
; NumSgprs: 22
; NumVgprs: 40
; ScratchSize: 0
; MemoryBound: 0
; FloatMode: 240
; IeeeMode: 1
; LDSByteSize: 10288 bytes/workgroup (compile time only)
; SGPRBlocks: 2
; VGPRBlocks: 4
; NumSGPRsForWavesPerEU: 22
; NumVGPRsForWavesPerEU: 40
; Occupancy: 15
; WaveLimiterHint : 1
; COMPUTE_PGM_RSRC2:SCRATCH_EN: 0
; COMPUTE_PGM_RSRC2:USER_SGPR: 15
; COMPUTE_PGM_RSRC2:TRAP_HANDLER: 0
; COMPUTE_PGM_RSRC2:TGID_X_EN: 1
; COMPUTE_PGM_RSRC2:TGID_Y_EN: 0
; COMPUTE_PGM_RSRC2:TGID_Z_EN: 0
; COMPUTE_PGM_RSRC2:TIDIG_COMP_CNT: 2
	.section	.text._Z17sort_pairs_kernelI22helper_blocked_blockedxLj320ELj3ELj10EEvPKT0_PS1_,"axG",@progbits,_Z17sort_pairs_kernelI22helper_blocked_blockedxLj320ELj3ELj10EEvPKT0_PS1_,comdat
	.protected	_Z17sort_pairs_kernelI22helper_blocked_blockedxLj320ELj3ELj10EEvPKT0_PS1_ ; -- Begin function _Z17sort_pairs_kernelI22helper_blocked_blockedxLj320ELj3ELj10EEvPKT0_PS1_
	.globl	_Z17sort_pairs_kernelI22helper_blocked_blockedxLj320ELj3ELj10EEvPKT0_PS1_
	.p2align	8
	.type	_Z17sort_pairs_kernelI22helper_blocked_blockedxLj320ELj3ELj10EEvPKT0_PS1_,@function
_Z17sort_pairs_kernelI22helper_blocked_blockedxLj320ELj3ELj10EEvPKT0_PS1_: ; @_Z17sort_pairs_kernelI22helper_blocked_blockedxLj320ELj3ELj10EEvPKT0_PS1_
; %bb.0:
	s_clause 0x1
	s_load_b128 s[16:19], s[0:1], 0x0
	s_load_b32 s9, s[0:1], 0x1c
	v_and_b32_e32 v9, 0x3ff, v0
	s_mov_b32 s11, 0
	s_mul_i32 s10, s15, 0x3c0
	v_mbcnt_lo_u32_b32 v7, -1, 0
	s_lshl_b64 s[12:13], s[10:11], 3
	s_mov_b32 s10, s11
	v_lshlrev_b32_e32 v3, 3, v9
	v_dual_mov_b32 v13, s11 :: v_dual_mov_b32 v12, s10
	v_and_b32_e32 v8, 16, v7
	v_add_nc_u32_e32 v16, -1, v7
	s_delay_alu instid0(VALU_DEP_2) | instskip(SKIP_4) | instid1(VALU_DEP_1)
	v_cmp_eq_u32_e64 s5, 0, v8
	s_waitcnt lgkmcnt(0)
	s_add_u32 s0, s16, s12
	s_addc_u32 s1, s17, s13
	v_add_co_u32 v4, s2, s0, v3
	v_add_co_ci_u32_e64 v6, null, s1, 0, s2
	global_load_b64 v[1:2], v3, s[0:1]
	v_add_co_u32 v5, vcc_lo, 0x1000, v4
	v_add_co_ci_u32_e32 v6, vcc_lo, 0, v6, vcc_lo
	v_cmp_gt_i32_e32 vcc_lo, 0, v16
	s_lshr_b32 s10, s9, 16
	s_clause 0x1
	global_load_b64 v[3:4], v3, s[0:1] offset:2560
	global_load_b64 v[14:15], v[5:6], off offset:1024
	s_mov_b32 s1, s11
	s_mov_b32 s0, s11
	v_dual_mov_b32 v11, s1 :: v_dual_and_b32 v6, 15, v7
	v_bfe_u32 v5, v0, 10, 10
	v_bfe_u32 v0, v0, 20, 10
	v_mov_b32_e32 v10, s0
	v_lshlrev_b32_e32 v30, 5, v9
	v_cmp_eq_u32_e64 s1, 0, v6
	v_cmp_lt_u32_e64 s2, 1, v6
	v_cmp_lt_u32_e64 s3, 3, v6
	;; [unrolled: 1-line block ×3, first 2 shown]
	v_and_b32_e32 v6, 0x1e0, v9
	v_dual_cndmask_b32 v8, v16, v7 :: v_dual_add_nc_u32 v31, 40, v30
	v_mad_u32_u24 v0, v0, s10, v5
	v_lshrrev_b32_e32 v17, 5, v9
	s_and_b32 s9, s9, 0xffff
	v_min_u32_e32 v19, 0x120, v6
	v_lshlrev_b32_e32 v32, 2, v8
	v_mul_u32_u24_e32 v8, 3, v6
	v_mad_u64_u32 v[5:6], null, v0, s9, v[9:10]
	v_mul_u32_u24_e32 v16, 0x60, v17
	v_lshlrev_b32_e32 v33, 2, v17
	s_delay_alu instid0(VALU_DEP_4)
	v_or_b32_e32 v6, v7, v8
	v_cmp_eq_u32_e64 s0, 0, v7
	v_mul_u32_u24_e32 v18, 20, v9
	v_lshlrev_b32_e32 v17, 3, v16
	v_lshrrev_b32_e32 v39, 5, v5
	v_or_b32_e32 v16, v7, v16
	v_lshlrev_b32_e32 v38, 3, v6
	v_mad_i32_i24 v34, 0xffffffe4, v9, v30
	v_or_b32_e32 v0, 31, v19
	v_mad_u32_u24 v36, v7, 24, v17
	v_lshlrev_b32_e32 v37, 3, v16
	v_cmp_gt_u32_e64 s6, 10, v9
	v_cmp_lt_u32_e64 s7, 31, v9
	v_cmp_eq_u32_e64 s8, 0, v9
	v_add_nc_u32_e32 v35, -4, v33
	v_cmp_eq_u32_e64 s9, v0, v9
	v_add_nc_u32_e32 v40, v34, v18
	s_waitcnt vmcnt(2)
	v_add_co_u32 v5, vcc_lo, v1, 1
	v_add_co_ci_u32_e32 v6, vcc_lo, 0, v2, vcc_lo
	s_waitcnt vmcnt(1)
	v_add_co_u32 v7, vcc_lo, v3, 1
	v_add_co_ci_u32_e32 v8, vcc_lo, 0, v4, vcc_lo
	;; [unrolled: 3-line block ×3, first 2 shown]
	s_branch .LBB131_2
.LBB131_1:                              ;   in Loop: Header=BB131_2 Depth=1
	v_lshlrev_b32_e32 v0, 3, v44
	v_lshlrev_b32_e32 v5, 3, v43
	;; [unrolled: 1-line block ×3, first 2 shown]
	s_barrier
	buffer_gl0_inv
	ds_store_b64 v0, v[14:15]
	ds_store_b64 v5, v[24:25]
	;; [unrolled: 1-line block ×3, first 2 shown]
	s_waitcnt lgkmcnt(0)
	s_barrier
	buffer_gl0_inv
	ds_load_2addr_b64 v[1:4], v40 offset1:1
	ds_load_b64 v[14:15], v40 offset:16
	s_waitcnt lgkmcnt(0)
	s_barrier
	buffer_gl0_inv
	ds_store_b64 v0, v[20:21]
	ds_store_b64 v5, v[18:19]
	ds_store_b64 v6, v[16:17]
	s_waitcnt lgkmcnt(0)
	s_barrier
	buffer_gl0_inv
	ds_load_2addr_b64 v[5:8], v40 offset1:1
	ds_load_b64 v[16:17], v40 offset:16
	s_add_i32 s11, s11, 1
	s_delay_alu instid0(SALU_CYCLE_1)
	s_cmp_eq_u32 s11, 10
	v_xor_b32_e32 v2, 0x80000000, v2
	v_xor_b32_e32 v4, 0x80000000, v4
	;; [unrolled: 1-line block ×3, first 2 shown]
	s_cbranch_scc1 .LBB131_18
.LBB131_2:                              ; =>This Loop Header: Depth=1
                                        ;     Child Loop BB131_4 Depth 2
	s_delay_alu instid0(VALU_DEP_3) | instskip(NEXT) | instid1(VALU_DEP_3)
	v_xor_b32_e32 v2, 0x80000000, v2
	v_xor_b32_e32 v4, 0x80000000, v4
	s_delay_alu instid0(VALU_DEP_3)
	v_xor_b32_e32 v15, 0x80000000, v15
	s_mov_b64 s[14:15], 0
	ds_store_2addr_b64 v36, v[1:2], v[3:4] offset1:1
	ds_store_b64 v36, v[14:15] offset:16
	; wave barrier
	ds_load_2addr_b64 v[0:3], v37 offset1:32
	ds_load_b64 v[26:27], v37 offset:512
	; wave barrier
	s_waitcnt lgkmcnt(5)
	ds_store_2addr_b64 v36, v[5:6], v[7:8] offset1:1
	s_waitcnt lgkmcnt(5)
	ds_store_b64 v36, v[16:17] offset:16
	; wave barrier
	ds_load_2addr_b64 v[4:7], v37 offset1:32
	ds_load_b64 v[28:29], v37 offset:512
	s_waitcnt lgkmcnt(0)
	s_barrier
	s_branch .LBB131_4
.LBB131_3:                              ;   in Loop: Header=BB131_4 Depth=2
	v_lshlrev_b32_e32 v4, 3, v44
	v_lshlrev_b32_e32 v5, 3, v43
	s_delay_alu instid0(VALU_DEP_3)
	v_lshlrev_b32_e32 v6, 3, v8
	s_barrier
	buffer_gl0_inv
	ds_store_b64 v4, v[14:15]
	ds_store_b64 v5, v[24:25]
	;; [unrolled: 1-line block ×3, first 2 shown]
	s_waitcnt lgkmcnt(0)
	s_barrier
	buffer_gl0_inv
	ds_load_2addr_b64 v[0:3], v38 offset1:32
	ds_load_b64 v[26:27], v38 offset:512
	s_waitcnt lgkmcnt(0)
	s_barrier
	buffer_gl0_inv
	ds_store_b64 v4, v[20:21]
	ds_store_b64 v5, v[18:19]
	;; [unrolled: 1-line block ×3, first 2 shown]
	s_waitcnt lgkmcnt(0)
	s_barrier
	buffer_gl0_inv
	ds_load_2addr_b64 v[4:7], v38 offset1:32
	ds_load_b64 v[28:29], v38 offset:512
	s_add_u32 s14, s14, 8
	s_addc_u32 s15, s15, 0
	s_waitcnt lgkmcnt(0)
	s_barrier
	s_cbranch_execz .LBB131_1
.LBB131_4:                              ;   Parent Loop BB131_2 Depth=1
                                        ; =>  This Inner Loop Header: Depth=2
	v_dual_mov_b32 v15, v1 :: v_dual_mov_b32 v14, v0
	buffer_gl0_inv
	ds_store_2addr_b64 v30, v[12:13], v[10:11] offset0:5 offset1:6
	ds_store_2addr_b64 v31, v[12:13], v[10:11] offset0:2 offset1:3
	s_waitcnt lgkmcnt(0)
	s_barrier
	v_lshrrev_b64 v[41:42], s14, v[14:15]
	buffer_gl0_inv
	; wave barrier
	v_dual_mov_b32 v22, v26 :: v_dual_mov_b32 v25, v3
	v_dual_mov_b32 v23, v27 :: v_dual_and_b32 v0, 1, v41
	v_lshlrev_b32_e32 v1, 30, v41
	v_lshlrev_b32_e32 v8, 29, v41
	;; [unrolled: 1-line block ×3, first 2 shown]
	s_delay_alu instid0(VALU_DEP_4) | instskip(NEXT) | instid1(VALU_DEP_1)
	v_add_co_u32 v0, s10, v0, -1
	v_cndmask_b32_e64 v17, 0, 1, s10
	v_not_b32_e32 v21, v1
	v_cmp_gt_i32_e64 s10, 0, v1
	v_not_b32_e32 v1, v8
	v_lshlrev_b32_e32 v18, 27, v41
	v_cmp_ne_u32_e32 vcc_lo, 0, v17
	v_ashrrev_i32_e32 v21, 31, v21
	v_dual_mov_b32 v24, v2 :: v_dual_lshlrev_b32 v19, 26, v41
	v_ashrrev_i32_e32 v1, 31, v1
	v_xor_b32_e32 v0, vcc_lo, v0
	v_cmp_gt_i32_e32 vcc_lo, 0, v8
	v_not_b32_e32 v8, v16
	v_xor_b32_e32 v21, s10, v21
	v_cmp_gt_i32_e64 s10, 0, v16
	v_and_b32_e32 v0, exec_lo, v0
	v_not_b32_e32 v16, v18
	v_ashrrev_i32_e32 v8, 31, v8
	v_xor_b32_e32 v1, vcc_lo, v1
	v_cmp_gt_i32_e32 vcc_lo, 0, v18
	v_and_b32_e32 v0, v0, v21
	v_not_b32_e32 v18, v19
	v_ashrrev_i32_e32 v16, 31, v16
	v_xor_b32_e32 v8, s10, v8
	v_cmp_gt_i32_e64 s10, 0, v19
	v_and_b32_e32 v0, v0, v1
	v_ashrrev_i32_e32 v18, 31, v18
	v_xor_b32_e32 v16, vcc_lo, v16
	v_lshlrev_b32_e32 v20, 25, v41
	v_lshlrev_b32_e32 v17, 24, v41
	v_and_b32_e32 v0, v0, v8
	v_xor_b32_e32 v18, s10, v18
	s_delay_alu instid0(VALU_DEP_2) | instskip(NEXT) | instid1(VALU_DEP_1)
	v_and_b32_e32 v0, v0, v16
	v_dual_mov_b32 v19, v7 :: v_dual_and_b32 v0, v0, v18
	v_mov_b32_e32 v18, v6
	v_not_b32_e32 v1, v20
	v_cmp_gt_i32_e32 vcc_lo, 0, v20
	v_not_b32_e32 v8, v17
	v_cmp_gt_i32_e64 s10, 0, v17
	v_mov_b32_e32 v16, v28
	v_ashrrev_i32_e32 v1, 31, v1
	v_mov_b32_e32 v21, v5
	v_ashrrev_i32_e32 v8, 31, v8
	v_dual_mov_b32 v17, v29 :: v_dual_mov_b32 v20, v4
	s_delay_alu instid0(VALU_DEP_4) | instskip(NEXT) | instid1(VALU_DEP_3)
	v_xor_b32_e32 v1, vcc_lo, v1
	v_xor_b32_e32 v8, s10, v8
	s_delay_alu instid0(VALU_DEP_2) | instskip(SKIP_1) | instid1(VALU_DEP_2)
	v_and_b32_e32 v0, v0, v1
	v_and_b32_e32 v1, 0xff, v41
	;; [unrolled: 1-line block ×3, first 2 shown]
	s_delay_alu instid0(VALU_DEP_2) | instskip(NEXT) | instid1(VALU_DEP_2)
	v_mad_u32_u24 v1, v1, 10, v39
	v_mbcnt_lo_u32_b32 v8, v0, 0
	v_cmp_ne_u32_e64 s10, 0, v0
	s_delay_alu instid0(VALU_DEP_3) | instskip(NEXT) | instid1(VALU_DEP_3)
	v_lshl_add_u32 v26, v1, 2, 40
	v_cmp_eq_u32_e32 vcc_lo, 0, v8
	s_delay_alu instid0(VALU_DEP_3) | instskip(NEXT) | instid1(SALU_CYCLE_1)
	s_and_b32 s16, s10, vcc_lo
	s_and_saveexec_b32 s10, s16
	s_cbranch_execz .LBB131_6
; %bb.5:                                ;   in Loop: Header=BB131_4 Depth=2
	v_bcnt_u32_b32 v0, v0, 0
	ds_store_b32 v26, v0
.LBB131_6:                              ;   in Loop: Header=BB131_4 Depth=2
	s_or_b32 exec_lo, exec_lo, s10
	v_lshrrev_b64 v[0:1], s14, v[24:25]
	; wave barrier
	s_delay_alu instid0(VALU_DEP_1)
	v_and_b32_e32 v2, 1, v0
	v_lshlrev_b32_e32 v3, 30, v0
	v_lshlrev_b32_e32 v4, 29, v0
	;; [unrolled: 1-line block ×4, first 2 shown]
	v_add_co_u32 v2, s10, v2, -1
	s_delay_alu instid0(VALU_DEP_1)
	v_cndmask_b32_e64 v6, 0, 1, s10
	v_not_b32_e32 v29, v3
	v_cmp_gt_i32_e64 s10, 0, v3
	v_not_b32_e32 v3, v4
	v_lshlrev_b32_e32 v27, 26, v0
	v_cmp_ne_u32_e32 vcc_lo, 0, v6
	v_ashrrev_i32_e32 v6, 31, v29
	v_lshlrev_b32_e32 v28, 25, v0
	v_ashrrev_i32_e32 v3, 31, v3
	v_and_b32_e32 v1, 0xff, v0
	v_xor_b32_e32 v2, vcc_lo, v2
	v_cmp_gt_i32_e32 vcc_lo, 0, v4
	v_not_b32_e32 v4, v5
	v_xor_b32_e32 v6, s10, v6
	v_cmp_gt_i32_e64 s10, 0, v5
	v_and_b32_e32 v2, exec_lo, v2
	v_not_b32_e32 v5, v7
	v_ashrrev_i32_e32 v4, 31, v4
	v_xor_b32_e32 v3, vcc_lo, v3
	v_cmp_gt_i32_e32 vcc_lo, 0, v7
	v_and_b32_e32 v2, v2, v6
	v_not_b32_e32 v6, v27
	v_ashrrev_i32_e32 v5, 31, v5
	v_xor_b32_e32 v4, s10, v4
	v_lshlrev_b32_e32 v0, 24, v0
	v_and_b32_e32 v2, v2, v3
	v_cmp_gt_i32_e64 s10, 0, v27
	v_not_b32_e32 v3, v28
	v_ashrrev_i32_e32 v6, 31, v6
	v_xor_b32_e32 v5, vcc_lo, v5
	v_and_b32_e32 v2, v2, v4
	v_cmp_gt_i32_e32 vcc_lo, 0, v28
	v_not_b32_e32 v4, v0
	v_ashrrev_i32_e32 v3, 31, v3
	v_xor_b32_e32 v6, s10, v6
	v_and_b32_e32 v2, v2, v5
	v_mul_u32_u24_e32 v1, 10, v1
	v_cmp_gt_i32_e64 s10, 0, v0
	v_ashrrev_i32_e32 v0, 31, v4
	v_xor_b32_e32 v3, vcc_lo, v3
	v_and_b32_e32 v2, v2, v6
	v_add_lshl_u32 v1, v1, v39, 2
	s_delay_alu instid0(VALU_DEP_4) | instskip(NEXT) | instid1(VALU_DEP_3)
	v_xor_b32_e32 v0, s10, v0
	v_and_b32_e32 v2, v2, v3
	ds_load_b32 v27, v1 offset:40
	v_add_nc_u32_e32 v29, 40, v1
	; wave barrier
	v_and_b32_e32 v0, v2, v0
	s_delay_alu instid0(VALU_DEP_1) | instskip(SKIP_1) | instid1(VALU_DEP_2)
	v_mbcnt_lo_u32_b32 v28, v0, 0
	v_cmp_ne_u32_e64 s10, 0, v0
	v_cmp_eq_u32_e32 vcc_lo, 0, v28
	s_delay_alu instid0(VALU_DEP_2) | instskip(NEXT) | instid1(SALU_CYCLE_1)
	s_and_b32 s16, s10, vcc_lo
	s_and_saveexec_b32 s10, s16
	s_cbranch_execz .LBB131_8
; %bb.7:                                ;   in Loop: Header=BB131_4 Depth=2
	s_waitcnt lgkmcnt(0)
	v_bcnt_u32_b32 v0, v0, v27
	ds_store_b32 v29, v0
.LBB131_8:                              ;   in Loop: Header=BB131_4 Depth=2
	s_or_b32 exec_lo, exec_lo, s10
	v_lshrrev_b64 v[0:1], s14, v[22:23]
	; wave barrier
	s_delay_alu instid0(VALU_DEP_1)
	v_and_b32_e32 v2, 1, v0
	v_lshlrev_b32_e32 v3, 30, v0
	v_lshlrev_b32_e32 v4, 29, v0
	;; [unrolled: 1-line block ×4, first 2 shown]
	v_add_co_u32 v2, s10, v2, -1
	s_delay_alu instid0(VALU_DEP_1)
	v_cndmask_b32_e64 v6, 0, 1, s10
	v_not_b32_e32 v43, v3
	v_cmp_gt_i32_e64 s10, 0, v3
	v_not_b32_e32 v3, v4
	v_lshlrev_b32_e32 v41, 26, v0
	v_cmp_ne_u32_e32 vcc_lo, 0, v6
	v_ashrrev_i32_e32 v6, 31, v43
	v_lshlrev_b32_e32 v42, 25, v0
	v_ashrrev_i32_e32 v3, 31, v3
	v_and_b32_e32 v1, 0xff, v0
	v_xor_b32_e32 v2, vcc_lo, v2
	v_cmp_gt_i32_e32 vcc_lo, 0, v4
	v_not_b32_e32 v4, v5
	v_xor_b32_e32 v6, s10, v6
	v_cmp_gt_i32_e64 s10, 0, v5
	v_and_b32_e32 v2, exec_lo, v2
	v_not_b32_e32 v5, v7
	v_ashrrev_i32_e32 v4, 31, v4
	v_xor_b32_e32 v3, vcc_lo, v3
	v_cmp_gt_i32_e32 vcc_lo, 0, v7
	v_and_b32_e32 v2, v2, v6
	v_not_b32_e32 v6, v41
	v_ashrrev_i32_e32 v5, 31, v5
	v_xor_b32_e32 v4, s10, v4
	v_lshlrev_b32_e32 v0, 24, v0
	v_and_b32_e32 v2, v2, v3
	v_cmp_gt_i32_e64 s10, 0, v41
	v_not_b32_e32 v3, v42
	v_ashrrev_i32_e32 v6, 31, v6
	v_xor_b32_e32 v5, vcc_lo, v5
	v_and_b32_e32 v2, v2, v4
	v_cmp_gt_i32_e32 vcc_lo, 0, v42
	v_not_b32_e32 v4, v0
	v_ashrrev_i32_e32 v3, 31, v3
	v_xor_b32_e32 v6, s10, v6
	v_and_b32_e32 v2, v2, v5
	v_mul_u32_u24_e32 v1, 10, v1
	v_cmp_gt_i32_e64 s10, 0, v0
	v_ashrrev_i32_e32 v0, 31, v4
	v_xor_b32_e32 v3, vcc_lo, v3
	v_and_b32_e32 v2, v2, v6
	v_add_lshl_u32 v1, v1, v39, 2
	s_delay_alu instid0(VALU_DEP_4) | instskip(NEXT) | instid1(VALU_DEP_3)
	v_xor_b32_e32 v0, s10, v0
	v_and_b32_e32 v2, v2, v3
	ds_load_b32 v41, v1 offset:40
	v_add_nc_u32_e32 v43, 40, v1
	; wave barrier
	v_and_b32_e32 v0, v2, v0
	s_delay_alu instid0(VALU_DEP_1) | instskip(SKIP_1) | instid1(VALU_DEP_2)
	v_mbcnt_lo_u32_b32 v42, v0, 0
	v_cmp_ne_u32_e64 s10, 0, v0
	v_cmp_eq_u32_e32 vcc_lo, 0, v42
	s_delay_alu instid0(VALU_DEP_2) | instskip(NEXT) | instid1(SALU_CYCLE_1)
	s_and_b32 s16, s10, vcc_lo
	s_and_saveexec_b32 s10, s16
	s_cbranch_execz .LBB131_10
; %bb.9:                                ;   in Loop: Header=BB131_4 Depth=2
	s_waitcnt lgkmcnt(0)
	v_bcnt_u32_b32 v0, v0, v41
	ds_store_b32 v43, v0
.LBB131_10:                             ;   in Loop: Header=BB131_4 Depth=2
	s_or_b32 exec_lo, exec_lo, s10
	; wave barrier
	s_waitcnt lgkmcnt(0)
	s_barrier
	buffer_gl0_inv
	ds_load_2addr_b64 v[4:7], v30 offset0:5 offset1:6
	ds_load_2addr_b64 v[0:3], v31 offset0:2 offset1:3
	s_waitcnt lgkmcnt(1)
	v_add_nc_u32_e32 v44, v5, v4
	s_delay_alu instid0(VALU_DEP_1) | instskip(SKIP_1) | instid1(VALU_DEP_1)
	v_add3_u32 v44, v44, v6, v7
	s_waitcnt lgkmcnt(0)
	v_add3_u32 v44, v44, v0, v1
	s_delay_alu instid0(VALU_DEP_1) | instskip(NEXT) | instid1(VALU_DEP_1)
	v_add3_u32 v3, v44, v2, v3
	v_mov_b32_dpp v44, v3 row_shr:1 row_mask:0xf bank_mask:0xf
	s_delay_alu instid0(VALU_DEP_1) | instskip(NEXT) | instid1(VALU_DEP_1)
	v_cndmask_b32_e64 v44, v44, 0, s1
	v_add_nc_u32_e32 v3, v44, v3
	s_delay_alu instid0(VALU_DEP_1) | instskip(NEXT) | instid1(VALU_DEP_1)
	v_mov_b32_dpp v44, v3 row_shr:2 row_mask:0xf bank_mask:0xf
	v_cndmask_b32_e64 v44, 0, v44, s2
	s_delay_alu instid0(VALU_DEP_1) | instskip(NEXT) | instid1(VALU_DEP_1)
	v_add_nc_u32_e32 v3, v3, v44
	v_mov_b32_dpp v44, v3 row_shr:4 row_mask:0xf bank_mask:0xf
	s_delay_alu instid0(VALU_DEP_1) | instskip(NEXT) | instid1(VALU_DEP_1)
	v_cndmask_b32_e64 v44, 0, v44, s3
	v_add_nc_u32_e32 v3, v3, v44
	s_delay_alu instid0(VALU_DEP_1) | instskip(NEXT) | instid1(VALU_DEP_1)
	v_mov_b32_dpp v44, v3 row_shr:8 row_mask:0xf bank_mask:0xf
	v_cndmask_b32_e64 v44, 0, v44, s4
	s_delay_alu instid0(VALU_DEP_1) | instskip(SKIP_3) | instid1(VALU_DEP_1)
	v_add_nc_u32_e32 v3, v3, v44
	ds_swizzle_b32 v44, v3 offset:swizzle(BROADCAST,32,15)
	s_waitcnt lgkmcnt(0)
	v_cndmask_b32_e64 v44, v44, 0, s5
	v_add_nc_u32_e32 v3, v3, v44
	s_and_saveexec_b32 s10, s9
	s_cbranch_execz .LBB131_12
; %bb.11:                               ;   in Loop: Header=BB131_4 Depth=2
	ds_store_b32 v33, v3
.LBB131_12:                             ;   in Loop: Header=BB131_4 Depth=2
	s_or_b32 exec_lo, exec_lo, s10
	s_waitcnt lgkmcnt(0)
	s_barrier
	buffer_gl0_inv
	s_and_saveexec_b32 s10, s6
	s_cbranch_execz .LBB131_14
; %bb.13:                               ;   in Loop: Header=BB131_4 Depth=2
	ds_load_b32 v44, v34
	s_waitcnt lgkmcnt(0)
	v_mov_b32_dpp v45, v44 row_shr:1 row_mask:0xf bank_mask:0xf
	s_delay_alu instid0(VALU_DEP_1) | instskip(NEXT) | instid1(VALU_DEP_1)
	v_cndmask_b32_e64 v45, v45, 0, s1
	v_add_nc_u32_e32 v44, v45, v44
	s_delay_alu instid0(VALU_DEP_1) | instskip(NEXT) | instid1(VALU_DEP_1)
	v_mov_b32_dpp v45, v44 row_shr:2 row_mask:0xf bank_mask:0xf
	v_cndmask_b32_e64 v45, 0, v45, s2
	s_delay_alu instid0(VALU_DEP_1) | instskip(NEXT) | instid1(VALU_DEP_1)
	v_add_nc_u32_e32 v44, v44, v45
	v_mov_b32_dpp v45, v44 row_shr:4 row_mask:0xf bank_mask:0xf
	s_delay_alu instid0(VALU_DEP_1) | instskip(NEXT) | instid1(VALU_DEP_1)
	v_cndmask_b32_e64 v45, 0, v45, s3
	v_add_nc_u32_e32 v44, v44, v45
	s_delay_alu instid0(VALU_DEP_1) | instskip(NEXT) | instid1(VALU_DEP_1)
	v_mov_b32_dpp v45, v44 row_shr:8 row_mask:0xf bank_mask:0xf
	v_cndmask_b32_e64 v45, 0, v45, s4
	s_delay_alu instid0(VALU_DEP_1)
	v_add_nc_u32_e32 v44, v44, v45
	ds_store_b32 v34, v44
.LBB131_14:                             ;   in Loop: Header=BB131_4 Depth=2
	s_or_b32 exec_lo, exec_lo, s10
	v_mov_b32_e32 v44, 0
	s_waitcnt lgkmcnt(0)
	s_barrier
	buffer_gl0_inv
	s_and_saveexec_b32 s10, s7
	s_cbranch_execz .LBB131_16
; %bb.15:                               ;   in Loop: Header=BB131_4 Depth=2
	ds_load_b32 v44, v35
.LBB131_16:                             ;   in Loop: Header=BB131_4 Depth=2
	s_or_b32 exec_lo, exec_lo, s10
	s_waitcnt lgkmcnt(0)
	v_add_nc_u32_e32 v3, v44, v3
	s_cmp_gt_u32 s14, 55
	ds_bpermute_b32 v3, v32, v3
	s_waitcnt lgkmcnt(0)
	v_cndmask_b32_e64 v3, v3, v44, s0
	s_delay_alu instid0(VALU_DEP_1) | instskip(NEXT) | instid1(VALU_DEP_1)
	v_cndmask_b32_e64 v3, v3, 0, s8
	v_add_nc_u32_e32 v4, v3, v4
	s_delay_alu instid0(VALU_DEP_1) | instskip(NEXT) | instid1(VALU_DEP_1)
	v_add_nc_u32_e32 v5, v4, v5
	v_add_nc_u32_e32 v6, v5, v6
	s_delay_alu instid0(VALU_DEP_1) | instskip(NEXT) | instid1(VALU_DEP_1)
	v_add_nc_u32_e32 v44, v6, v7
	;; [unrolled: 3-line block ×3, first 2 shown]
	v_add_nc_u32_e32 v1, v0, v2
	ds_store_2addr_b64 v30, v[3:4], v[5:6] offset0:5 offset1:6
	ds_store_2addr_b64 v31, v[44:45], v[0:1] offset0:2 offset1:3
	s_waitcnt lgkmcnt(0)
	s_barrier
	buffer_gl0_inv
	ds_load_b32 v0, v26
	ds_load_b32 v1, v29
	;; [unrolled: 1-line block ×3, first 2 shown]
	s_waitcnt lgkmcnt(2)
	v_add_nc_u32_e32 v44, v0, v8
	s_waitcnt lgkmcnt(1)
	v_add3_u32 v43, v28, v27, v1
	s_waitcnt lgkmcnt(0)
	v_add3_u32 v8, v42, v41, v2
	s_cbranch_scc0 .LBB131_3
; %bb.17:                               ;   in Loop: Header=BB131_2 Depth=1
                                        ; implicit-def: $vgpr26_vgpr27
                                        ; implicit-def: $vgpr2_vgpr3
                                        ; implicit-def: $vgpr28_vgpr29
                                        ; implicit-def: $vgpr6_vgpr7
                                        ; implicit-def: $sgpr14_sgpr15
	s_branch .LBB131_1
.LBB131_18:
	v_lshlrev_b32_e32 v9, 3, v9
	s_waitcnt lgkmcnt(1)
	v_add_co_u32 v0, vcc_lo, v1, v5
	v_add_co_ci_u32_e32 v1, vcc_lo, v2, v6, vcc_lo
	s_add_u32 s0, s18, s12
	v_add_co_u32 v2, vcc_lo, v3, v7
	s_addc_u32 s1, s19, s13
	v_add_co_u32 v6, s2, s0, v9
	v_add_co_ci_u32_e32 v3, vcc_lo, v4, v8, vcc_lo
	v_add_co_ci_u32_e64 v7, null, s1, 0, s2
	s_waitcnt lgkmcnt(0)
	v_add_co_u32 v4, vcc_lo, v14, v16
	v_add_co_ci_u32_e32 v5, vcc_lo, v15, v17, vcc_lo
	v_add_co_u32 v6, vcc_lo, 0x1000, v6
	v_add_co_ci_u32_e32 v7, vcc_lo, 0, v7, vcc_lo
	s_clause 0x2
	global_store_b64 v9, v[0:1], s[0:1]
	global_store_b64 v9, v[2:3], s[0:1] offset:2560
	global_store_b64 v[6:7], v[4:5], off offset:1024
	s_nop 0
	s_sendmsg sendmsg(MSG_DEALLOC_VGPRS)
	s_endpgm
	.section	.rodata,"a",@progbits
	.p2align	6, 0x0
	.amdhsa_kernel _Z17sort_pairs_kernelI22helper_blocked_blockedxLj320ELj3ELj10EEvPKT0_PS1_
		.amdhsa_group_segment_fixed_size 10288
		.amdhsa_private_segment_fixed_size 0
		.amdhsa_kernarg_size 272
		.amdhsa_user_sgpr_count 15
		.amdhsa_user_sgpr_dispatch_ptr 0
		.amdhsa_user_sgpr_queue_ptr 0
		.amdhsa_user_sgpr_kernarg_segment_ptr 1
		.amdhsa_user_sgpr_dispatch_id 0
		.amdhsa_user_sgpr_private_segment_size 0
		.amdhsa_wavefront_size32 1
		.amdhsa_uses_dynamic_stack 0
		.amdhsa_enable_private_segment 0
		.amdhsa_system_sgpr_workgroup_id_x 1
		.amdhsa_system_sgpr_workgroup_id_y 0
		.amdhsa_system_sgpr_workgroup_id_z 0
		.amdhsa_system_sgpr_workgroup_info 0
		.amdhsa_system_vgpr_workitem_id 2
		.amdhsa_next_free_vgpr 46
		.amdhsa_next_free_sgpr 20
		.amdhsa_reserve_vcc 1
		.amdhsa_float_round_mode_32 0
		.amdhsa_float_round_mode_16_64 0
		.amdhsa_float_denorm_mode_32 3
		.amdhsa_float_denorm_mode_16_64 3
		.amdhsa_dx10_clamp 1
		.amdhsa_ieee_mode 1
		.amdhsa_fp16_overflow 0
		.amdhsa_workgroup_processor_mode 1
		.amdhsa_memory_ordered 1
		.amdhsa_forward_progress 0
		.amdhsa_shared_vgpr_count 0
		.amdhsa_exception_fp_ieee_invalid_op 0
		.amdhsa_exception_fp_denorm_src 0
		.amdhsa_exception_fp_ieee_div_zero 0
		.amdhsa_exception_fp_ieee_overflow 0
		.amdhsa_exception_fp_ieee_underflow 0
		.amdhsa_exception_fp_ieee_inexact 0
		.amdhsa_exception_int_div_zero 0
	.end_amdhsa_kernel
	.section	.text._Z17sort_pairs_kernelI22helper_blocked_blockedxLj320ELj3ELj10EEvPKT0_PS1_,"axG",@progbits,_Z17sort_pairs_kernelI22helper_blocked_blockedxLj320ELj3ELj10EEvPKT0_PS1_,comdat
.Lfunc_end131:
	.size	_Z17sort_pairs_kernelI22helper_blocked_blockedxLj320ELj3ELj10EEvPKT0_PS1_, .Lfunc_end131-_Z17sort_pairs_kernelI22helper_blocked_blockedxLj320ELj3ELj10EEvPKT0_PS1_
                                        ; -- End function
	.section	.AMDGPU.csdata,"",@progbits
; Kernel info:
; codeLenInByte = 2760
; NumSgprs: 22
; NumVgprs: 46
; ScratchSize: 0
; MemoryBound: 0
; FloatMode: 240
; IeeeMode: 1
; LDSByteSize: 10288 bytes/workgroup (compile time only)
; SGPRBlocks: 2
; VGPRBlocks: 5
; NumSGPRsForWavesPerEU: 22
; NumVGPRsForWavesPerEU: 46
; Occupancy: 15
; WaveLimiterHint : 1
; COMPUTE_PGM_RSRC2:SCRATCH_EN: 0
; COMPUTE_PGM_RSRC2:USER_SGPR: 15
; COMPUTE_PGM_RSRC2:TRAP_HANDLER: 0
; COMPUTE_PGM_RSRC2:TGID_X_EN: 1
; COMPUTE_PGM_RSRC2:TGID_Y_EN: 0
; COMPUTE_PGM_RSRC2:TGID_Z_EN: 0
; COMPUTE_PGM_RSRC2:TIDIG_COMP_CNT: 2
	.section	.text._Z16sort_keys_kernelI22helper_blocked_blockedxLj320ELj4ELj10EEvPKT0_PS1_,"axG",@progbits,_Z16sort_keys_kernelI22helper_blocked_blockedxLj320ELj4ELj10EEvPKT0_PS1_,comdat
	.protected	_Z16sort_keys_kernelI22helper_blocked_blockedxLj320ELj4ELj10EEvPKT0_PS1_ ; -- Begin function _Z16sort_keys_kernelI22helper_blocked_blockedxLj320ELj4ELj10EEvPKT0_PS1_
	.globl	_Z16sort_keys_kernelI22helper_blocked_blockedxLj320ELj4ELj10EEvPKT0_PS1_
	.p2align	8
	.type	_Z16sort_keys_kernelI22helper_blocked_blockedxLj320ELj4ELj10EEvPKT0_PS1_,@function
_Z16sort_keys_kernelI22helper_blocked_blockedxLj320ELj4ELj10EEvPKT0_PS1_: ; @_Z16sort_keys_kernelI22helper_blocked_blockedxLj320ELj4ELj10EEvPKT0_PS1_
; %bb.0:
	s_clause 0x1
	s_load_b128 s[16:19], s[0:1], 0x0
	s_load_b32 s3, s[0:1], 0x1c
	s_mov_b32 s21, 0
	s_mul_i32 s20, s15, 0x500
	v_mbcnt_lo_u32_b32 v12, -1, 0
	s_lshl_b64 s[14:15], s[20:21], 3
	s_mov_b32 s20, s21
	v_and_b32_e32 v9, 0x3ff, v0
	v_bfe_u32 v11, v0, 10, 10
	v_add_nc_u32_e32 v13, -1, v12
	v_bfe_u32 v0, v0, 20, 10
	v_and_b32_e32 v10, 3, v12
	v_lshlrev_b32_e32 v1, 3, v9
	v_cmp_eq_u32_e64 s11, 0, v12
	s_waitcnt lgkmcnt(0)
	s_add_u32 s0, s16, s14
	s_addc_u32 s1, s17, s15
	v_add_co_u32 v2, s2, s0, v1
	s_delay_alu instid0(VALU_DEP_1) | instskip(SKIP_1) | instid1(VALU_DEP_2)
	v_add_co_ci_u32_e64 v4, null, s1, 0, s2
	s_lshr_b32 s2, s3, 16
	v_add_co_u32 v3, vcc_lo, 0x1000, v2
	s_delay_alu instid0(VALU_DEP_2)
	v_add_co_ci_u32_e32 v4, vcc_lo, 0, v4, vcc_lo
	v_mad_u32_u24 v0, v0, s2, v11
	s_clause 0x3
	global_load_b64 v[5:6], v1, s[0:1]
	global_load_b64 v[7:8], v1, s[0:1] offset:2560
	global_load_b64 v[1:2], v[3:4], off offset:1024
	global_load_b64 v[3:4], v[3:4], off offset:3584
	s_and_b32 s3, s3, 0xffff
	v_cmp_eq_u32_e64 s0, 3, v10
	v_cmp_eq_u32_e64 s1, 2, v10
	;; [unrolled: 1-line block ×3, first 2 shown]
	v_mad_u64_u32 v[10:11], null, v0, s3, v[9:10]
	v_and_b32_e32 v0, 0x1e0, v9
	v_cmp_gt_i32_e32 vcc_lo, 0, v13
	s_mov_b32 s16, s21
	s_mov_b32 s17, s21
	v_and_b32_e32 v11, 15, v12
	v_min_u32_e32 v0, 0x120, v0
	v_lshrrev_b32_e32 v28, 5, v10
	v_and_b32_e32 v10, 16, v12
	v_and_b32_e32 v22, 28, v12
	v_cmp_eq_u32_e64 s3, 0, v11
	v_or_b32_e32 v0, 31, v0
	v_cmp_lt_u32_e64 s4, 1, v11
	v_cmp_lt_u32_e64 s5, 3, v11
	v_cmp_lt_u32_e64 s6, 7, v11
	v_lshlrev_b32_e32 v11, 2, v9
	v_cmp_eq_u32_e64 s8, v0, v9
	v_cndmask_b32_e32 v0, v13, v12, vcc_lo
	v_cmp_eq_u32_e64 s7, 0, v10
	v_lshrrev_b32_e32 v10, 3, v9
	s_delay_alu instid0(VALU_DEP_3) | instskip(SKIP_1) | instid1(VALU_DEP_3)
	v_lshlrev_b32_e32 v29, 2, v0
	v_and_b32_e32 v0, 0x780, v11
	v_and_b32_e32 v30, 60, v10
	s_delay_alu instid0(VALU_DEP_2)
	v_or_b32_e32 v10, 32, v0
	v_or_b32_e32 v11, 64, v0
	;; [unrolled: 1-line block ×4, first 2 shown]
	v_lshrrev_b32_e32 v0, 5, v0
	v_lshrrev_b32_e32 v10, 5, v10
	;; [unrolled: 1-line block ×4, first 2 shown]
	v_add_nc_u32_e32 v31, -4, v30
	v_add_lshl_u32 v32, v0, v12, 3
	v_add_lshl_u32 v33, v10, v12, 3
	v_add_lshl_u32 v34, v11, v12, 3
	v_mov_b32_e32 v10, s20
	v_lshlrev_b32_e32 v24, 5, v9
	v_mul_i32_i24_e32 v14, 0xffffffe4, v9
	v_and_b32_e32 v15, 0x1f8, v9
	v_add_lshl_u32 v35, v13, v12, 3
	v_dual_mov_b32 v12, s16 :: v_dual_mov_b32 v13, s17
	v_or_b32_e32 v23, 32, v22
	v_or_b32_e32 v25, 64, v22
	v_or_b32_e32 v26, 0x60, v22
	v_add_nc_u32_e32 v27, 40, v24
	v_cmp_gt_u32_e64 s9, 10, v9
	v_cmp_lt_u32_e64 s10, 31, v9
	v_cmp_eq_u32_e64 s12, 0, v9
	v_dual_mov_b32 v11, s21 :: v_dual_add_nc_u32 v36, v24, v15
	v_add_nc_u32_e32 v37, v24, v14
	s_branch .LBB132_2
.LBB132_1:                              ;   in Loop: Header=BB132_2 Depth=1
	v_lshrrev_b32_e32 v0, 2, v8
	v_lshrrev_b32_e32 v1, 2, v38
	;; [unrolled: 1-line block ×4, first 2 shown]
	s_delay_alu instid0(VALU_DEP_4) | instskip(NEXT) | instid1(VALU_DEP_4)
	v_and_b32_e32 v0, 0x3ffffff8, v0
	v_and_b32_e32 v1, 0x3ffffff8, v1
	s_delay_alu instid0(VALU_DEP_4) | instskip(NEXT) | instid1(VALU_DEP_4)
	v_and_b32_e32 v2, 0x3ffffff8, v2
	v_and_b32_e32 v3, 0x3ffffff8, v3
	s_barrier
	v_lshl_add_u32 v0, v8, 3, v0
	v_lshl_add_u32 v1, v38, 3, v1
	;; [unrolled: 1-line block ×4, first 2 shown]
	buffer_gl0_inv
	ds_store_b64 v0, v[14:15]
	ds_store_b64 v1, v[20:21]
	;; [unrolled: 1-line block ×4, first 2 shown]
	s_waitcnt lgkmcnt(0)
	s_barrier
	buffer_gl0_inv
	ds_load_2addr_b64 v[5:8], v36 offset1:1
	ds_load_2addr_b64 v[1:4], v36 offset0:2 offset1:3
	s_add_i32 s21, s21, 1
	s_delay_alu instid0(SALU_CYCLE_1)
	s_cmp_eq_u32 s21, 10
	s_waitcnt lgkmcnt(1)
	v_xor_b32_e32 v6, 0x80000000, v6
	v_xor_b32_e32 v8, 0x80000000, v8
	s_waitcnt lgkmcnt(0)
	v_xor_b32_e32 v2, 0x80000000, v2
	v_xor_b32_e32 v4, 0x80000000, v4
	s_cbranch_scc1 .LBB132_20
.LBB132_2:                              ; =>This Loop Header: Depth=1
                                        ;     Child Loop BB132_4 Depth 2
	s_waitcnt vmcnt(3)
	v_xor_b32_e32 v0, 0x80000000, v6
	s_waitcnt vmcnt(2)
	v_xor_b32_e32 v6, 0x80000000, v8
	ds_bpermute_b32 v8, v22, v5
	ds_bpermute_b32 v14, v22, v7
	s_waitcnt vmcnt(1)
	v_xor_b32_e32 v2, 0x80000000, v2
	ds_bpermute_b32 v15, v22, v0
	ds_bpermute_b32 v16, v22, v6
	;; [unrolled: 1-line block ×6, first 2 shown]
	s_waitcnt vmcnt(0)
	v_xor_b32_e32 v4, 0x80000000, v4
	ds_bpermute_b32 v38, v23, v5
	ds_bpermute_b32 v39, v23, v7
	;; [unrolled: 1-line block ×11, first 2 shown]
	s_waitcnt lgkmcnt(17)
	v_cndmask_b32_e64 v8, v8, v14, s2
	ds_bpermute_b32 v14, v25, v6
	ds_bpermute_b32 v21, v22, v3
	s_waitcnt lgkmcnt(17)
	v_cndmask_b32_e64 v15, v15, v16, s2
	ds_bpermute_b32 v16, v26, v6
	s_waitcnt lgkmcnt(17)
	v_cndmask_b32_e64 v6, v8, v17, s1
	s_waitcnt lgkmcnt(15)
	v_cndmask_b32_e64 v8, v18, v19, s2
	ds_bpermute_b32 v17, v23, v3
	ds_bpermute_b32 v18, v25, v1
	;; [unrolled: 1-line block ×5, first 2 shown]
	s_waitcnt lgkmcnt(19)
	v_cndmask_b32_e64 v15, v15, v20, s1
	ds_bpermute_b32 v20, v23, v4
	ds_bpermute_b32 v46, v25, v3
	;; [unrolled: 1-line block ×5, first 2 shown]
	s_waitcnt lgkmcnt(22)
	v_cndmask_b32_e64 v3, v38, v39, s2
	s_waitcnt lgkmcnt(16)
	v_cndmask_b32_e64 v7, v15, v7, s0
	;; [unrolled: 2-line block ×3, first 2 shown]
	v_cndmask_b32_e64 v8, v41, v42, s2
	s_waitcnt lgkmcnt(12)
	v_cndmask_b32_e64 v14, v45, v14, s2
	v_cndmask_b32_e64 v3, v3, v40, s1
	;; [unrolled: 1-line block ×3, first 2 shown]
	s_waitcnt lgkmcnt(10)
	v_cndmask_b32_e64 v15, v0, v16, s2
	v_cndmask_b32_e64 v6, v6, v21, s0
	s_mov_b64 s[16:17], 0
	s_waitcnt lgkmcnt(9)
	v_cndmask_b32_e64 v0, v3, v17, s0
	s_waitcnt lgkmcnt(8)
	v_cndmask_b32_e64 v3, v8, v18, s1
	s_waitcnt lgkmcnt(7)
	v_cndmask_b32_e64 v8, v14, v19, s1
	s_waitcnt lgkmcnt(6)
	v_cndmask_b32_e64 v5, v5, v1, s1
	s_waitcnt lgkmcnt(5)
	v_cndmask_b32_e64 v14, v15, v2, s1
	s_waitcnt lgkmcnt(4)
	v_cndmask_b32_e64 v1, v4, v20, s0
	s_waitcnt lgkmcnt(3)
	v_cndmask_b32_e64 v2, v3, v46, s0
	s_waitcnt lgkmcnt(2)
	v_cndmask_b32_e64 v3, v8, v47, s0
	s_waitcnt lgkmcnt(1)
	v_cndmask_b32_e64 v4, v5, v48, s0
	s_waitcnt lgkmcnt(0)
	v_cndmask_b32_e64 v5, v14, v49, s0
	s_barrier
	s_branch .LBB132_4
.LBB132_3:                              ;   in Loop: Header=BB132_4 Depth=2
	v_lshrrev_b32_e32 v0, 2, v8
	v_lshrrev_b32_e32 v1, 2, v38
	;; [unrolled: 1-line block ×4, first 2 shown]
	s_delay_alu instid0(VALU_DEP_4) | instskip(NEXT) | instid1(VALU_DEP_4)
	v_and_b32_e32 v0, 0x3ffffff8, v0
	v_and_b32_e32 v1, 0x3ffffff8, v1
	s_delay_alu instid0(VALU_DEP_4) | instskip(NEXT) | instid1(VALU_DEP_4)
	v_and_b32_e32 v2, 0x3ffffff8, v2
	v_and_b32_e32 v3, 0x3ffffff8, v3
	s_barrier
	v_lshl_add_u32 v0, v8, 3, v0
	v_lshl_add_u32 v1, v38, 3, v1
	v_lshl_add_u32 v2, v39, 3, v2
	v_lshl_add_u32 v3, v40, 3, v3
	buffer_gl0_inv
	ds_store_b64 v0, v[14:15]
	ds_store_b64 v1, v[20:21]
	;; [unrolled: 1-line block ×4, first 2 shown]
	s_waitcnt lgkmcnt(0)
	s_barrier
	buffer_gl0_inv
	ds_load_b64 v[6:7], v32
	ds_load_b64 v[0:1], v33 offset:256
	ds_load_b64 v[2:3], v34 offset:512
	;; [unrolled: 1-line block ×3, first 2 shown]
	s_add_u32 s16, s16, 8
	s_addc_u32 s17, s17, 0
	s_waitcnt lgkmcnt(0)
	s_barrier
	s_cbranch_execz .LBB132_1
.LBB132_4:                              ;   Parent Loop BB132_2 Depth=1
                                        ; =>  This Inner Loop Header: Depth=2
	v_dual_mov_b32 v15, v7 :: v_dual_mov_b32 v14, v6
	buffer_gl0_inv
	ds_store_2addr_b64 v24, v[10:11], v[12:13] offset0:5 offset1:6
	ds_store_2addr_b64 v27, v[10:11], v[12:13] offset0:2 offset1:3
	s_waitcnt lgkmcnt(0)
	s_barrier
	v_lshrrev_b64 v[6:7], s16, v[14:15]
	buffer_gl0_inv
	; wave barrier
	v_and_b32_e32 v7, 1, v6
	v_lshlrev_b32_e32 v8, 30, v6
	v_lshlrev_b32_e32 v16, 29, v6
	;; [unrolled: 1-line block ×4, first 2 shown]
	v_add_co_u32 v7, s13, v7, -1
	s_delay_alu instid0(VALU_DEP_1)
	v_cndmask_b32_e64 v18, 0, 1, s13
	v_not_b32_e32 v38, v8
	v_cmp_gt_i32_e64 s13, 0, v8
	v_not_b32_e32 v8, v16
	v_lshlrev_b32_e32 v20, 26, v6
	v_cmp_ne_u32_e32 vcc_lo, 0, v18
	v_ashrrev_i32_e32 v38, 31, v38
	v_lshlrev_b32_e32 v21, 25, v6
	v_ashrrev_i32_e32 v8, 31, v8
	v_lshlrev_b32_e32 v18, 24, v6
	v_xor_b32_e32 v7, vcc_lo, v7
	v_cmp_gt_i32_e32 vcc_lo, 0, v16
	v_not_b32_e32 v16, v17
	v_xor_b32_e32 v38, s13, v38
	v_cmp_gt_i32_e64 s13, 0, v17
	v_and_b32_e32 v7, exec_lo, v7
	v_not_b32_e32 v17, v19
	v_ashrrev_i32_e32 v16, 31, v16
	v_xor_b32_e32 v8, vcc_lo, v8
	v_cmp_gt_i32_e32 vcc_lo, 0, v19
	v_and_b32_e32 v7, v7, v38
	v_not_b32_e32 v19, v20
	v_ashrrev_i32_e32 v17, 31, v17
	v_xor_b32_e32 v16, s13, v16
	v_cmp_gt_i32_e64 s13, 0, v20
	v_and_b32_e32 v7, v7, v8
	v_not_b32_e32 v8, v21
	v_ashrrev_i32_e32 v19, 31, v19
	v_xor_b32_e32 v17, vcc_lo, v17
	v_cmp_gt_i32_e32 vcc_lo, 0, v21
	v_mov_b32_e32 v21, v1
	v_and_b32_e32 v7, v7, v16
	v_not_b32_e32 v16, v18
	v_ashrrev_i32_e32 v8, 31, v8
	v_xor_b32_e32 v19, s13, v19
	v_cmp_gt_i32_e64 s13, 0, v18
	v_and_b32_e32 v7, v7, v17
	v_ashrrev_i32_e32 v16, 31, v16
	v_xor_b32_e32 v8, vcc_lo, v8
	v_mov_b32_e32 v20, v0
	v_and_b32_e32 v0, 0xff, v6
	v_and_b32_e32 v7, v7, v19
	v_xor_b32_e32 v18, s13, v16
	v_dual_mov_b32 v17, v5 :: v_dual_mov_b32 v16, v4
	s_delay_alu instid0(VALU_DEP_4) | instskip(NEXT) | instid1(VALU_DEP_4)
	v_mad_u32_u24 v0, v0, 10, v28
	v_and_b32_e32 v7, v7, v8
	s_delay_alu instid0(VALU_DEP_2) | instskip(NEXT) | instid1(VALU_DEP_2)
	v_lshl_add_u32 v38, v0, 2, 40
	v_and_b32_e32 v4, v7, v18
	v_dual_mov_b32 v19, v3 :: v_dual_mov_b32 v18, v2
	s_delay_alu instid0(VALU_DEP_2) | instskip(SKIP_1) | instid1(VALU_DEP_2)
	v_mbcnt_lo_u32_b32 v8, v4, 0
	v_cmp_ne_u32_e64 s13, 0, v4
	v_cmp_eq_u32_e32 vcc_lo, 0, v8
	s_delay_alu instid0(VALU_DEP_2) | instskip(NEXT) | instid1(SALU_CYCLE_1)
	s_and_b32 s20, s13, vcc_lo
	s_and_saveexec_b32 s13, s20
	s_cbranch_execz .LBB132_6
; %bb.5:                                ;   in Loop: Header=BB132_4 Depth=2
	v_bcnt_u32_b32 v0, v4, 0
	ds_store_b32 v38, v0
.LBB132_6:                              ;   in Loop: Header=BB132_4 Depth=2
	s_or_b32 exec_lo, exec_lo, s13
	v_lshrrev_b64 v[0:1], s16, v[20:21]
	; wave barrier
	s_delay_alu instid0(VALU_DEP_1)
	v_and_b32_e32 v2, 1, v0
	v_lshlrev_b32_e32 v3, 30, v0
	v_lshlrev_b32_e32 v4, 29, v0
	;; [unrolled: 1-line block ×4, first 2 shown]
	v_add_co_u32 v2, s13, v2, -1
	s_delay_alu instid0(VALU_DEP_1)
	v_cndmask_b32_e64 v6, 0, 1, s13
	v_not_b32_e32 v41, v3
	v_cmp_gt_i32_e64 s13, 0, v3
	v_not_b32_e32 v3, v4
	v_lshlrev_b32_e32 v39, 26, v0
	v_cmp_ne_u32_e32 vcc_lo, 0, v6
	v_ashrrev_i32_e32 v6, 31, v41
	v_lshlrev_b32_e32 v40, 25, v0
	v_ashrrev_i32_e32 v3, 31, v3
	v_and_b32_e32 v1, 0xff, v0
	v_xor_b32_e32 v2, vcc_lo, v2
	v_cmp_gt_i32_e32 vcc_lo, 0, v4
	v_not_b32_e32 v4, v5
	v_xor_b32_e32 v6, s13, v6
	v_cmp_gt_i32_e64 s13, 0, v5
	v_and_b32_e32 v2, exec_lo, v2
	v_not_b32_e32 v5, v7
	v_ashrrev_i32_e32 v4, 31, v4
	v_xor_b32_e32 v3, vcc_lo, v3
	v_cmp_gt_i32_e32 vcc_lo, 0, v7
	v_and_b32_e32 v2, v2, v6
	v_not_b32_e32 v6, v39
	v_ashrrev_i32_e32 v5, 31, v5
	v_xor_b32_e32 v4, s13, v4
	v_lshlrev_b32_e32 v0, 24, v0
	v_and_b32_e32 v2, v2, v3
	v_cmp_gt_i32_e64 s13, 0, v39
	v_not_b32_e32 v3, v40
	v_ashrrev_i32_e32 v6, 31, v6
	v_xor_b32_e32 v5, vcc_lo, v5
	v_and_b32_e32 v2, v2, v4
	v_cmp_gt_i32_e32 vcc_lo, 0, v40
	v_not_b32_e32 v4, v0
	v_ashrrev_i32_e32 v3, 31, v3
	v_xor_b32_e32 v6, s13, v6
	v_and_b32_e32 v2, v2, v5
	v_mul_u32_u24_e32 v1, 10, v1
	v_cmp_gt_i32_e64 s13, 0, v0
	v_ashrrev_i32_e32 v0, 31, v4
	v_xor_b32_e32 v3, vcc_lo, v3
	v_and_b32_e32 v2, v2, v6
	v_add_lshl_u32 v1, v1, v28, 2
	s_delay_alu instid0(VALU_DEP_4) | instskip(NEXT) | instid1(VALU_DEP_3)
	v_xor_b32_e32 v0, s13, v0
	v_and_b32_e32 v2, v2, v3
	ds_load_b32 v39, v1 offset:40
	v_add_nc_u32_e32 v41, 40, v1
	; wave barrier
	v_and_b32_e32 v0, v2, v0
	s_delay_alu instid0(VALU_DEP_1) | instskip(SKIP_1) | instid1(VALU_DEP_2)
	v_mbcnt_lo_u32_b32 v40, v0, 0
	v_cmp_ne_u32_e64 s13, 0, v0
	v_cmp_eq_u32_e32 vcc_lo, 0, v40
	s_delay_alu instid0(VALU_DEP_2) | instskip(NEXT) | instid1(SALU_CYCLE_1)
	s_and_b32 s20, s13, vcc_lo
	s_and_saveexec_b32 s13, s20
	s_cbranch_execz .LBB132_8
; %bb.7:                                ;   in Loop: Header=BB132_4 Depth=2
	s_waitcnt lgkmcnt(0)
	v_bcnt_u32_b32 v0, v0, v39
	ds_store_b32 v41, v0
.LBB132_8:                              ;   in Loop: Header=BB132_4 Depth=2
	s_or_b32 exec_lo, exec_lo, s13
	v_lshrrev_b64 v[0:1], s16, v[18:19]
	; wave barrier
	s_delay_alu instid0(VALU_DEP_1)
	v_and_b32_e32 v2, 1, v0
	v_lshlrev_b32_e32 v3, 30, v0
	v_lshlrev_b32_e32 v4, 29, v0
	;; [unrolled: 1-line block ×4, first 2 shown]
	v_add_co_u32 v2, s13, v2, -1
	s_delay_alu instid0(VALU_DEP_1)
	v_cndmask_b32_e64 v6, 0, 1, s13
	v_not_b32_e32 v44, v3
	v_cmp_gt_i32_e64 s13, 0, v3
	v_not_b32_e32 v3, v4
	v_lshlrev_b32_e32 v42, 26, v0
	v_cmp_ne_u32_e32 vcc_lo, 0, v6
	v_ashrrev_i32_e32 v6, 31, v44
	v_lshlrev_b32_e32 v43, 25, v0
	v_ashrrev_i32_e32 v3, 31, v3
	v_and_b32_e32 v1, 0xff, v0
	v_xor_b32_e32 v2, vcc_lo, v2
	v_cmp_gt_i32_e32 vcc_lo, 0, v4
	v_not_b32_e32 v4, v5
	v_xor_b32_e32 v6, s13, v6
	v_cmp_gt_i32_e64 s13, 0, v5
	v_and_b32_e32 v2, exec_lo, v2
	v_not_b32_e32 v5, v7
	v_ashrrev_i32_e32 v4, 31, v4
	v_xor_b32_e32 v3, vcc_lo, v3
	v_cmp_gt_i32_e32 vcc_lo, 0, v7
	v_and_b32_e32 v2, v2, v6
	v_not_b32_e32 v6, v42
	v_ashrrev_i32_e32 v5, 31, v5
	v_xor_b32_e32 v4, s13, v4
	v_lshlrev_b32_e32 v0, 24, v0
	v_and_b32_e32 v2, v2, v3
	v_cmp_gt_i32_e64 s13, 0, v42
	v_not_b32_e32 v3, v43
	v_ashrrev_i32_e32 v6, 31, v6
	v_xor_b32_e32 v5, vcc_lo, v5
	v_and_b32_e32 v2, v2, v4
	v_cmp_gt_i32_e32 vcc_lo, 0, v43
	v_not_b32_e32 v4, v0
	v_ashrrev_i32_e32 v3, 31, v3
	v_xor_b32_e32 v6, s13, v6
	v_and_b32_e32 v2, v2, v5
	v_mul_u32_u24_e32 v1, 10, v1
	v_cmp_gt_i32_e64 s13, 0, v0
	v_ashrrev_i32_e32 v0, 31, v4
	v_xor_b32_e32 v3, vcc_lo, v3
	v_and_b32_e32 v2, v2, v6
	v_add_lshl_u32 v1, v1, v28, 2
	s_delay_alu instid0(VALU_DEP_4) | instskip(NEXT) | instid1(VALU_DEP_3)
	v_xor_b32_e32 v0, s13, v0
	v_and_b32_e32 v2, v2, v3
	ds_load_b32 v42, v1 offset:40
	v_add_nc_u32_e32 v44, 40, v1
	; wave barrier
	v_and_b32_e32 v0, v2, v0
	s_delay_alu instid0(VALU_DEP_1) | instskip(SKIP_1) | instid1(VALU_DEP_2)
	v_mbcnt_lo_u32_b32 v43, v0, 0
	v_cmp_ne_u32_e64 s13, 0, v0
	v_cmp_eq_u32_e32 vcc_lo, 0, v43
	s_delay_alu instid0(VALU_DEP_2) | instskip(NEXT) | instid1(SALU_CYCLE_1)
	s_and_b32 s20, s13, vcc_lo
	s_and_saveexec_b32 s13, s20
	s_cbranch_execz .LBB132_10
; %bb.9:                                ;   in Loop: Header=BB132_4 Depth=2
	s_waitcnt lgkmcnt(0)
	v_bcnt_u32_b32 v0, v0, v42
	ds_store_b32 v44, v0
.LBB132_10:                             ;   in Loop: Header=BB132_4 Depth=2
	s_or_b32 exec_lo, exec_lo, s13
	v_lshrrev_b64 v[0:1], s16, v[16:17]
	; wave barrier
	s_delay_alu instid0(VALU_DEP_1)
	v_and_b32_e32 v2, 1, v0
	v_lshlrev_b32_e32 v3, 30, v0
	v_lshlrev_b32_e32 v4, 29, v0
	;; [unrolled: 1-line block ×4, first 2 shown]
	v_add_co_u32 v2, s13, v2, -1
	s_delay_alu instid0(VALU_DEP_1)
	v_cndmask_b32_e64 v6, 0, 1, s13
	v_not_b32_e32 v47, v3
	v_cmp_gt_i32_e64 s13, 0, v3
	v_not_b32_e32 v3, v4
	v_lshlrev_b32_e32 v45, 26, v0
	v_cmp_ne_u32_e32 vcc_lo, 0, v6
	v_ashrrev_i32_e32 v6, 31, v47
	v_lshlrev_b32_e32 v46, 25, v0
	v_ashrrev_i32_e32 v3, 31, v3
	v_and_b32_e32 v1, 0xff, v0
	v_xor_b32_e32 v2, vcc_lo, v2
	v_cmp_gt_i32_e32 vcc_lo, 0, v4
	v_not_b32_e32 v4, v5
	v_xor_b32_e32 v6, s13, v6
	v_cmp_gt_i32_e64 s13, 0, v5
	v_and_b32_e32 v2, exec_lo, v2
	v_not_b32_e32 v5, v7
	v_ashrrev_i32_e32 v4, 31, v4
	v_xor_b32_e32 v3, vcc_lo, v3
	v_cmp_gt_i32_e32 vcc_lo, 0, v7
	v_and_b32_e32 v2, v2, v6
	v_not_b32_e32 v6, v45
	v_ashrrev_i32_e32 v5, 31, v5
	v_xor_b32_e32 v4, s13, v4
	v_lshlrev_b32_e32 v0, 24, v0
	v_and_b32_e32 v2, v2, v3
	v_cmp_gt_i32_e64 s13, 0, v45
	v_not_b32_e32 v3, v46
	v_ashrrev_i32_e32 v6, 31, v6
	v_xor_b32_e32 v5, vcc_lo, v5
	v_and_b32_e32 v2, v2, v4
	v_cmp_gt_i32_e32 vcc_lo, 0, v46
	v_not_b32_e32 v4, v0
	v_ashrrev_i32_e32 v3, 31, v3
	v_xor_b32_e32 v6, s13, v6
	v_and_b32_e32 v2, v2, v5
	v_mul_u32_u24_e32 v1, 10, v1
	v_cmp_gt_i32_e64 s13, 0, v0
	v_ashrrev_i32_e32 v0, 31, v4
	v_xor_b32_e32 v3, vcc_lo, v3
	v_and_b32_e32 v2, v2, v6
	v_add_lshl_u32 v1, v1, v28, 2
	s_delay_alu instid0(VALU_DEP_4) | instskip(NEXT) | instid1(VALU_DEP_3)
	v_xor_b32_e32 v0, s13, v0
	v_and_b32_e32 v2, v2, v3
	ds_load_b32 v45, v1 offset:40
	v_add_nc_u32_e32 v47, 40, v1
	; wave barrier
	v_and_b32_e32 v0, v2, v0
	s_delay_alu instid0(VALU_DEP_1) | instskip(SKIP_1) | instid1(VALU_DEP_2)
	v_mbcnt_lo_u32_b32 v46, v0, 0
	v_cmp_ne_u32_e64 s13, 0, v0
	v_cmp_eq_u32_e32 vcc_lo, 0, v46
	s_delay_alu instid0(VALU_DEP_2) | instskip(NEXT) | instid1(SALU_CYCLE_1)
	s_and_b32 s20, s13, vcc_lo
	s_and_saveexec_b32 s13, s20
	s_cbranch_execz .LBB132_12
; %bb.11:                               ;   in Loop: Header=BB132_4 Depth=2
	s_waitcnt lgkmcnt(0)
	v_bcnt_u32_b32 v0, v0, v45
	ds_store_b32 v47, v0
.LBB132_12:                             ;   in Loop: Header=BB132_4 Depth=2
	s_or_b32 exec_lo, exec_lo, s13
	; wave barrier
	s_waitcnt lgkmcnt(0)
	s_barrier
	buffer_gl0_inv
	ds_load_2addr_b64 v[4:7], v24 offset0:5 offset1:6
	ds_load_2addr_b64 v[0:3], v27 offset0:2 offset1:3
	s_waitcnt lgkmcnt(1)
	v_add_nc_u32_e32 v48, v5, v4
	s_delay_alu instid0(VALU_DEP_1) | instskip(SKIP_1) | instid1(VALU_DEP_1)
	v_add3_u32 v48, v48, v6, v7
	s_waitcnt lgkmcnt(0)
	v_add3_u32 v48, v48, v0, v1
	s_delay_alu instid0(VALU_DEP_1) | instskip(NEXT) | instid1(VALU_DEP_1)
	v_add3_u32 v3, v48, v2, v3
	v_mov_b32_dpp v48, v3 row_shr:1 row_mask:0xf bank_mask:0xf
	s_delay_alu instid0(VALU_DEP_1) | instskip(NEXT) | instid1(VALU_DEP_1)
	v_cndmask_b32_e64 v48, v48, 0, s3
	v_add_nc_u32_e32 v3, v48, v3
	s_delay_alu instid0(VALU_DEP_1) | instskip(NEXT) | instid1(VALU_DEP_1)
	v_mov_b32_dpp v48, v3 row_shr:2 row_mask:0xf bank_mask:0xf
	v_cndmask_b32_e64 v48, 0, v48, s4
	s_delay_alu instid0(VALU_DEP_1) | instskip(NEXT) | instid1(VALU_DEP_1)
	v_add_nc_u32_e32 v3, v3, v48
	v_mov_b32_dpp v48, v3 row_shr:4 row_mask:0xf bank_mask:0xf
	s_delay_alu instid0(VALU_DEP_1) | instskip(NEXT) | instid1(VALU_DEP_1)
	v_cndmask_b32_e64 v48, 0, v48, s5
	v_add_nc_u32_e32 v3, v3, v48
	s_delay_alu instid0(VALU_DEP_1) | instskip(NEXT) | instid1(VALU_DEP_1)
	v_mov_b32_dpp v48, v3 row_shr:8 row_mask:0xf bank_mask:0xf
	v_cndmask_b32_e64 v48, 0, v48, s6
	s_delay_alu instid0(VALU_DEP_1) | instskip(SKIP_3) | instid1(VALU_DEP_1)
	v_add_nc_u32_e32 v3, v3, v48
	ds_swizzle_b32 v48, v3 offset:swizzle(BROADCAST,32,15)
	s_waitcnt lgkmcnt(0)
	v_cndmask_b32_e64 v48, v48, 0, s7
	v_add_nc_u32_e32 v3, v3, v48
	s_and_saveexec_b32 s13, s8
	s_cbranch_execz .LBB132_14
; %bb.13:                               ;   in Loop: Header=BB132_4 Depth=2
	ds_store_b32 v30, v3
.LBB132_14:                             ;   in Loop: Header=BB132_4 Depth=2
	s_or_b32 exec_lo, exec_lo, s13
	s_waitcnt lgkmcnt(0)
	s_barrier
	buffer_gl0_inv
	s_and_saveexec_b32 s13, s9
	s_cbranch_execz .LBB132_16
; %bb.15:                               ;   in Loop: Header=BB132_4 Depth=2
	ds_load_b32 v48, v37
	s_waitcnt lgkmcnt(0)
	v_mov_b32_dpp v49, v48 row_shr:1 row_mask:0xf bank_mask:0xf
	s_delay_alu instid0(VALU_DEP_1) | instskip(NEXT) | instid1(VALU_DEP_1)
	v_cndmask_b32_e64 v49, v49, 0, s3
	v_add_nc_u32_e32 v48, v49, v48
	s_delay_alu instid0(VALU_DEP_1) | instskip(NEXT) | instid1(VALU_DEP_1)
	v_mov_b32_dpp v49, v48 row_shr:2 row_mask:0xf bank_mask:0xf
	v_cndmask_b32_e64 v49, 0, v49, s4
	s_delay_alu instid0(VALU_DEP_1) | instskip(NEXT) | instid1(VALU_DEP_1)
	v_add_nc_u32_e32 v48, v48, v49
	v_mov_b32_dpp v49, v48 row_shr:4 row_mask:0xf bank_mask:0xf
	s_delay_alu instid0(VALU_DEP_1) | instskip(NEXT) | instid1(VALU_DEP_1)
	v_cndmask_b32_e64 v49, 0, v49, s5
	v_add_nc_u32_e32 v48, v48, v49
	s_delay_alu instid0(VALU_DEP_1) | instskip(NEXT) | instid1(VALU_DEP_1)
	v_mov_b32_dpp v49, v48 row_shr:8 row_mask:0xf bank_mask:0xf
	v_cndmask_b32_e64 v49, 0, v49, s6
	s_delay_alu instid0(VALU_DEP_1)
	v_add_nc_u32_e32 v48, v48, v49
	ds_store_b32 v37, v48
.LBB132_16:                             ;   in Loop: Header=BB132_4 Depth=2
	s_or_b32 exec_lo, exec_lo, s13
	v_mov_b32_e32 v48, 0
	s_waitcnt lgkmcnt(0)
	s_barrier
	buffer_gl0_inv
	s_and_saveexec_b32 s13, s10
	s_cbranch_execz .LBB132_18
; %bb.17:                               ;   in Loop: Header=BB132_4 Depth=2
	ds_load_b32 v48, v31
.LBB132_18:                             ;   in Loop: Header=BB132_4 Depth=2
	s_or_b32 exec_lo, exec_lo, s13
	s_waitcnt lgkmcnt(0)
	v_add_nc_u32_e32 v3, v48, v3
	s_cmp_gt_u32 s16, 55
	ds_bpermute_b32 v3, v29, v3
	s_waitcnt lgkmcnt(0)
	v_cndmask_b32_e64 v3, v3, v48, s11
	s_delay_alu instid0(VALU_DEP_1) | instskip(NEXT) | instid1(VALU_DEP_1)
	v_cndmask_b32_e64 v3, v3, 0, s12
	v_add_nc_u32_e32 v4, v3, v4
	s_delay_alu instid0(VALU_DEP_1) | instskip(NEXT) | instid1(VALU_DEP_1)
	v_add_nc_u32_e32 v5, v4, v5
	v_add_nc_u32_e32 v6, v5, v6
	s_delay_alu instid0(VALU_DEP_1) | instskip(NEXT) | instid1(VALU_DEP_1)
	v_add_nc_u32_e32 v48, v6, v7
	;; [unrolled: 3-line block ×3, first 2 shown]
	v_add_nc_u32_e32 v1, v0, v2
	ds_store_2addr_b64 v24, v[3:4], v[5:6] offset0:5 offset1:6
	ds_store_2addr_b64 v27, v[48:49], v[0:1] offset0:2 offset1:3
	s_waitcnt lgkmcnt(0)
	s_barrier
	buffer_gl0_inv
	ds_load_b32 v0, v38
	ds_load_b32 v1, v41
	;; [unrolled: 1-line block ×4, first 2 shown]
	s_waitcnt lgkmcnt(3)
	v_add_nc_u32_e32 v8, v0, v8
	s_waitcnt lgkmcnt(2)
	v_add3_u32 v38, v40, v39, v1
	s_waitcnt lgkmcnt(1)
	v_add3_u32 v39, v43, v42, v2
	;; [unrolled: 2-line block ×3, first 2 shown]
	s_cbranch_scc0 .LBB132_3
; %bb.19:                               ;   in Loop: Header=BB132_2 Depth=1
                                        ; implicit-def: $vgpr4_vgpr5
                                        ; implicit-def: $vgpr2_vgpr3
                                        ; implicit-def: $vgpr0_vgpr1
                                        ; implicit-def: $vgpr6_vgpr7
                                        ; implicit-def: $sgpr16_sgpr17
	s_branch .LBB132_1
.LBB132_20:
	v_lshlrev_b32_e32 v0, 3, v9
	s_add_u32 s0, s18, s14
	s_addc_u32 s1, s19, s15
	s_delay_alu instid0(VALU_DEP_1) | instskip(NEXT) | instid1(VALU_DEP_1)
	v_add_co_u32 v9, s2, s0, v0
	v_add_co_ci_u32_e64 v10, null, s1, 0, s2
	s_delay_alu instid0(VALU_DEP_2) | instskip(NEXT) | instid1(VALU_DEP_2)
	v_add_co_u32 v9, vcc_lo, 0x1000, v9
	v_add_co_ci_u32_e32 v10, vcc_lo, 0, v10, vcc_lo
	s_clause 0x3
	global_store_b64 v0, v[5:6], s[0:1]
	global_store_b64 v0, v[7:8], s[0:1] offset:2560
	global_store_b64 v[9:10], v[1:2], off offset:1024
	global_store_b64 v[9:10], v[3:4], off offset:3584
	s_nop 0
	s_sendmsg sendmsg(MSG_DEALLOC_VGPRS)
	s_endpgm
	.section	.rodata,"a",@progbits
	.p2align	6, 0x0
	.amdhsa_kernel _Z16sort_keys_kernelI22helper_blocked_blockedxLj320ELj4ELj10EEvPKT0_PS1_
		.amdhsa_group_segment_fixed_size 10560
		.amdhsa_private_segment_fixed_size 0
		.amdhsa_kernarg_size 272
		.amdhsa_user_sgpr_count 15
		.amdhsa_user_sgpr_dispatch_ptr 0
		.amdhsa_user_sgpr_queue_ptr 0
		.amdhsa_user_sgpr_kernarg_segment_ptr 1
		.amdhsa_user_sgpr_dispatch_id 0
		.amdhsa_user_sgpr_private_segment_size 0
		.amdhsa_wavefront_size32 1
		.amdhsa_uses_dynamic_stack 0
		.amdhsa_enable_private_segment 0
		.amdhsa_system_sgpr_workgroup_id_x 1
		.amdhsa_system_sgpr_workgroup_id_y 0
		.amdhsa_system_sgpr_workgroup_id_z 0
		.amdhsa_system_sgpr_workgroup_info 0
		.amdhsa_system_vgpr_workitem_id 2
		.amdhsa_next_free_vgpr 50
		.amdhsa_next_free_sgpr 22
		.amdhsa_reserve_vcc 1
		.amdhsa_float_round_mode_32 0
		.amdhsa_float_round_mode_16_64 0
		.amdhsa_float_denorm_mode_32 3
		.amdhsa_float_denorm_mode_16_64 3
		.amdhsa_dx10_clamp 1
		.amdhsa_ieee_mode 1
		.amdhsa_fp16_overflow 0
		.amdhsa_workgroup_processor_mode 1
		.amdhsa_memory_ordered 1
		.amdhsa_forward_progress 0
		.amdhsa_shared_vgpr_count 0
		.amdhsa_exception_fp_ieee_invalid_op 0
		.amdhsa_exception_fp_denorm_src 0
		.amdhsa_exception_fp_ieee_div_zero 0
		.amdhsa_exception_fp_ieee_overflow 0
		.amdhsa_exception_fp_ieee_underflow 0
		.amdhsa_exception_fp_ieee_inexact 0
		.amdhsa_exception_int_div_zero 0
	.end_amdhsa_kernel
	.section	.text._Z16sort_keys_kernelI22helper_blocked_blockedxLj320ELj4ELj10EEvPKT0_PS1_,"axG",@progbits,_Z16sort_keys_kernelI22helper_blocked_blockedxLj320ELj4ELj10EEvPKT0_PS1_,comdat
.Lfunc_end132:
	.size	_Z16sort_keys_kernelI22helper_blocked_blockedxLj320ELj4ELj10EEvPKT0_PS1_, .Lfunc_end132-_Z16sort_keys_kernelI22helper_blocked_blockedxLj320ELj4ELj10EEvPKT0_PS1_
                                        ; -- End function
	.section	.AMDGPU.csdata,"",@progbits
; Kernel info:
; codeLenInByte = 3640
; NumSgprs: 24
; NumVgprs: 50
; ScratchSize: 0
; MemoryBound: 0
; FloatMode: 240
; IeeeMode: 1
; LDSByteSize: 10560 bytes/workgroup (compile time only)
; SGPRBlocks: 2
; VGPRBlocks: 6
; NumSGPRsForWavesPerEU: 24
; NumVGPRsForWavesPerEU: 50
; Occupancy: 15
; WaveLimiterHint : 1
; COMPUTE_PGM_RSRC2:SCRATCH_EN: 0
; COMPUTE_PGM_RSRC2:USER_SGPR: 15
; COMPUTE_PGM_RSRC2:TRAP_HANDLER: 0
; COMPUTE_PGM_RSRC2:TGID_X_EN: 1
; COMPUTE_PGM_RSRC2:TGID_Y_EN: 0
; COMPUTE_PGM_RSRC2:TGID_Z_EN: 0
; COMPUTE_PGM_RSRC2:TIDIG_COMP_CNT: 2
	.section	.text._Z17sort_pairs_kernelI22helper_blocked_blockedxLj320ELj4ELj10EEvPKT0_PS1_,"axG",@progbits,_Z17sort_pairs_kernelI22helper_blocked_blockedxLj320ELj4ELj10EEvPKT0_PS1_,comdat
	.protected	_Z17sort_pairs_kernelI22helper_blocked_blockedxLj320ELj4ELj10EEvPKT0_PS1_ ; -- Begin function _Z17sort_pairs_kernelI22helper_blocked_blockedxLj320ELj4ELj10EEvPKT0_PS1_
	.globl	_Z17sort_pairs_kernelI22helper_blocked_blockedxLj320ELj4ELj10EEvPKT0_PS1_
	.p2align	8
	.type	_Z17sort_pairs_kernelI22helper_blocked_blockedxLj320ELj4ELj10EEvPKT0_PS1_,@function
_Z17sort_pairs_kernelI22helper_blocked_blockedxLj320ELj4ELj10EEvPKT0_PS1_: ; @_Z17sort_pairs_kernelI22helper_blocked_blockedxLj320ELj4ELj10EEvPKT0_PS1_
; %bb.0:
	s_clause 0x1
	s_load_b128 s[16:19], s[0:1], 0x0
	s_load_b32 s12, s[0:1], 0x1c
	v_mbcnt_lo_u32_b32 v9, -1, 0
	s_mov_b32 s21, 0
	s_mul_i32 s20, s15, 0x500
	v_bfe_u32 v11, v0, 10, 10
	s_lshl_b64 s[14:15], s[20:21], 3
	v_add_nc_u32_e32 v14, -1, v9
	v_and_b32_e32 v17, 0x3ff, v0
	v_and_b32_e32 v12, 15, v9
	;; [unrolled: 1-line block ×4, first 2 shown]
	v_bfe_u32 v0, v0, 20, 10
	v_lshlrev_b32_e32 v1, 3, v17
	v_cmp_eq_u32_e64 s4, 0, v12
	v_cmp_lt_u32_e64 s5, 1, v12
	v_cmp_lt_u32_e64 s6, 3, v12
	;; [unrolled: 1-line block ×3, first 2 shown]
	v_cmp_eq_u32_e64 s8, 0, v13
	v_cmp_eq_u32_e64 s3, 1, v10
	s_waitcnt lgkmcnt(0)
	s_add_u32 s0, s16, s14
	s_addc_u32 s1, s17, s15
	v_add_co_u32 v2, s2, s0, v1
	s_delay_alu instid0(VALU_DEP_1)
	v_add_co_ci_u32_e64 v4, null, s1, 0, s2
	global_load_b64 v[5:6], v1, s[0:1]
	v_add_co_u32 v3, vcc_lo, 0x1000, v2
	v_add_co_ci_u32_e32 v4, vcc_lo, 0, v4, vcc_lo
	v_cmp_gt_i32_e32 vcc_lo, 0, v14
	v_cmp_eq_u32_e64 s2, 2, v10
	s_clause 0x2
	global_load_b64 v[7:8], v1, s[0:1] offset:2560
	global_load_b64 v[1:2], v[3:4], off offset:1024
	global_load_b64 v[3:4], v[3:4], off offset:3584
	v_cmp_eq_u32_e64 s1, 3, v10
	s_lshr_b32 s13, s12, 16
	v_cndmask_b32_e32 v12, v14, v9, vcc_lo
	v_lshrrev_b32_e32 v13, 3, v17
	v_lshlrev_b32_e32 v14, 2, v17
	v_and_b32_e32 v10, 0x1e0, v17
	v_and_b32_e32 v34, 28, v9
	v_cmp_eq_u32_e64 s0, 0, v9
	v_and_b32_e32 v40, 60, v13
	v_and_b32_e32 v13, 0x780, v14
	v_lshlrev_b32_e32 v38, 5, v17
	v_and_b32_e32 v15, 0x1f8, v17
	v_mul_i32_i24_e32 v18, 0xffffffe4, v17
	v_min_u32_e32 v10, 0x120, v10
	v_or_b32_e32 v14, v9, v13
	v_or_b32_e32 v9, 32, v13
	v_mad_u32_u24 v0, v0, s13, v11
	v_or_b32_e32 v16, 64, v13
	v_or_b32_e32 v11, 0x60, v13
	s_and_b32 s12, s12, 0xffff
	v_add_nc_u32_e32 v42, v38, v15
	v_lshrrev_b32_e32 v15, 5, v13
	v_lshrrev_b32_e32 v13, 5, v9
	v_lshlrev_b32_e32 v41, 2, v12
	v_or_b32_e32 v12, 31, v10
	v_mad_u64_u32 v[9:10], null, v0, s12, v[17:18]
	v_lshrrev_b32_e32 v0, 5, v16
	v_lshrrev_b32_e32 v10, 5, v11
	v_add_lshl_u32 v45, v13, v14, 3
	v_add_lshl_u32 v44, v15, v14, 3
	v_or_b32_e32 v35, 32, v34
	v_add_lshl_u32 v46, v0, v14, 3
	v_add_lshl_u32 v47, v10, v14, 3
	v_lshrrev_b32_e32 v48, 5, v9
	v_or_b32_e32 v36, 64, v34
	v_or_b32_e32 v37, 0x60, v34
	v_cmp_gt_u32_e64 s9, 10, v17
	v_cmp_lt_u32_e64 s10, 31, v17
	v_cmp_eq_u32_e64 s11, 0, v17
	v_add_nc_u32_e32 v39, 40, v38
	v_add_nc_u32_e32 v43, -4, v40
	v_cmp_eq_u32_e64 s12, v12, v17
	v_add_nc_u32_e32 v49, v38, v18
	s_mov_b32 s20, s21
	s_mov_b32 s16, s21
	;; [unrolled: 1-line block ×4, first 2 shown]
	s_waitcnt vmcnt(3)
	v_add_co_u32 v13, vcc_lo, v5, 1
	v_add_co_ci_u32_e32 v14, vcc_lo, 0, v6, vcc_lo
	s_waitcnt vmcnt(2)
	v_add_co_u32 v15, vcc_lo, v7, 1
	v_add_co_ci_u32_e32 v16, vcc_lo, 0, v8, vcc_lo
	;; [unrolled: 3-line block ×4, first 2 shown]
	s_branch .LBB133_2
.LBB133_1:                              ;   in Loop: Header=BB133_2 Depth=1
	v_lshrrev_b32_e32 v0, 2, v16
	v_lshrrev_b32_e32 v1, 2, v50
	;; [unrolled: 1-line block ×4, first 2 shown]
	s_delay_alu instid0(VALU_DEP_4) | instskip(NEXT) | instid1(VALU_DEP_4)
	v_and_b32_e32 v0, 0x3ffffff8, v0
	v_and_b32_e32 v1, 0x3ffffff8, v1
	s_delay_alu instid0(VALU_DEP_4) | instskip(NEXT) | instid1(VALU_DEP_4)
	v_and_b32_e32 v2, 0x3ffffff8, v2
	v_and_b32_e32 v3, 0x3ffffff8, v3
	s_barrier
	v_lshl_add_u32 v0, v16, 3, v0
	v_lshl_add_u32 v16, v50, 3, v1
	;; [unrolled: 1-line block ×4, first 2 shown]
	buffer_gl0_inv
	ds_store_b64 v0, v[8:9]
	ds_store_b64 v16, v[24:25]
	ds_store_b64 v26, v[22:23]
	ds_store_b64 v27, v[20:21]
	s_waitcnt lgkmcnt(0)
	s_barrier
	buffer_gl0_inv
	ds_load_2addr_b64 v[5:8], v42 offset1:1
	ds_load_2addr_b64 v[1:4], v42 offset0:2 offset1:3
	s_waitcnt lgkmcnt(0)
	s_barrier
	buffer_gl0_inv
	ds_store_b64 v0, v[14:15]
	ds_store_b64 v16, v[12:13]
	;; [unrolled: 1-line block ×4, first 2 shown]
	s_waitcnt lgkmcnt(0)
	s_barrier
	buffer_gl0_inv
	ds_load_2addr_b64 v[13:16], v42 offset1:1
	ds_load_2addr_b64 v[9:12], v42 offset0:2 offset1:3
	s_add_i32 s24, s24, 1
	s_delay_alu instid0(SALU_CYCLE_1)
	s_cmp_lg_u32 s24, 10
	v_xor_b32_e32 v6, 0x80000000, v6
	v_xor_b32_e32 v8, 0x80000000, v8
	;; [unrolled: 1-line block ×4, first 2 shown]
	s_cbranch_scc0 .LBB133_20
.LBB133_2:                              ; =>This Loop Header: Depth=1
                                        ;     Child Loop BB133_4 Depth 2
	v_xor_b32_e32 v0, 0x80000000, v6
	v_xor_b32_e32 v6, 0x80000000, v8
	ds_bpermute_b32 v8, v34, v5
	v_xor_b32_e32 v2, 0x80000000, v2
	ds_bpermute_b32 v18, v34, v7
	ds_bpermute_b32 v19, v34, v0
	;; [unrolled: 1-line block ×7, first 2 shown]
	v_xor_b32_e32 v4, 0x80000000, v4
	ds_bpermute_b32 v25, v35, v5
	ds_bpermute_b32 v26, v35, v7
	ds_bpermute_b32 v27, v34, v3
	ds_bpermute_b32 v28, v35, v2
	ds_bpermute_b32 v29, v34, v4
	ds_bpermute_b32 v30, v35, v1
	ds_bpermute_b32 v32, v36, v5
	ds_bpermute_b32 v33, v36, v7
	ds_bpermute_b32 v52, v36, v6
	ds_bpermute_b32 v5, v37, v5
	ds_bpermute_b32 v7, v37, v7
	ds_bpermute_b32 v31, v35, v3
	s_waitcnt lgkmcnt(18)
	v_cndmask_b32_e64 v8, v8, v18, s3
	ds_bpermute_b32 v50, v36, v1
	s_waitcnt lgkmcnt(17)
	v_cndmask_b32_e64 v19, v19, v20, s3
	ds_bpermute_b32 v20, v36, v0
	ds_bpermute_b32 v18, v35, v4
	s_waitcnt lgkmcnt(18)
	v_cndmask_b32_e64 v8, v8, v21, s2
	s_waitcnt lgkmcnt(15)
	v_cndmask_b32_e64 v21, v23, v24, s3
	v_cndmask_b32_e64 v19, v19, v22, s2
	ds_bpermute_b32 v22, v36, v2
	s_waitcnt lgkmcnt(14)
	v_cndmask_b32_e64 v23, v25, v26, s3
	s_waitcnt lgkmcnt(13)
	v_cndmask_b32_e64 v26, v8, v27, s1
	;; [unrolled: 2-line block ×4, first 2 shown]
	ds_bpermute_b32 v24, v37, v1
	ds_bpermute_b32 v25, v34, v13
	;; [unrolled: 1-line block ×9, first 2 shown]
	s_waitcnt lgkmcnt(17)
	v_cndmask_b32_e64 v0, v32, v33, s3
	ds_bpermute_b32 v32, v37, v3
	ds_bpermute_b32 v33, v34, v9
	;; [unrolled: 1-line block ×3, first 2 shown]
	v_cndmask_b32_e64 v1, v23, v30, s2
	s_waitcnt lgkmcnt(14)
	v_cndmask_b32_e64 v2, v20, v52, s3
	ds_bpermute_b32 v20, v35, v13
	ds_bpermute_b32 v23, v35, v15
	;; [unrolled: 1-line block ×3, first 2 shown]
	v_cndmask_b32_e64 v5, v5, v7, s3
	v_cndmask_b32_e64 v3, v0, v50, s2
	;; [unrolled: 1-line block ×3, first 2 shown]
	s_waitcnt lgkmcnt(15)
	v_cndmask_b32_e64 v22, v2, v22, s2
	v_cndmask_b32_e64 v1, v8, v18, s1
	s_waitcnt lgkmcnt(14)
	v_cndmask_b32_e64 v5, v5, v24, s2
	s_waitcnt lgkmcnt(11)
	;; [unrolled: 2-line block ×5, first 2 shown]
	v_cndmask_b32_e64 v3, v22, v19, s1
	ds_bpermute_b32 v18, v37, v4
	ds_bpermute_b32 v22, v35, v16
	s_waitcnt lgkmcnt(7)
	v_cndmask_b32_e64 v4, v5, v32, s1
	s_waitcnt lgkmcnt(6)
	v_cndmask_b32_e64 v19, v7, v33, s2
	;; [unrolled: 2-line block ×3, first 2 shown]
	ds_bpermute_b32 v8, v34, v11
	ds_bpermute_b32 v5, v35, v14
	;; [unrolled: 1-line block ×3, first 2 shown]
	s_waitcnt lgkmcnt(6)
	v_cndmask_b32_e64 v20, v20, v23, s3
	ds_bpermute_b32 v23, v35, v9
	ds_bpermute_b32 v28, v36, v14
	ds_bpermute_b32 v29, v36, v15
	ds_bpermute_b32 v30, v36, v16
	ds_bpermute_b32 v13, v37, v13
	ds_bpermute_b32 v14, v37, v14
	ds_bpermute_b32 v16, v37, v16
	ds_bpermute_b32 v15, v37, v15
	ds_bpermute_b32 v24, v35, v10
	ds_bpermute_b32 v32, v36, v10
	ds_bpermute_b32 v33, v36, v9
	ds_bpermute_b32 v10, v37, v10
	ds_bpermute_b32 v9, v37, v9
	s_waitcnt lgkmcnt(18)
	v_cndmask_b32_e64 v6, v21, v6, s3
	ds_bpermute_b32 v21, v34, v12
	ds_bpermute_b32 v31, v35, v12
	;; [unrolled: 1-line block ×7, first 2 shown]
	v_cndmask_b32_e64 v6, v6, v54, s2
	s_waitcnt lgkmcnt(21)
	v_cndmask_b32_e64 v22, v5, v22, s3
	s_mov_b64 s[22:23], 0
	s_waitcnt lgkmcnt(0)
	s_barrier
	v_cndmask_b32_e64 v5, v6, v18, s1
	v_cndmask_b32_e64 v6, v19, v8, s1
	;; [unrolled: 1-line block ×19, first 2 shown]
	s_branch .LBB133_4
.LBB133_3:                              ;   in Loop: Header=BB133_4 Depth=2
	v_lshrrev_b32_e32 v0, 2, v16
	v_lshrrev_b32_e32 v1, 2, v50
	;; [unrolled: 1-line block ×4, first 2 shown]
	s_delay_alu instid0(VALU_DEP_4) | instskip(NEXT) | instid1(VALU_DEP_4)
	v_and_b32_e32 v0, 0x3ffffff8, v0
	v_and_b32_e32 v1, 0x3ffffff8, v1
	s_delay_alu instid0(VALU_DEP_4) | instskip(NEXT) | instid1(VALU_DEP_4)
	v_and_b32_e32 v2, 0x3ffffff8, v2
	v_and_b32_e32 v3, 0x3ffffff8, v3
	s_barrier
	v_lshl_add_u32 v6, v16, 3, v0
	v_lshl_add_u32 v7, v50, 3, v1
	;; [unrolled: 1-line block ×4, first 2 shown]
	buffer_gl0_inv
	ds_store_b64 v6, v[8:9]
	ds_store_b64 v7, v[24:25]
	;; [unrolled: 1-line block ×4, first 2 shown]
	s_waitcnt lgkmcnt(0)
	s_barrier
	buffer_gl0_inv
	ds_load_b64 v[26:27], v44
	ds_load_b64 v[0:1], v45 offset:256
	ds_load_b64 v[2:3], v46 offset:512
	;; [unrolled: 1-line block ×3, first 2 shown]
	s_waitcnt lgkmcnt(0)
	s_barrier
	buffer_gl0_inv
	ds_store_b64 v6, v[14:15]
	ds_store_b64 v7, v[12:13]
	;; [unrolled: 1-line block ×4, first 2 shown]
	s_waitcnt lgkmcnt(0)
	s_barrier
	buffer_gl0_inv
	ds_load_b64 v[6:7], v44
	ds_load_b64 v[28:29], v45 offset:256
	ds_load_b64 v[32:33], v46 offset:512
	;; [unrolled: 1-line block ×3, first 2 shown]
	s_add_u32 s22, s22, 8
	s_addc_u32 s23, s23, 0
	s_waitcnt lgkmcnt(0)
	s_barrier
	s_cbranch_execz .LBB133_1
.LBB133_4:                              ;   Parent Loop BB133_2 Depth=1
                                        ; =>  This Inner Loop Header: Depth=2
	v_dual_mov_b32 v8, v26 :: v_dual_mov_b32 v9, v27
	buffer_gl0_inv
	v_mov_b32_e32 v21, v5
	v_mov_b32_e32 v23, v3
	v_mov_b32_e32 v25, v1
	v_lshrrev_b64 v[26:27], s22, v[8:9]
	v_mov_b32_e32 v20, v4
	v_mov_b32_e32 v22, v2
	v_dual_mov_b32 v24, v0 :: v_dual_mov_b32 v1, s20
	v_mov_b32_e32 v2, s21
	v_and_b32_e32 v10, 1, v26
	v_lshlrev_b32_e32 v11, 30, v26
	v_lshlrev_b32_e32 v12, 29, v26
	;; [unrolled: 1-line block ×4, first 2 shown]
	v_add_co_u32 v10, s13, v10, -1
	s_delay_alu instid0(VALU_DEP_1)
	v_cndmask_b32_e64 v14, 0, 1, s13
	v_not_b32_e32 v19, v11
	v_cmp_gt_i32_e64 s13, 0, v11
	v_not_b32_e32 v11, v12
	v_lshlrev_b32_e32 v16, 26, v26
	v_cmp_ne_u32_e32 vcc_lo, 0, v14
	v_ashrrev_i32_e32 v19, 31, v19
	v_lshlrev_b32_e32 v18, 25, v26
	v_ashrrev_i32_e32 v11, 31, v11
	v_lshlrev_b32_e32 v14, 24, v26
	v_xor_b32_e32 v10, vcc_lo, v10
	v_cmp_gt_i32_e32 vcc_lo, 0, v12
	v_not_b32_e32 v12, v13
	v_xor_b32_e32 v19, s13, v19
	v_cmp_gt_i32_e64 s13, 0, v13
	v_and_b32_e32 v10, exec_lo, v10
	v_not_b32_e32 v13, v15
	v_ashrrev_i32_e32 v12, 31, v12
	v_xor_b32_e32 v11, vcc_lo, v11
	v_cmp_gt_i32_e32 vcc_lo, 0, v15
	v_and_b32_e32 v10, v10, v19
	v_not_b32_e32 v15, v16
	v_ashrrev_i32_e32 v13, 31, v13
	v_xor_b32_e32 v12, s13, v12
	v_cmp_gt_i32_e64 s13, 0, v16
	v_and_b32_e32 v10, v10, v11
	v_ashrrev_i32_e32 v15, 31, v15
	v_xor_b32_e32 v13, vcc_lo, v13
	v_and_b32_e32 v5, 0xff, v26
	s_delay_alu instid0(VALU_DEP_4) | instskip(NEXT) | instid1(VALU_DEP_4)
	v_and_b32_e32 v10, v10, v12
	v_xor_b32_e32 v15, s13, v15
	v_not_b32_e32 v12, v14
	v_cmp_gt_i32_e64 s13, 0, v14
	s_delay_alu instid0(VALU_DEP_4) | instskip(NEXT) | instid1(VALU_DEP_3)
	v_and_b32_e32 v10, v10, v13
	v_ashrrev_i32_e32 v12, 31, v12
	s_delay_alu instid0(VALU_DEP_2) | instskip(SKIP_2) | instid1(VALU_DEP_4)
	v_dual_mov_b32 v15, v7 :: v_dual_and_b32 v10, v10, v15
	v_not_b32_e32 v11, v18
	v_cmp_gt_i32_e32 vcc_lo, 0, v18
	v_xor_b32_e32 v0, s13, v12
	v_mov_b32_e32 v14, v6
	v_mov_b32_e32 v18, v30
	v_ashrrev_i32_e32 v11, 31, v11
	v_dual_mov_b32 v19, v31 :: v_dual_mov_b32 v12, v28
	v_mov_b32_e32 v13, v29
	s_delay_alu instid0(VALU_DEP_3) | instskip(NEXT) | instid1(VALU_DEP_1)
	v_xor_b32_e32 v11, vcc_lo, v11
	v_dual_mov_b32 v10, v32 :: v_dual_and_b32 v3, v10, v11
	s_delay_alu instid0(VALU_DEP_1)
	v_dual_mov_b32 v11, v33 :: v_dual_and_b32 v0, v3, v0
	v_dual_mov_b32 v3, s16 :: v_dual_mov_b32 v4, s17
	ds_store_2addr_b64 v38, v[1:2], v[3:4] offset0:5 offset1:6
	ds_store_2addr_b64 v39, v[1:2], v[3:4] offset0:2 offset1:3
	v_mbcnt_lo_u32_b32 v16, v0, 0
	v_mad_u32_u24 v1, v5, 10, v48
	v_cmp_ne_u32_e64 s13, 0, v0
	s_waitcnt lgkmcnt(0)
	s_barrier
	v_cmp_eq_u32_e32 vcc_lo, 0, v16
	v_lshl_add_u32 v26, v1, 2, 40
	buffer_gl0_inv
	; wave barrier
	s_and_b32 s25, s13, vcc_lo
	s_delay_alu instid0(SALU_CYCLE_1)
	s_and_saveexec_b32 s13, s25
	s_cbranch_execz .LBB133_6
; %bb.5:                                ;   in Loop: Header=BB133_4 Depth=2
	v_bcnt_u32_b32 v0, v0, 0
	ds_store_b32 v26, v0
.LBB133_6:                              ;   in Loop: Header=BB133_4 Depth=2
	s_or_b32 exec_lo, exec_lo, s13
	v_lshrrev_b64 v[0:1], s22, v[24:25]
	; wave barrier
	s_delay_alu instid0(VALU_DEP_1)
	v_and_b32_e32 v2, 1, v0
	v_lshlrev_b32_e32 v3, 30, v0
	v_lshlrev_b32_e32 v4, 29, v0
	;; [unrolled: 1-line block ×4, first 2 shown]
	v_add_co_u32 v2, s13, v2, -1
	s_delay_alu instid0(VALU_DEP_1)
	v_cndmask_b32_e64 v6, 0, 1, s13
	v_not_b32_e32 v29, v3
	v_cmp_gt_i32_e64 s13, 0, v3
	v_not_b32_e32 v3, v4
	v_lshlrev_b32_e32 v27, 26, v0
	v_cmp_ne_u32_e32 vcc_lo, 0, v6
	v_ashrrev_i32_e32 v6, 31, v29
	v_lshlrev_b32_e32 v28, 25, v0
	v_ashrrev_i32_e32 v3, 31, v3
	v_and_b32_e32 v1, 0xff, v0
	v_xor_b32_e32 v2, vcc_lo, v2
	v_cmp_gt_i32_e32 vcc_lo, 0, v4
	v_not_b32_e32 v4, v5
	v_xor_b32_e32 v6, s13, v6
	v_cmp_gt_i32_e64 s13, 0, v5
	v_and_b32_e32 v2, exec_lo, v2
	v_not_b32_e32 v5, v7
	v_ashrrev_i32_e32 v4, 31, v4
	v_xor_b32_e32 v3, vcc_lo, v3
	v_cmp_gt_i32_e32 vcc_lo, 0, v7
	v_and_b32_e32 v2, v2, v6
	v_not_b32_e32 v6, v27
	v_ashrrev_i32_e32 v5, 31, v5
	v_xor_b32_e32 v4, s13, v4
	v_lshlrev_b32_e32 v0, 24, v0
	v_and_b32_e32 v2, v2, v3
	v_cmp_gt_i32_e64 s13, 0, v27
	v_not_b32_e32 v3, v28
	v_ashrrev_i32_e32 v6, 31, v6
	v_xor_b32_e32 v5, vcc_lo, v5
	v_and_b32_e32 v2, v2, v4
	v_cmp_gt_i32_e32 vcc_lo, 0, v28
	v_not_b32_e32 v4, v0
	v_ashrrev_i32_e32 v3, 31, v3
	v_xor_b32_e32 v6, s13, v6
	v_and_b32_e32 v2, v2, v5
	v_mul_u32_u24_e32 v1, 10, v1
	v_cmp_gt_i32_e64 s13, 0, v0
	v_ashrrev_i32_e32 v0, 31, v4
	v_xor_b32_e32 v3, vcc_lo, v3
	v_and_b32_e32 v2, v2, v6
	v_add_lshl_u32 v1, v1, v48, 2
	s_delay_alu instid0(VALU_DEP_4) | instskip(NEXT) | instid1(VALU_DEP_3)
	v_xor_b32_e32 v0, s13, v0
	v_and_b32_e32 v2, v2, v3
	ds_load_b32 v27, v1 offset:40
	v_add_nc_u32_e32 v29, 40, v1
	; wave barrier
	v_and_b32_e32 v0, v2, v0
	s_delay_alu instid0(VALU_DEP_1) | instskip(SKIP_1) | instid1(VALU_DEP_2)
	v_mbcnt_lo_u32_b32 v28, v0, 0
	v_cmp_ne_u32_e64 s13, 0, v0
	v_cmp_eq_u32_e32 vcc_lo, 0, v28
	s_delay_alu instid0(VALU_DEP_2) | instskip(NEXT) | instid1(SALU_CYCLE_1)
	s_and_b32 s25, s13, vcc_lo
	s_and_saveexec_b32 s13, s25
	s_cbranch_execz .LBB133_8
; %bb.7:                                ;   in Loop: Header=BB133_4 Depth=2
	s_waitcnt lgkmcnt(0)
	v_bcnt_u32_b32 v0, v0, v27
	ds_store_b32 v29, v0
.LBB133_8:                              ;   in Loop: Header=BB133_4 Depth=2
	s_or_b32 exec_lo, exec_lo, s13
	v_lshrrev_b64 v[0:1], s22, v[22:23]
	; wave barrier
	s_delay_alu instid0(VALU_DEP_1)
	v_and_b32_e32 v2, 1, v0
	v_lshlrev_b32_e32 v3, 30, v0
	v_lshlrev_b32_e32 v4, 29, v0
	;; [unrolled: 1-line block ×4, first 2 shown]
	v_add_co_u32 v2, s13, v2, -1
	s_delay_alu instid0(VALU_DEP_1)
	v_cndmask_b32_e64 v6, 0, 1, s13
	v_not_b32_e32 v32, v3
	v_cmp_gt_i32_e64 s13, 0, v3
	v_not_b32_e32 v3, v4
	v_lshlrev_b32_e32 v30, 26, v0
	v_cmp_ne_u32_e32 vcc_lo, 0, v6
	v_ashrrev_i32_e32 v6, 31, v32
	v_lshlrev_b32_e32 v31, 25, v0
	v_ashrrev_i32_e32 v3, 31, v3
	v_and_b32_e32 v1, 0xff, v0
	v_xor_b32_e32 v2, vcc_lo, v2
	v_cmp_gt_i32_e32 vcc_lo, 0, v4
	v_not_b32_e32 v4, v5
	v_xor_b32_e32 v6, s13, v6
	v_cmp_gt_i32_e64 s13, 0, v5
	v_and_b32_e32 v2, exec_lo, v2
	v_not_b32_e32 v5, v7
	v_ashrrev_i32_e32 v4, 31, v4
	v_xor_b32_e32 v3, vcc_lo, v3
	v_cmp_gt_i32_e32 vcc_lo, 0, v7
	v_and_b32_e32 v2, v2, v6
	v_not_b32_e32 v6, v30
	v_ashrrev_i32_e32 v5, 31, v5
	v_xor_b32_e32 v4, s13, v4
	v_lshlrev_b32_e32 v0, 24, v0
	v_and_b32_e32 v2, v2, v3
	v_cmp_gt_i32_e64 s13, 0, v30
	v_not_b32_e32 v3, v31
	v_ashrrev_i32_e32 v6, 31, v6
	v_xor_b32_e32 v5, vcc_lo, v5
	v_and_b32_e32 v2, v2, v4
	v_cmp_gt_i32_e32 vcc_lo, 0, v31
	v_not_b32_e32 v4, v0
	v_ashrrev_i32_e32 v3, 31, v3
	v_xor_b32_e32 v6, s13, v6
	v_and_b32_e32 v2, v2, v5
	v_mul_u32_u24_e32 v1, 10, v1
	v_cmp_gt_i32_e64 s13, 0, v0
	v_ashrrev_i32_e32 v0, 31, v4
	v_xor_b32_e32 v3, vcc_lo, v3
	v_and_b32_e32 v2, v2, v6
	v_add_lshl_u32 v1, v1, v48, 2
	s_delay_alu instid0(VALU_DEP_4) | instskip(NEXT) | instid1(VALU_DEP_3)
	v_xor_b32_e32 v0, s13, v0
	v_and_b32_e32 v2, v2, v3
	ds_load_b32 v30, v1 offset:40
	v_add_nc_u32_e32 v32, 40, v1
	; wave barrier
	v_and_b32_e32 v0, v2, v0
	s_delay_alu instid0(VALU_DEP_1) | instskip(SKIP_1) | instid1(VALU_DEP_2)
	v_mbcnt_lo_u32_b32 v31, v0, 0
	v_cmp_ne_u32_e64 s13, 0, v0
	v_cmp_eq_u32_e32 vcc_lo, 0, v31
	s_delay_alu instid0(VALU_DEP_2) | instskip(NEXT) | instid1(SALU_CYCLE_1)
	s_and_b32 s25, s13, vcc_lo
	s_and_saveexec_b32 s13, s25
	s_cbranch_execz .LBB133_10
; %bb.9:                                ;   in Loop: Header=BB133_4 Depth=2
	s_waitcnt lgkmcnt(0)
	v_bcnt_u32_b32 v0, v0, v30
	ds_store_b32 v32, v0
.LBB133_10:                             ;   in Loop: Header=BB133_4 Depth=2
	s_or_b32 exec_lo, exec_lo, s13
	v_lshrrev_b64 v[0:1], s22, v[20:21]
	; wave barrier
	s_delay_alu instid0(VALU_DEP_1)
	v_and_b32_e32 v2, 1, v0
	v_lshlrev_b32_e32 v3, 30, v0
	v_lshlrev_b32_e32 v4, 29, v0
	;; [unrolled: 1-line block ×4, first 2 shown]
	v_add_co_u32 v2, s13, v2, -1
	s_delay_alu instid0(VALU_DEP_1)
	v_cndmask_b32_e64 v6, 0, 1, s13
	v_not_b32_e32 v51, v3
	v_cmp_gt_i32_e64 s13, 0, v3
	v_not_b32_e32 v3, v4
	v_lshlrev_b32_e32 v33, 26, v0
	v_cmp_ne_u32_e32 vcc_lo, 0, v6
	v_ashrrev_i32_e32 v6, 31, v51
	v_lshlrev_b32_e32 v50, 25, v0
	v_ashrrev_i32_e32 v3, 31, v3
	v_and_b32_e32 v1, 0xff, v0
	v_xor_b32_e32 v2, vcc_lo, v2
	v_cmp_gt_i32_e32 vcc_lo, 0, v4
	v_not_b32_e32 v4, v5
	v_xor_b32_e32 v6, s13, v6
	v_cmp_gt_i32_e64 s13, 0, v5
	v_and_b32_e32 v2, exec_lo, v2
	v_not_b32_e32 v5, v7
	v_ashrrev_i32_e32 v4, 31, v4
	v_xor_b32_e32 v3, vcc_lo, v3
	v_cmp_gt_i32_e32 vcc_lo, 0, v7
	v_and_b32_e32 v2, v2, v6
	v_not_b32_e32 v6, v33
	v_ashrrev_i32_e32 v5, 31, v5
	v_xor_b32_e32 v4, s13, v4
	v_lshlrev_b32_e32 v0, 24, v0
	v_and_b32_e32 v2, v2, v3
	v_cmp_gt_i32_e64 s13, 0, v33
	v_not_b32_e32 v3, v50
	v_ashrrev_i32_e32 v6, 31, v6
	v_xor_b32_e32 v5, vcc_lo, v5
	v_and_b32_e32 v2, v2, v4
	v_cmp_gt_i32_e32 vcc_lo, 0, v50
	v_not_b32_e32 v4, v0
	v_ashrrev_i32_e32 v3, 31, v3
	v_xor_b32_e32 v6, s13, v6
	v_and_b32_e32 v2, v2, v5
	v_mul_u32_u24_e32 v1, 10, v1
	v_cmp_gt_i32_e64 s13, 0, v0
	v_ashrrev_i32_e32 v0, 31, v4
	v_xor_b32_e32 v3, vcc_lo, v3
	v_and_b32_e32 v2, v2, v6
	v_add_lshl_u32 v1, v1, v48, 2
	s_delay_alu instid0(VALU_DEP_4) | instskip(NEXT) | instid1(VALU_DEP_3)
	v_xor_b32_e32 v0, s13, v0
	v_and_b32_e32 v2, v2, v3
	ds_load_b32 v33, v1 offset:40
	v_add_nc_u32_e32 v50, 40, v1
	; wave barrier
	v_and_b32_e32 v0, v2, v0
	s_delay_alu instid0(VALU_DEP_1) | instskip(SKIP_1) | instid1(VALU_DEP_2)
	v_mbcnt_lo_u32_b32 v52, v0, 0
	v_cmp_ne_u32_e64 s13, 0, v0
	v_cmp_eq_u32_e32 vcc_lo, 0, v52
	s_delay_alu instid0(VALU_DEP_2) | instskip(NEXT) | instid1(SALU_CYCLE_1)
	s_and_b32 s25, s13, vcc_lo
	s_and_saveexec_b32 s13, s25
	s_cbranch_execz .LBB133_12
; %bb.11:                               ;   in Loop: Header=BB133_4 Depth=2
	s_waitcnt lgkmcnt(0)
	v_bcnt_u32_b32 v0, v0, v33
	ds_store_b32 v50, v0
.LBB133_12:                             ;   in Loop: Header=BB133_4 Depth=2
	s_or_b32 exec_lo, exec_lo, s13
	; wave barrier
	s_waitcnt lgkmcnt(0)
	s_barrier
	buffer_gl0_inv
	ds_load_2addr_b64 v[4:7], v38 offset0:5 offset1:6
	ds_load_2addr_b64 v[0:3], v39 offset0:2 offset1:3
	s_waitcnt lgkmcnt(1)
	v_add_nc_u32_e32 v51, v5, v4
	s_delay_alu instid0(VALU_DEP_1) | instskip(SKIP_1) | instid1(VALU_DEP_1)
	v_add3_u32 v51, v51, v6, v7
	s_waitcnt lgkmcnt(0)
	v_add3_u32 v51, v51, v0, v1
	s_delay_alu instid0(VALU_DEP_1) | instskip(NEXT) | instid1(VALU_DEP_1)
	v_add3_u32 v3, v51, v2, v3
	v_mov_b32_dpp v51, v3 row_shr:1 row_mask:0xf bank_mask:0xf
	s_delay_alu instid0(VALU_DEP_1) | instskip(NEXT) | instid1(VALU_DEP_1)
	v_cndmask_b32_e64 v51, v51, 0, s4
	v_add_nc_u32_e32 v3, v51, v3
	s_delay_alu instid0(VALU_DEP_1) | instskip(NEXT) | instid1(VALU_DEP_1)
	v_mov_b32_dpp v51, v3 row_shr:2 row_mask:0xf bank_mask:0xf
	v_cndmask_b32_e64 v51, 0, v51, s5
	s_delay_alu instid0(VALU_DEP_1) | instskip(NEXT) | instid1(VALU_DEP_1)
	v_add_nc_u32_e32 v3, v3, v51
	v_mov_b32_dpp v51, v3 row_shr:4 row_mask:0xf bank_mask:0xf
	s_delay_alu instid0(VALU_DEP_1) | instskip(NEXT) | instid1(VALU_DEP_1)
	v_cndmask_b32_e64 v51, 0, v51, s6
	v_add_nc_u32_e32 v3, v3, v51
	s_delay_alu instid0(VALU_DEP_1) | instskip(NEXT) | instid1(VALU_DEP_1)
	v_mov_b32_dpp v51, v3 row_shr:8 row_mask:0xf bank_mask:0xf
	v_cndmask_b32_e64 v51, 0, v51, s7
	s_delay_alu instid0(VALU_DEP_1) | instskip(SKIP_3) | instid1(VALU_DEP_1)
	v_add_nc_u32_e32 v3, v3, v51
	ds_swizzle_b32 v51, v3 offset:swizzle(BROADCAST,32,15)
	s_waitcnt lgkmcnt(0)
	v_cndmask_b32_e64 v51, v51, 0, s8
	v_add_nc_u32_e32 v3, v3, v51
	s_and_saveexec_b32 s13, s12
	s_cbranch_execz .LBB133_14
; %bb.13:                               ;   in Loop: Header=BB133_4 Depth=2
	ds_store_b32 v40, v3
.LBB133_14:                             ;   in Loop: Header=BB133_4 Depth=2
	s_or_b32 exec_lo, exec_lo, s13
	s_waitcnt lgkmcnt(0)
	s_barrier
	buffer_gl0_inv
	s_and_saveexec_b32 s13, s9
	s_cbranch_execz .LBB133_16
; %bb.15:                               ;   in Loop: Header=BB133_4 Depth=2
	ds_load_b32 v51, v49
	s_waitcnt lgkmcnt(0)
	v_mov_b32_dpp v53, v51 row_shr:1 row_mask:0xf bank_mask:0xf
	s_delay_alu instid0(VALU_DEP_1) | instskip(NEXT) | instid1(VALU_DEP_1)
	v_cndmask_b32_e64 v53, v53, 0, s4
	v_add_nc_u32_e32 v51, v53, v51
	s_delay_alu instid0(VALU_DEP_1) | instskip(NEXT) | instid1(VALU_DEP_1)
	v_mov_b32_dpp v53, v51 row_shr:2 row_mask:0xf bank_mask:0xf
	v_cndmask_b32_e64 v53, 0, v53, s5
	s_delay_alu instid0(VALU_DEP_1) | instskip(NEXT) | instid1(VALU_DEP_1)
	v_add_nc_u32_e32 v51, v51, v53
	v_mov_b32_dpp v53, v51 row_shr:4 row_mask:0xf bank_mask:0xf
	s_delay_alu instid0(VALU_DEP_1) | instskip(NEXT) | instid1(VALU_DEP_1)
	v_cndmask_b32_e64 v53, 0, v53, s6
	v_add_nc_u32_e32 v51, v51, v53
	s_delay_alu instid0(VALU_DEP_1) | instskip(NEXT) | instid1(VALU_DEP_1)
	v_mov_b32_dpp v53, v51 row_shr:8 row_mask:0xf bank_mask:0xf
	v_cndmask_b32_e64 v53, 0, v53, s7
	s_delay_alu instid0(VALU_DEP_1)
	v_add_nc_u32_e32 v51, v51, v53
	ds_store_b32 v49, v51
.LBB133_16:                             ;   in Loop: Header=BB133_4 Depth=2
	s_or_b32 exec_lo, exec_lo, s13
	v_mov_b32_e32 v51, 0
	s_waitcnt lgkmcnt(0)
	s_barrier
	buffer_gl0_inv
	s_and_saveexec_b32 s13, s10
	s_cbranch_execz .LBB133_18
; %bb.17:                               ;   in Loop: Header=BB133_4 Depth=2
	ds_load_b32 v51, v43
.LBB133_18:                             ;   in Loop: Header=BB133_4 Depth=2
	s_or_b32 exec_lo, exec_lo, s13
	s_waitcnt lgkmcnt(0)
	v_add_nc_u32_e32 v3, v51, v3
	s_cmp_gt_u32 s22, 55
	ds_bpermute_b32 v3, v41, v3
	s_waitcnt lgkmcnt(0)
	v_cndmask_b32_e64 v3, v3, v51, s0
	s_delay_alu instid0(VALU_DEP_1) | instskip(NEXT) | instid1(VALU_DEP_1)
	v_cndmask_b32_e64 v3, v3, 0, s11
	v_add_nc_u32_e32 v4, v3, v4
	s_delay_alu instid0(VALU_DEP_1) | instskip(NEXT) | instid1(VALU_DEP_1)
	v_add_nc_u32_e32 v5, v4, v5
	v_add_nc_u32_e32 v6, v5, v6
	s_delay_alu instid0(VALU_DEP_1) | instskip(NEXT) | instid1(VALU_DEP_1)
	v_add_nc_u32_e32 v53, v6, v7
	;; [unrolled: 3-line block ×3, first 2 shown]
	v_add_nc_u32_e32 v1, v0, v2
	ds_store_2addr_b64 v38, v[3:4], v[5:6] offset0:5 offset1:6
	ds_store_2addr_b64 v39, v[53:54], v[0:1] offset0:2 offset1:3
	s_waitcnt lgkmcnt(0)
	s_barrier
	buffer_gl0_inv
	ds_load_b32 v0, v26
	ds_load_b32 v1, v29
	;; [unrolled: 1-line block ×4, first 2 shown]
	s_waitcnt lgkmcnt(3)
	v_add_nc_u32_e32 v16, v0, v16
	s_waitcnt lgkmcnt(2)
	v_add3_u32 v50, v28, v27, v1
	s_waitcnt lgkmcnt(1)
	v_add3_u32 v51, v31, v30, v2
	;; [unrolled: 2-line block ×3, first 2 shown]
	s_cbranch_scc0 .LBB133_3
; %bb.19:                               ;   in Loop: Header=BB133_2 Depth=1
                                        ; implicit-def: $vgpr4_vgpr5
                                        ; implicit-def: $vgpr2_vgpr3
                                        ; implicit-def: $vgpr0_vgpr1
                                        ; implicit-def: $vgpr26_vgpr27
                                        ; implicit-def: $vgpr6_vgpr7
                                        ; implicit-def: $vgpr28_vgpr29
                                        ; implicit-def: $vgpr32_vgpr33
                                        ; implicit-def: $vgpr30_vgpr31
                                        ; implicit-def: $sgpr22_sgpr23
	s_branch .LBB133_1
.LBB133_20:
	s_waitcnt lgkmcnt(1)
	v_add_co_u32 v5, vcc_lo, v13, v5
	v_lshlrev_b32_e32 v13, 3, v17
	v_add_co_ci_u32_e32 v6, vcc_lo, v14, v6, vcc_lo
	s_add_u32 s0, s18, s14
	v_add_co_u32 v7, vcc_lo, v15, v7
	s_addc_u32 s1, s19, s15
	v_add_co_u32 v14, s2, s0, v13
	v_add_co_ci_u32_e32 v8, vcc_lo, v16, v8, vcc_lo
	v_add_co_ci_u32_e64 v15, null, s1, 0, s2
	s_waitcnt lgkmcnt(0)
	v_add_co_u32 v0, vcc_lo, v9, v1
	v_add_co_ci_u32_e32 v1, vcc_lo, v10, v2, vcc_lo
	v_add_co_u32 v9, vcc_lo, 0x1000, v14
	v_add_co_ci_u32_e32 v10, vcc_lo, 0, v15, vcc_lo
	;; [unrolled: 2-line block ×3, first 2 shown]
	s_clause 0x3
	global_store_b64 v13, v[5:6], s[0:1]
	global_store_b64 v13, v[7:8], s[0:1] offset:2560
	global_store_b64 v[9:10], v[0:1], off offset:1024
	global_store_b64 v[9:10], v[2:3], off offset:3584
	s_nop 0
	s_sendmsg sendmsg(MSG_DEALLOC_VGPRS)
	s_endpgm
	.section	.rodata,"a",@progbits
	.p2align	6, 0x0
	.amdhsa_kernel _Z17sort_pairs_kernelI22helper_blocked_blockedxLj320ELj4ELj10EEvPKT0_PS1_
		.amdhsa_group_segment_fixed_size 10560
		.amdhsa_private_segment_fixed_size 0
		.amdhsa_kernarg_size 272
		.amdhsa_user_sgpr_count 15
		.amdhsa_user_sgpr_dispatch_ptr 0
		.amdhsa_user_sgpr_queue_ptr 0
		.amdhsa_user_sgpr_kernarg_segment_ptr 1
		.amdhsa_user_sgpr_dispatch_id 0
		.amdhsa_user_sgpr_private_segment_size 0
		.amdhsa_wavefront_size32 1
		.amdhsa_uses_dynamic_stack 0
		.amdhsa_enable_private_segment 0
		.amdhsa_system_sgpr_workgroup_id_x 1
		.amdhsa_system_sgpr_workgroup_id_y 0
		.amdhsa_system_sgpr_workgroup_id_z 0
		.amdhsa_system_sgpr_workgroup_info 0
		.amdhsa_system_vgpr_workitem_id 2
		.amdhsa_next_free_vgpr 56
		.amdhsa_next_free_sgpr 26
		.amdhsa_reserve_vcc 1
		.amdhsa_float_round_mode_32 0
		.amdhsa_float_round_mode_16_64 0
		.amdhsa_float_denorm_mode_32 3
		.amdhsa_float_denorm_mode_16_64 3
		.amdhsa_dx10_clamp 1
		.amdhsa_ieee_mode 1
		.amdhsa_fp16_overflow 0
		.amdhsa_workgroup_processor_mode 1
		.amdhsa_memory_ordered 1
		.amdhsa_forward_progress 0
		.amdhsa_shared_vgpr_count 0
		.amdhsa_exception_fp_ieee_invalid_op 0
		.amdhsa_exception_fp_denorm_src 0
		.amdhsa_exception_fp_ieee_div_zero 0
		.amdhsa_exception_fp_ieee_overflow 0
		.amdhsa_exception_fp_ieee_underflow 0
		.amdhsa_exception_fp_ieee_inexact 0
		.amdhsa_exception_int_div_zero 0
	.end_amdhsa_kernel
	.section	.text._Z17sort_pairs_kernelI22helper_blocked_blockedxLj320ELj4ELj10EEvPKT0_PS1_,"axG",@progbits,_Z17sort_pairs_kernelI22helper_blocked_blockedxLj320ELj4ELj10EEvPKT0_PS1_,comdat
.Lfunc_end133:
	.size	_Z17sort_pairs_kernelI22helper_blocked_blockedxLj320ELj4ELj10EEvPKT0_PS1_, .Lfunc_end133-_Z17sort_pairs_kernelI22helper_blocked_blockedxLj320ELj4ELj10EEvPKT0_PS1_
                                        ; -- End function
	.section	.AMDGPU.csdata,"",@progbits
; Kernel info:
; codeLenInByte = 4396
; NumSgprs: 28
; NumVgprs: 56
; ScratchSize: 0
; MemoryBound: 0
; FloatMode: 240
; IeeeMode: 1
; LDSByteSize: 10560 bytes/workgroup (compile time only)
; SGPRBlocks: 3
; VGPRBlocks: 6
; NumSGPRsForWavesPerEU: 28
; NumVGPRsForWavesPerEU: 56
; Occupancy: 15
; WaveLimiterHint : 1
; COMPUTE_PGM_RSRC2:SCRATCH_EN: 0
; COMPUTE_PGM_RSRC2:USER_SGPR: 15
; COMPUTE_PGM_RSRC2:TRAP_HANDLER: 0
; COMPUTE_PGM_RSRC2:TGID_X_EN: 1
; COMPUTE_PGM_RSRC2:TGID_Y_EN: 0
; COMPUTE_PGM_RSRC2:TGID_Z_EN: 0
; COMPUTE_PGM_RSRC2:TIDIG_COMP_CNT: 2
	.section	.text._Z16sort_keys_kernelI22helper_blocked_blockedxLj320ELj8ELj10EEvPKT0_PS1_,"axG",@progbits,_Z16sort_keys_kernelI22helper_blocked_blockedxLj320ELj8ELj10EEvPKT0_PS1_,comdat
	.protected	_Z16sort_keys_kernelI22helper_blocked_blockedxLj320ELj8ELj10EEvPKT0_PS1_ ; -- Begin function _Z16sort_keys_kernelI22helper_blocked_blockedxLj320ELj8ELj10EEvPKT0_PS1_
	.globl	_Z16sort_keys_kernelI22helper_blocked_blockedxLj320ELj8ELj10EEvPKT0_PS1_
	.p2align	8
	.type	_Z16sort_keys_kernelI22helper_blocked_blockedxLj320ELj8ELj10EEvPKT0_PS1_,@function
_Z16sort_keys_kernelI22helper_blocked_blockedxLj320ELj8ELj10EEvPKT0_PS1_: ; @_Z16sort_keys_kernelI22helper_blocked_blockedxLj320ELj8ELj10EEvPKT0_PS1_
; %bb.0:
	s_clause 0x1
	s_load_b128 s[16:19], s[0:1], 0x0
	s_load_b32 s2, s[0:1], 0x1c
	v_and_b32_e32 v17, 0x3ff, v0
	s_mov_b32 s21, 0
	s_mul_i32 s20, s15, 0xa00
	s_mov_b32 s14, s21
	s_lshl_b64 s[12:13], s[20:21], 3
	v_lshlrev_b32_e32 v22, 3, v17
	v_lshlrev_b32_e32 v40, 5, v17
	v_cmp_gt_u32_e64 s6, 10, v17
	v_cmp_lt_u32_e64 s7, 31, v17
	v_cmp_eq_u32_e64 s9, 0, v17
	v_and_b32_e32 v23, 0xf00, v22
	v_add_nc_u32_e32 v44, 40, v40
	s_mov_b32 s20, s21
	s_mov_b32 s15, s21
	s_mov_b32 s11, s21
	v_or_b32_e32 v25, 0x60, v23
	v_or_b32_e32 v27, 0x80, v23
	v_lshrrev_b32_e32 v26, 5, v23
	s_waitcnt lgkmcnt(0)
	s_add_u32 s0, s16, s12
	s_addc_u32 s1, s17, s13
	v_add_co_u32 v5, s3, s0, v22
	s_delay_alu instid0(VALU_DEP_1) | instskip(SKIP_1) | instid1(VALU_DEP_3)
	v_add_co_ci_u32_e64 v6, null, s1, 0, s3
	v_lshrrev_b32_e32 v25, 5, v25
	v_add_co_u32 v1, vcc_lo, 0x1000, v5
	s_delay_alu instid0(VALU_DEP_3)
	v_add_co_ci_u32_e32 v2, vcc_lo, 0, v6, vcc_lo
	v_add_co_u32 v3, vcc_lo, 0x2000, v5
	v_add_co_ci_u32_e32 v4, vcc_lo, 0, v6, vcc_lo
	v_add_co_u32 v18, vcc_lo, 0x3000, v5
	;; [unrolled: 2-line block ×3, first 2 shown]
	v_add_co_ci_u32_e32 v21, vcc_lo, 0, v6, vcc_lo
	s_clause 0x7
	global_load_b64 v[13:14], v22, s[0:1]
	global_load_b64 v[15:16], v22, s[0:1] offset:2560
	global_load_b64 v[9:10], v[1:2], off offset:1024
	global_load_b64 v[11:12], v[1:2], off offset:3584
	;; [unrolled: 1-line block ×6, first 2 shown]
	v_mbcnt_lo_u32_b32 v20, -1, 0
	v_and_b32_e32 v21, 0x1e0, v17
	s_lshr_b32 s0, s2, 16
	s_delay_alu instid0(VALU_DEP_2) | instskip(NEXT) | instid1(VALU_DEP_2)
	v_or_b32_e32 v24, v20, v23
	v_or_b32_e32 v18, v20, v21
	v_cmp_eq_u32_e64 s8, 0, v20
	s_delay_alu instid0(VALU_DEP_3) | instskip(NEXT) | instid1(VALU_DEP_3)
	v_add_lshl_u32 v38, v25, v24, 3
	v_lshlrev_b32_e32 v19, 1, v18
	v_bfe_u32 v25, v0, 10, 10
	v_bfe_u32 v0, v0, 20, 10
	v_add_lshl_u32 v35, v26, v24, 3
	s_delay_alu instid0(VALU_DEP_4) | instskip(NEXT) | instid1(VALU_DEP_3)
	v_and_b32_e32 v19, 0x3f8, v19
	v_mad_u32_u24 v0, v0, s0, v25
	s_and_b32 s0, s2, 0xffff
	s_delay_alu instid0(VALU_DEP_2) | instskip(SKIP_2) | instid1(VALU_DEP_2)
	v_lshl_add_u32 v34, v18, 6, v19
	v_or_b32_e32 v18, 32, v23
	v_or_b32_e32 v19, 64, v23
	v_lshrrev_b32_e32 v18, 5, v18
	s_delay_alu instid0(VALU_DEP_2) | instskip(NEXT) | instid1(VALU_DEP_2)
	v_lshrrev_b32_e32 v19, 5, v19
	v_add_lshl_u32 v36, v18, v24, 3
	v_lshrrev_b32_e32 v18, 5, v27
	s_delay_alu instid0(VALU_DEP_3) | instskip(SKIP_1) | instid1(VALU_DEP_3)
	v_add_lshl_u32 v37, v19, v24, 3
	v_or_b32_e32 v19, 0xa0, v23
	v_add_lshl_u32 v39, v18, v24, 3
	v_or_b32_e32 v18, 0xc0, v23
	v_or_b32_e32 v23, 0xe0, v23
	s_delay_alu instid0(VALU_DEP_4) | instskip(NEXT) | instid1(VALU_DEP_3)
	v_lshrrev_b32_e32 v26, 5, v19
	v_lshrrev_b32_e32 v25, 5, v18
	v_mad_u64_u32 v[18:19], null, v0, s0, v[17:18]
	s_delay_alu instid0(VALU_DEP_4) | instskip(SKIP_3) | instid1(VALU_DEP_4)
	v_lshrrev_b32_e32 v0, 5, v23
	v_and_b32_e32 v19, 15, v20
	v_add_lshl_u32 v41, v26, v24, 3
	v_add_lshl_u32 v42, v25, v24, 3
	;; [unrolled: 1-line block ×3, first 2 shown]
	v_min_u32_e32 v0, 0x120, v21
	v_add_nc_u32_e32 v21, -1, v20
	v_lshrrev_b32_e32 v45, 5, v18
	v_and_b32_e32 v18, 16, v20
	v_cmp_eq_u32_e64 s0, 0, v19
	v_cmp_lt_u32_e64 s1, 1, v19
	v_cmp_gt_i32_e32 vcc_lo, 0, v21
	v_cmp_lt_u32_e64 s2, 3, v19
	v_cmp_lt_u32_e64 s3, 7, v19
	v_or_b32_e32 v0, 31, v0
	v_cmp_eq_u32_e64 s4, 0, v18
	v_cndmask_b32_e32 v18, v21, v20, vcc_lo
	v_lshrrev_b32_e32 v19, 3, v17
	s_delay_alu instid0(VALU_DEP_4) | instskip(SKIP_1) | instid1(VALU_DEP_4)
	v_cmp_eq_u32_e64 s5, v0, v17
	v_lshrrev_b32_e32 v0, 2, v17
	v_lshlrev_b32_e32 v46, 2, v18
	s_delay_alu instid0(VALU_DEP_4) | instskip(SKIP_1) | instid1(VALU_DEP_4)
	v_and_b32_e32 v47, 60, v19
	v_mul_i32_i24_e32 v18, 0xffffffe4, v17
	v_add_lshl_u32 v49, v0, v22, 3
	s_delay_alu instid0(VALU_DEP_3) | instskip(NEXT) | instid1(VALU_DEP_3)
	v_add_nc_u32_e32 v48, -4, v47
	v_add_nc_u32_e32 v50, v40, v18
	s_branch .LBB134_2
.LBB134_1:                              ;   in Loop: Header=BB134_2 Depth=1
	v_lshrrev_b32_e32 v0, 2, v55
	v_lshrrev_b32_e32 v1, 2, v58
	;; [unrolled: 1-line block ×4, first 2 shown]
	s_delay_alu instid0(VALU_DEP_4) | instskip(NEXT) | instid1(VALU_DEP_4)
	v_and_b32_e32 v0, 0x3ffffff8, v0
	v_and_b32_e32 v1, 0x3ffffff8, v1
	s_delay_alu instid0(VALU_DEP_4)
	v_and_b32_e32 v2, 0x3ffffff8, v2
	s_barrier
	buffer_gl0_inv
	v_lshl_add_u32 v0, v55, 3, v0
	v_lshl_add_u32 v1, v58, 3, v1
	;; [unrolled: 1-line block ×3, first 2 shown]
	v_lshrrev_b32_e32 v4, 2, v54
	v_and_b32_e32 v3, 0x3ffffff8, v3
	ds_store_b64 v0, v[8:9]
	ds_store_b64 v1, v[24:25]
	;; [unrolled: 1-line block ×3, first 2 shown]
	v_lshrrev_b32_e32 v0, 2, v51
	v_lshrrev_b32_e32 v1, 2, v52
	;; [unrolled: 1-line block ×3, first 2 shown]
	v_and_b32_e32 v4, 0x3ffffff8, v4
	v_lshl_add_u32 v3, v16, 3, v3
	v_and_b32_e32 v0, 0x3ffffff8, v0
	v_and_b32_e32 v1, 0x3ffffff8, v1
	;; [unrolled: 1-line block ×3, first 2 shown]
	v_lshl_add_u32 v4, v54, 3, v4
	s_add_i32 s11, s11, 1
	v_lshl_add_u32 v0, v51, 3, v0
	v_lshl_add_u32 v1, v52, 3, v1
	;; [unrolled: 1-line block ×3, first 2 shown]
	ds_store_b64 v3, v[20:21]
	ds_store_b64 v0, v[18:19]
	;; [unrolled: 1-line block ×5, first 2 shown]
	s_waitcnt lgkmcnt(0)
	s_barrier
	buffer_gl0_inv
	ds_load_2addr_b64 v[13:16], v49 offset1:1
	ds_load_2addr_b64 v[9:12], v49 offset0:2 offset1:3
	ds_load_2addr_b64 v[5:8], v49 offset0:4 offset1:5
	;; [unrolled: 1-line block ×3, first 2 shown]
	s_cmp_eq_u32 s11, 10
	s_waitcnt lgkmcnt(3)
	v_xor_b32_e32 v14, 0x80000000, v14
	v_xor_b32_e32 v16, 0x80000000, v16
	s_waitcnt lgkmcnt(2)
	v_xor_b32_e32 v10, 0x80000000, v10
	v_xor_b32_e32 v12, 0x80000000, v12
	;; [unrolled: 3-line block ×4, first 2 shown]
	s_cbranch_scc1 .LBB134_28
.LBB134_2:                              ; =>This Loop Header: Depth=1
                                        ;     Child Loop BB134_4 Depth 2
	s_waitcnt vmcnt(7)
	v_xor_b32_e32 v14, 0x80000000, v14
	s_waitcnt vmcnt(6)
	v_xor_b32_e32 v16, 0x80000000, v16
	;; [unrolled: 2-line block ×8, first 2 shown]
	ds_store_2addr_b64 v34, v[13:14], v[15:16] offset1:1
	ds_store_2addr_b64 v34, v[9:10], v[11:12] offset0:2 offset1:3
	ds_store_2addr_b64 v34, v[5:6], v[7:8] offset0:4 offset1:5
	;; [unrolled: 1-line block ×3, first 2 shown]
	; wave barrier
	ds_load_b64 v[32:33], v35
	ds_load_b64 v[0:1], v36 offset:256
	ds_load_b64 v[2:3], v37 offset:512
	;; [unrolled: 1-line block ×7, first 2 shown]
	s_mov_b64 s[16:17], 0
	s_waitcnt lgkmcnt(0)
	s_barrier
	buffer_gl0_inv
	; wave barrier
	s_barrier
	s_branch .LBB134_4
.LBB134_3:                              ;   in Loop: Header=BB134_4 Depth=2
	v_lshrrev_b32_e32 v0, 2, v55
	v_lshrrev_b32_e32 v1, 2, v58
	;; [unrolled: 1-line block ×4, first 2 shown]
	s_delay_alu instid0(VALU_DEP_4) | instskip(NEXT) | instid1(VALU_DEP_4)
	v_and_b32_e32 v0, 0x3ffffff8, v0
	v_and_b32_e32 v1, 0x3ffffff8, v1
	s_delay_alu instid0(VALU_DEP_4)
	v_and_b32_e32 v2, 0x3ffffff8, v2
	s_barrier
	buffer_gl0_inv
	v_lshl_add_u32 v0, v55, 3, v0
	v_lshl_add_u32 v1, v58, 3, v1
	;; [unrolled: 1-line block ×3, first 2 shown]
	v_lshrrev_b32_e32 v4, 2, v54
	v_and_b32_e32 v3, 0x3ffffff8, v3
	ds_store_b64 v0, v[8:9]
	ds_store_b64 v1, v[24:25]
	;; [unrolled: 1-line block ×3, first 2 shown]
	v_lshrrev_b32_e32 v0, 2, v51
	v_lshrrev_b32_e32 v1, 2, v52
	v_lshrrev_b32_e32 v2, 2, v53
	v_and_b32_e32 v4, 0x3ffffff8, v4
	v_lshl_add_u32 v3, v16, 3, v3
	v_and_b32_e32 v0, 0x3ffffff8, v0
	v_and_b32_e32 v1, 0x3ffffff8, v1
	v_and_b32_e32 v2, 0x3ffffff8, v2
	v_lshl_add_u32 v4, v54, 3, v4
	s_add_u32 s16, s16, 8
	v_lshl_add_u32 v0, v51, 3, v0
	v_lshl_add_u32 v1, v52, 3, v1
	;; [unrolled: 1-line block ×3, first 2 shown]
	ds_store_b64 v3, v[20:21]
	ds_store_b64 v0, v[18:19]
	ds_store_b64 v1, v[14:15]
	ds_store_b64 v2, v[12:13]
	ds_store_b64 v4, v[10:11]
	s_waitcnt lgkmcnt(0)
	s_barrier
	buffer_gl0_inv
	ds_load_b64 v[32:33], v35
	ds_load_b64 v[0:1], v36 offset:256
	ds_load_b64 v[2:3], v37 offset:512
	;; [unrolled: 1-line block ×7, first 2 shown]
	s_addc_u32 s17, s17, 0
	s_waitcnt lgkmcnt(0)
	s_barrier
	s_cbranch_execz .LBB134_1
.LBB134_4:                              ;   Parent Loop BB134_2 Depth=1
                                        ; =>  This Inner Loop Header: Depth=2
	v_dual_mov_b32 v8, v32 :: v_dual_mov_b32 v9, v33
	buffer_gl0_inv
	v_dual_mov_b32 v21, v5 :: v_dual_mov_b32 v20, v4
	v_mov_b32_e32 v23, v3
	v_lshrrev_b64 v[32:33], s16, v[8:9]
	v_dual_mov_b32 v22, v2 :: v_dual_mov_b32 v3, s20
	v_mov_b32_e32 v4, s21
	s_delay_alu instid0(VALU_DEP_3)
	v_and_b32_e32 v10, 1, v32
	v_lshlrev_b32_e32 v11, 30, v32
	v_lshlrev_b32_e32 v12, 29, v32
	;; [unrolled: 1-line block ×4, first 2 shown]
	v_add_co_u32 v10, s10, v10, -1
	s_delay_alu instid0(VALU_DEP_1)
	v_cndmask_b32_e64 v14, 0, 1, s10
	v_not_b32_e32 v19, v11
	v_cmp_gt_i32_e64 s10, 0, v11
	v_not_b32_e32 v11, v12
	v_lshlrev_b32_e32 v16, 26, v32
	v_cmp_ne_u32_e32 vcc_lo, 0, v14
	v_ashrrev_i32_e32 v19, 31, v19
	v_lshlrev_b32_e32 v18, 25, v32
	v_ashrrev_i32_e32 v11, 31, v11
	v_lshlrev_b32_e32 v14, 24, v32
	v_xor_b32_e32 v10, vcc_lo, v10
	v_cmp_gt_i32_e32 vcc_lo, 0, v12
	v_not_b32_e32 v12, v13
	v_xor_b32_e32 v19, s10, v19
	v_cmp_gt_i32_e64 s10, 0, v13
	v_and_b32_e32 v10, exec_lo, v10
	v_not_b32_e32 v13, v15
	v_ashrrev_i32_e32 v12, 31, v12
	v_xor_b32_e32 v11, vcc_lo, v11
	v_cmp_gt_i32_e32 vcc_lo, 0, v15
	v_and_b32_e32 v10, v10, v19
	v_not_b32_e32 v15, v16
	v_ashrrev_i32_e32 v13, 31, v13
	v_xor_b32_e32 v12, s10, v12
	v_cmp_gt_i32_e64 s10, 0, v16
	v_and_b32_e32 v10, v10, v11
	v_not_b32_e32 v11, v18
	v_ashrrev_i32_e32 v15, 31, v15
	v_xor_b32_e32 v13, vcc_lo, v13
	v_cmp_gt_i32_e32 vcc_lo, 0, v18
	v_and_b32_e32 v10, v10, v12
	v_ashrrev_i32_e32 v11, 31, v11
	v_xor_b32_e32 v15, s10, v15
	s_delay_alu instid0(VALU_DEP_3) | instskip(NEXT) | instid1(VALU_DEP_3)
	v_and_b32_e32 v10, v10, v13
	v_xor_b32_e32 v18, vcc_lo, v11
	s_delay_alu instid0(VALU_DEP_2) | instskip(SKIP_1) | instid1(VALU_DEP_2)
	v_and_b32_e32 v19, v10, v15
	v_dual_mov_b32 v10, v30 :: v_dual_mov_b32 v11, v31
	v_and_b32_e32 v24, v19, v18
	v_mov_b32_e32 v19, v7
	v_not_b32_e32 v12, v14
	v_cmp_gt_i32_e64 s10, 0, v14
	v_mov_b32_e32 v14, v26
	v_dual_mov_b32 v18, v6 :: v_dual_mov_b32 v5, s14
	s_delay_alu instid0(VALU_DEP_4) | instskip(SKIP_2) | instid1(VALU_DEP_3)
	v_ashrrev_i32_e32 v16, 31, v12
	v_dual_mov_b32 v12, v28 :: v_dual_mov_b32 v13, v29
	v_dual_mov_b32 v15, v27 :: v_dual_mov_b32 v6, s15
	v_xor_b32_e32 v16, s10, v16
	ds_store_2addr_b64 v40, v[3:4], v[5:6] offset0:5 offset1:6
	ds_store_2addr_b64 v44, v[3:4], v[5:6] offset0:2 offset1:3
	v_dual_mov_b32 v25, v1 :: v_dual_and_b32 v2, v24, v16
	v_mov_b32_e32 v24, v0
	v_and_b32_e32 v0, 0xff, v32
	s_waitcnt lgkmcnt(0)
	s_delay_alu instid0(VALU_DEP_3)
	v_mbcnt_lo_u32_b32 v16, v2, 0
	v_cmp_ne_u32_e64 s10, 0, v2
	s_barrier
	v_mad_u32_u24 v0, v0, 10, v45
	buffer_gl0_inv
	v_cmp_eq_u32_e32 vcc_lo, 0, v16
	; wave barrier
	v_lshl_add_u32 v26, v0, 2, 40
	s_and_b32 s22, s10, vcc_lo
	s_delay_alu instid0(SALU_CYCLE_1)
	s_and_saveexec_b32 s10, s22
	s_cbranch_execz .LBB134_6
; %bb.5:                                ;   in Loop: Header=BB134_4 Depth=2
	v_bcnt_u32_b32 v0, v2, 0
	ds_store_b32 v26, v0
.LBB134_6:                              ;   in Loop: Header=BB134_4 Depth=2
	s_or_b32 exec_lo, exec_lo, s10
	v_lshrrev_b64 v[0:1], s16, v[24:25]
	; wave barrier
	s_delay_alu instid0(VALU_DEP_1)
	v_and_b32_e32 v2, 1, v0
	v_lshlrev_b32_e32 v3, 30, v0
	v_lshlrev_b32_e32 v4, 29, v0
	;; [unrolled: 1-line block ×4, first 2 shown]
	v_add_co_u32 v2, s10, v2, -1
	s_delay_alu instid0(VALU_DEP_1)
	v_cndmask_b32_e64 v6, 0, 1, s10
	v_not_b32_e32 v29, v3
	v_cmp_gt_i32_e64 s10, 0, v3
	v_not_b32_e32 v3, v4
	v_lshlrev_b32_e32 v27, 26, v0
	v_cmp_ne_u32_e32 vcc_lo, 0, v6
	v_ashrrev_i32_e32 v6, 31, v29
	v_lshlrev_b32_e32 v28, 25, v0
	v_ashrrev_i32_e32 v3, 31, v3
	v_and_b32_e32 v1, 0xff, v0
	v_xor_b32_e32 v2, vcc_lo, v2
	v_cmp_gt_i32_e32 vcc_lo, 0, v4
	v_not_b32_e32 v4, v5
	v_xor_b32_e32 v6, s10, v6
	v_cmp_gt_i32_e64 s10, 0, v5
	v_and_b32_e32 v2, exec_lo, v2
	v_not_b32_e32 v5, v7
	v_ashrrev_i32_e32 v4, 31, v4
	v_xor_b32_e32 v3, vcc_lo, v3
	v_cmp_gt_i32_e32 vcc_lo, 0, v7
	v_and_b32_e32 v2, v2, v6
	v_not_b32_e32 v6, v27
	v_ashrrev_i32_e32 v5, 31, v5
	v_xor_b32_e32 v4, s10, v4
	v_lshlrev_b32_e32 v0, 24, v0
	v_and_b32_e32 v2, v2, v3
	v_cmp_gt_i32_e64 s10, 0, v27
	v_not_b32_e32 v3, v28
	v_ashrrev_i32_e32 v6, 31, v6
	v_xor_b32_e32 v5, vcc_lo, v5
	v_and_b32_e32 v2, v2, v4
	v_cmp_gt_i32_e32 vcc_lo, 0, v28
	v_not_b32_e32 v4, v0
	v_ashrrev_i32_e32 v3, 31, v3
	v_xor_b32_e32 v6, s10, v6
	v_and_b32_e32 v2, v2, v5
	v_mul_u32_u24_e32 v1, 10, v1
	v_cmp_gt_i32_e64 s10, 0, v0
	v_ashrrev_i32_e32 v0, 31, v4
	v_xor_b32_e32 v3, vcc_lo, v3
	v_and_b32_e32 v2, v2, v6
	v_add_lshl_u32 v1, v1, v45, 2
	s_delay_alu instid0(VALU_DEP_4) | instskip(NEXT) | instid1(VALU_DEP_3)
	v_xor_b32_e32 v0, s10, v0
	v_and_b32_e32 v2, v2, v3
	ds_load_b32 v27, v1 offset:40
	v_add_nc_u32_e32 v29, 40, v1
	; wave barrier
	v_and_b32_e32 v0, v2, v0
	s_delay_alu instid0(VALU_DEP_1) | instskip(SKIP_1) | instid1(VALU_DEP_2)
	v_mbcnt_lo_u32_b32 v28, v0, 0
	v_cmp_ne_u32_e64 s10, 0, v0
	v_cmp_eq_u32_e32 vcc_lo, 0, v28
	s_delay_alu instid0(VALU_DEP_2) | instskip(NEXT) | instid1(SALU_CYCLE_1)
	s_and_b32 s22, s10, vcc_lo
	s_and_saveexec_b32 s10, s22
	s_cbranch_execz .LBB134_8
; %bb.7:                                ;   in Loop: Header=BB134_4 Depth=2
	s_waitcnt lgkmcnt(0)
	v_bcnt_u32_b32 v0, v0, v27
	ds_store_b32 v29, v0
.LBB134_8:                              ;   in Loop: Header=BB134_4 Depth=2
	s_or_b32 exec_lo, exec_lo, s10
	v_lshrrev_b64 v[0:1], s16, v[22:23]
	; wave barrier
	s_delay_alu instid0(VALU_DEP_1)
	v_and_b32_e32 v2, 1, v0
	v_lshlrev_b32_e32 v3, 30, v0
	v_lshlrev_b32_e32 v4, 29, v0
	;; [unrolled: 1-line block ×4, first 2 shown]
	v_add_co_u32 v2, s10, v2, -1
	s_delay_alu instid0(VALU_DEP_1)
	v_cndmask_b32_e64 v6, 0, 1, s10
	v_not_b32_e32 v32, v3
	v_cmp_gt_i32_e64 s10, 0, v3
	v_not_b32_e32 v3, v4
	v_lshlrev_b32_e32 v30, 26, v0
	v_cmp_ne_u32_e32 vcc_lo, 0, v6
	v_ashrrev_i32_e32 v6, 31, v32
	v_lshlrev_b32_e32 v31, 25, v0
	v_ashrrev_i32_e32 v3, 31, v3
	v_and_b32_e32 v1, 0xff, v0
	v_xor_b32_e32 v2, vcc_lo, v2
	v_cmp_gt_i32_e32 vcc_lo, 0, v4
	v_not_b32_e32 v4, v5
	v_xor_b32_e32 v6, s10, v6
	v_cmp_gt_i32_e64 s10, 0, v5
	v_and_b32_e32 v2, exec_lo, v2
	v_not_b32_e32 v5, v7
	v_ashrrev_i32_e32 v4, 31, v4
	v_xor_b32_e32 v3, vcc_lo, v3
	v_cmp_gt_i32_e32 vcc_lo, 0, v7
	v_and_b32_e32 v2, v2, v6
	v_not_b32_e32 v6, v30
	v_ashrrev_i32_e32 v5, 31, v5
	v_xor_b32_e32 v4, s10, v4
	v_lshlrev_b32_e32 v0, 24, v0
	v_and_b32_e32 v2, v2, v3
	v_cmp_gt_i32_e64 s10, 0, v30
	v_not_b32_e32 v3, v31
	v_ashrrev_i32_e32 v6, 31, v6
	v_xor_b32_e32 v5, vcc_lo, v5
	v_and_b32_e32 v2, v2, v4
	v_cmp_gt_i32_e32 vcc_lo, 0, v31
	v_not_b32_e32 v4, v0
	v_ashrrev_i32_e32 v3, 31, v3
	v_xor_b32_e32 v6, s10, v6
	v_and_b32_e32 v2, v2, v5
	v_mul_u32_u24_e32 v1, 10, v1
	v_cmp_gt_i32_e64 s10, 0, v0
	v_ashrrev_i32_e32 v0, 31, v4
	v_xor_b32_e32 v3, vcc_lo, v3
	v_and_b32_e32 v2, v2, v6
	v_add_lshl_u32 v1, v1, v45, 2
	s_delay_alu instid0(VALU_DEP_4) | instskip(NEXT) | instid1(VALU_DEP_3)
	v_xor_b32_e32 v0, s10, v0
	v_and_b32_e32 v2, v2, v3
	ds_load_b32 v30, v1 offset:40
	v_add_nc_u32_e32 v32, 40, v1
	; wave barrier
	v_and_b32_e32 v0, v2, v0
	s_delay_alu instid0(VALU_DEP_1) | instskip(SKIP_1) | instid1(VALU_DEP_2)
	v_mbcnt_lo_u32_b32 v31, v0, 0
	v_cmp_ne_u32_e64 s10, 0, v0
	v_cmp_eq_u32_e32 vcc_lo, 0, v31
	s_delay_alu instid0(VALU_DEP_2) | instskip(NEXT) | instid1(SALU_CYCLE_1)
	s_and_b32 s22, s10, vcc_lo
	s_and_saveexec_b32 s10, s22
	s_cbranch_execz .LBB134_10
; %bb.9:                                ;   in Loop: Header=BB134_4 Depth=2
	s_waitcnt lgkmcnt(0)
	v_bcnt_u32_b32 v0, v0, v30
	ds_store_b32 v32, v0
.LBB134_10:                             ;   in Loop: Header=BB134_4 Depth=2
	s_or_b32 exec_lo, exec_lo, s10
	v_lshrrev_b64 v[0:1], s16, v[20:21]
	; wave barrier
	s_delay_alu instid0(VALU_DEP_1)
	v_and_b32_e32 v2, 1, v0
	v_lshlrev_b32_e32 v3, 30, v0
	v_lshlrev_b32_e32 v4, 29, v0
	;; [unrolled: 1-line block ×4, first 2 shown]
	v_add_co_u32 v2, s10, v2, -1
	s_delay_alu instid0(VALU_DEP_1)
	v_cndmask_b32_e64 v6, 0, 1, s10
	v_not_b32_e32 v52, v3
	v_cmp_gt_i32_e64 s10, 0, v3
	v_not_b32_e32 v3, v4
	v_lshlrev_b32_e32 v33, 26, v0
	v_cmp_ne_u32_e32 vcc_lo, 0, v6
	v_ashrrev_i32_e32 v6, 31, v52
	v_lshlrev_b32_e32 v51, 25, v0
	v_ashrrev_i32_e32 v3, 31, v3
	v_and_b32_e32 v1, 0xff, v0
	v_xor_b32_e32 v2, vcc_lo, v2
	v_cmp_gt_i32_e32 vcc_lo, 0, v4
	v_not_b32_e32 v4, v5
	v_xor_b32_e32 v6, s10, v6
	v_cmp_gt_i32_e64 s10, 0, v5
	v_and_b32_e32 v2, exec_lo, v2
	v_not_b32_e32 v5, v7
	v_ashrrev_i32_e32 v4, 31, v4
	v_xor_b32_e32 v3, vcc_lo, v3
	v_cmp_gt_i32_e32 vcc_lo, 0, v7
	v_and_b32_e32 v2, v2, v6
	v_not_b32_e32 v6, v33
	v_ashrrev_i32_e32 v5, 31, v5
	v_xor_b32_e32 v4, s10, v4
	v_lshlrev_b32_e32 v0, 24, v0
	v_and_b32_e32 v2, v2, v3
	v_cmp_gt_i32_e64 s10, 0, v33
	v_not_b32_e32 v3, v51
	v_ashrrev_i32_e32 v6, 31, v6
	v_xor_b32_e32 v5, vcc_lo, v5
	v_and_b32_e32 v2, v2, v4
	v_cmp_gt_i32_e32 vcc_lo, 0, v51
	v_not_b32_e32 v4, v0
	v_ashrrev_i32_e32 v3, 31, v3
	v_xor_b32_e32 v6, s10, v6
	v_and_b32_e32 v2, v2, v5
	v_mul_u32_u24_e32 v1, 10, v1
	v_cmp_gt_i32_e64 s10, 0, v0
	v_ashrrev_i32_e32 v0, 31, v4
	v_xor_b32_e32 v3, vcc_lo, v3
	v_and_b32_e32 v2, v2, v6
	v_add_lshl_u32 v1, v1, v45, 2
	s_delay_alu instid0(VALU_DEP_4) | instskip(NEXT) | instid1(VALU_DEP_3)
	v_xor_b32_e32 v0, s10, v0
	v_and_b32_e32 v2, v2, v3
	ds_load_b32 v33, v1 offset:40
	v_add_nc_u32_e32 v52, 40, v1
	; wave barrier
	v_and_b32_e32 v0, v2, v0
	s_delay_alu instid0(VALU_DEP_1) | instskip(SKIP_1) | instid1(VALU_DEP_2)
	v_mbcnt_lo_u32_b32 v51, v0, 0
	v_cmp_ne_u32_e64 s10, 0, v0
	v_cmp_eq_u32_e32 vcc_lo, 0, v51
	s_delay_alu instid0(VALU_DEP_2) | instskip(NEXT) | instid1(SALU_CYCLE_1)
	s_and_b32 s22, s10, vcc_lo
	s_and_saveexec_b32 s10, s22
	s_cbranch_execz .LBB134_12
; %bb.11:                               ;   in Loop: Header=BB134_4 Depth=2
	s_waitcnt lgkmcnt(0)
	v_bcnt_u32_b32 v0, v0, v33
	ds_store_b32 v52, v0
.LBB134_12:                             ;   in Loop: Header=BB134_4 Depth=2
	s_or_b32 exec_lo, exec_lo, s10
	v_lshrrev_b64 v[0:1], s16, v[18:19]
	; wave barrier
	s_delay_alu instid0(VALU_DEP_1)
	v_and_b32_e32 v2, 1, v0
	v_lshlrev_b32_e32 v3, 30, v0
	v_lshlrev_b32_e32 v4, 29, v0
	;; [unrolled: 1-line block ×4, first 2 shown]
	v_add_co_u32 v2, s10, v2, -1
	s_delay_alu instid0(VALU_DEP_1)
	v_cndmask_b32_e64 v6, 0, 1, s10
	v_not_b32_e32 v55, v3
	v_cmp_gt_i32_e64 s10, 0, v3
	v_not_b32_e32 v3, v4
	v_lshlrev_b32_e32 v53, 26, v0
	v_cmp_ne_u32_e32 vcc_lo, 0, v6
	v_ashrrev_i32_e32 v6, 31, v55
	v_lshlrev_b32_e32 v54, 25, v0
	v_ashrrev_i32_e32 v3, 31, v3
	v_and_b32_e32 v1, 0xff, v0
	v_xor_b32_e32 v2, vcc_lo, v2
	v_cmp_gt_i32_e32 vcc_lo, 0, v4
	v_not_b32_e32 v4, v5
	v_xor_b32_e32 v6, s10, v6
	v_cmp_gt_i32_e64 s10, 0, v5
	v_and_b32_e32 v2, exec_lo, v2
	v_not_b32_e32 v5, v7
	v_ashrrev_i32_e32 v4, 31, v4
	v_xor_b32_e32 v3, vcc_lo, v3
	v_cmp_gt_i32_e32 vcc_lo, 0, v7
	v_and_b32_e32 v2, v2, v6
	v_not_b32_e32 v6, v53
	v_ashrrev_i32_e32 v5, 31, v5
	v_xor_b32_e32 v4, s10, v4
	v_lshlrev_b32_e32 v0, 24, v0
	v_and_b32_e32 v2, v2, v3
	v_cmp_gt_i32_e64 s10, 0, v53
	v_not_b32_e32 v3, v54
	v_ashrrev_i32_e32 v6, 31, v6
	v_xor_b32_e32 v5, vcc_lo, v5
	v_and_b32_e32 v2, v2, v4
	v_cmp_gt_i32_e32 vcc_lo, 0, v54
	v_not_b32_e32 v4, v0
	v_ashrrev_i32_e32 v3, 31, v3
	v_xor_b32_e32 v6, s10, v6
	v_and_b32_e32 v2, v2, v5
	v_mul_u32_u24_e32 v1, 10, v1
	v_cmp_gt_i32_e64 s10, 0, v0
	v_ashrrev_i32_e32 v0, 31, v4
	v_xor_b32_e32 v3, vcc_lo, v3
	v_and_b32_e32 v2, v2, v6
	v_add_lshl_u32 v1, v1, v45, 2
	s_delay_alu instid0(VALU_DEP_4) | instskip(NEXT) | instid1(VALU_DEP_3)
	v_xor_b32_e32 v0, s10, v0
	v_and_b32_e32 v2, v2, v3
	ds_load_b32 v53, v1 offset:40
	v_add_nc_u32_e32 v55, 40, v1
	; wave barrier
	v_and_b32_e32 v0, v2, v0
	s_delay_alu instid0(VALU_DEP_1) | instskip(SKIP_1) | instid1(VALU_DEP_2)
	v_mbcnt_lo_u32_b32 v54, v0, 0
	v_cmp_ne_u32_e64 s10, 0, v0
	v_cmp_eq_u32_e32 vcc_lo, 0, v54
	s_delay_alu instid0(VALU_DEP_2) | instskip(NEXT) | instid1(SALU_CYCLE_1)
	s_and_b32 s22, s10, vcc_lo
	s_and_saveexec_b32 s10, s22
	s_cbranch_execz .LBB134_14
; %bb.13:                               ;   in Loop: Header=BB134_4 Depth=2
	s_waitcnt lgkmcnt(0)
	v_bcnt_u32_b32 v0, v0, v53
	ds_store_b32 v55, v0
.LBB134_14:                             ;   in Loop: Header=BB134_4 Depth=2
	s_or_b32 exec_lo, exec_lo, s10
	v_lshrrev_b64 v[0:1], s16, v[14:15]
	; wave barrier
	s_delay_alu instid0(VALU_DEP_1)
	v_and_b32_e32 v2, 1, v0
	v_lshlrev_b32_e32 v3, 30, v0
	v_lshlrev_b32_e32 v4, 29, v0
	;; [unrolled: 1-line block ×4, first 2 shown]
	v_add_co_u32 v2, s10, v2, -1
	s_delay_alu instid0(VALU_DEP_1)
	v_cndmask_b32_e64 v6, 0, 1, s10
	v_not_b32_e32 v58, v3
	v_cmp_gt_i32_e64 s10, 0, v3
	v_not_b32_e32 v3, v4
	v_lshlrev_b32_e32 v56, 26, v0
	v_cmp_ne_u32_e32 vcc_lo, 0, v6
	v_ashrrev_i32_e32 v6, 31, v58
	v_lshlrev_b32_e32 v57, 25, v0
	v_ashrrev_i32_e32 v3, 31, v3
	v_and_b32_e32 v1, 0xff, v0
	v_xor_b32_e32 v2, vcc_lo, v2
	v_cmp_gt_i32_e32 vcc_lo, 0, v4
	v_not_b32_e32 v4, v5
	v_xor_b32_e32 v6, s10, v6
	v_cmp_gt_i32_e64 s10, 0, v5
	v_and_b32_e32 v2, exec_lo, v2
	v_not_b32_e32 v5, v7
	v_ashrrev_i32_e32 v4, 31, v4
	v_xor_b32_e32 v3, vcc_lo, v3
	v_cmp_gt_i32_e32 vcc_lo, 0, v7
	v_and_b32_e32 v2, v2, v6
	v_not_b32_e32 v6, v56
	v_ashrrev_i32_e32 v5, 31, v5
	v_xor_b32_e32 v4, s10, v4
	v_lshlrev_b32_e32 v0, 24, v0
	v_and_b32_e32 v2, v2, v3
	v_cmp_gt_i32_e64 s10, 0, v56
	v_not_b32_e32 v3, v57
	v_ashrrev_i32_e32 v6, 31, v6
	v_xor_b32_e32 v5, vcc_lo, v5
	v_and_b32_e32 v2, v2, v4
	v_cmp_gt_i32_e32 vcc_lo, 0, v57
	v_not_b32_e32 v4, v0
	v_ashrrev_i32_e32 v3, 31, v3
	v_xor_b32_e32 v6, s10, v6
	v_and_b32_e32 v2, v2, v5
	v_mul_u32_u24_e32 v1, 10, v1
	v_cmp_gt_i32_e64 s10, 0, v0
	v_ashrrev_i32_e32 v0, 31, v4
	v_xor_b32_e32 v3, vcc_lo, v3
	v_and_b32_e32 v2, v2, v6
	v_add_lshl_u32 v1, v1, v45, 2
	s_delay_alu instid0(VALU_DEP_4) | instskip(NEXT) | instid1(VALU_DEP_3)
	v_xor_b32_e32 v0, s10, v0
	v_and_b32_e32 v2, v2, v3
	ds_load_b32 v56, v1 offset:40
	v_add_nc_u32_e32 v58, 40, v1
	; wave barrier
	v_and_b32_e32 v0, v2, v0
	s_delay_alu instid0(VALU_DEP_1) | instskip(SKIP_1) | instid1(VALU_DEP_2)
	v_mbcnt_lo_u32_b32 v57, v0, 0
	v_cmp_ne_u32_e64 s10, 0, v0
	v_cmp_eq_u32_e32 vcc_lo, 0, v57
	s_delay_alu instid0(VALU_DEP_2) | instskip(NEXT) | instid1(SALU_CYCLE_1)
	s_and_b32 s22, s10, vcc_lo
	s_and_saveexec_b32 s10, s22
	s_cbranch_execz .LBB134_16
; %bb.15:                               ;   in Loop: Header=BB134_4 Depth=2
	s_waitcnt lgkmcnt(0)
	v_bcnt_u32_b32 v0, v0, v56
	ds_store_b32 v58, v0
.LBB134_16:                             ;   in Loop: Header=BB134_4 Depth=2
	s_or_b32 exec_lo, exec_lo, s10
	v_lshrrev_b64 v[0:1], s16, v[12:13]
	; wave barrier
	s_delay_alu instid0(VALU_DEP_1)
	v_and_b32_e32 v2, 1, v0
	v_lshlrev_b32_e32 v3, 30, v0
	v_lshlrev_b32_e32 v4, 29, v0
	;; [unrolled: 1-line block ×4, first 2 shown]
	v_add_co_u32 v2, s10, v2, -1
	s_delay_alu instid0(VALU_DEP_1)
	v_cndmask_b32_e64 v6, 0, 1, s10
	v_not_b32_e32 v61, v3
	v_cmp_gt_i32_e64 s10, 0, v3
	v_not_b32_e32 v3, v4
	v_lshlrev_b32_e32 v59, 26, v0
	v_cmp_ne_u32_e32 vcc_lo, 0, v6
	v_ashrrev_i32_e32 v6, 31, v61
	v_lshlrev_b32_e32 v60, 25, v0
	v_ashrrev_i32_e32 v3, 31, v3
	v_and_b32_e32 v1, 0xff, v0
	v_xor_b32_e32 v2, vcc_lo, v2
	v_cmp_gt_i32_e32 vcc_lo, 0, v4
	v_not_b32_e32 v4, v5
	v_xor_b32_e32 v6, s10, v6
	v_cmp_gt_i32_e64 s10, 0, v5
	v_and_b32_e32 v2, exec_lo, v2
	v_not_b32_e32 v5, v7
	v_ashrrev_i32_e32 v4, 31, v4
	v_xor_b32_e32 v3, vcc_lo, v3
	v_cmp_gt_i32_e32 vcc_lo, 0, v7
	v_and_b32_e32 v2, v2, v6
	v_not_b32_e32 v6, v59
	v_ashrrev_i32_e32 v5, 31, v5
	v_xor_b32_e32 v4, s10, v4
	v_lshlrev_b32_e32 v0, 24, v0
	v_and_b32_e32 v2, v2, v3
	v_cmp_gt_i32_e64 s10, 0, v59
	v_not_b32_e32 v3, v60
	v_ashrrev_i32_e32 v6, 31, v6
	v_xor_b32_e32 v5, vcc_lo, v5
	v_and_b32_e32 v2, v2, v4
	v_cmp_gt_i32_e32 vcc_lo, 0, v60
	v_not_b32_e32 v4, v0
	v_ashrrev_i32_e32 v3, 31, v3
	v_xor_b32_e32 v6, s10, v6
	v_and_b32_e32 v2, v2, v5
	v_mul_u32_u24_e32 v1, 10, v1
	v_cmp_gt_i32_e64 s10, 0, v0
	v_ashrrev_i32_e32 v0, 31, v4
	v_xor_b32_e32 v3, vcc_lo, v3
	v_and_b32_e32 v2, v2, v6
	v_add_lshl_u32 v1, v1, v45, 2
	s_delay_alu instid0(VALU_DEP_4) | instskip(NEXT) | instid1(VALU_DEP_3)
	v_xor_b32_e32 v0, s10, v0
	v_and_b32_e32 v2, v2, v3
	ds_load_b32 v59, v1 offset:40
	v_add_nc_u32_e32 v61, 40, v1
	; wave barrier
	v_and_b32_e32 v0, v2, v0
	s_delay_alu instid0(VALU_DEP_1) | instskip(SKIP_1) | instid1(VALU_DEP_2)
	v_mbcnt_lo_u32_b32 v60, v0, 0
	v_cmp_ne_u32_e64 s10, 0, v0
	v_cmp_eq_u32_e32 vcc_lo, 0, v60
	s_delay_alu instid0(VALU_DEP_2) | instskip(NEXT) | instid1(SALU_CYCLE_1)
	s_and_b32 s22, s10, vcc_lo
	s_and_saveexec_b32 s10, s22
	s_cbranch_execz .LBB134_18
; %bb.17:                               ;   in Loop: Header=BB134_4 Depth=2
	s_waitcnt lgkmcnt(0)
	v_bcnt_u32_b32 v0, v0, v59
	ds_store_b32 v61, v0
.LBB134_18:                             ;   in Loop: Header=BB134_4 Depth=2
	s_or_b32 exec_lo, exec_lo, s10
	v_lshrrev_b64 v[0:1], s16, v[10:11]
	; wave barrier
	s_delay_alu instid0(VALU_DEP_1)
	v_and_b32_e32 v2, 1, v0
	v_lshlrev_b32_e32 v3, 30, v0
	v_lshlrev_b32_e32 v4, 29, v0
	;; [unrolled: 1-line block ×4, first 2 shown]
	v_add_co_u32 v2, s10, v2, -1
	s_delay_alu instid0(VALU_DEP_1)
	v_cndmask_b32_e64 v6, 0, 1, s10
	v_not_b32_e32 v64, v3
	v_cmp_gt_i32_e64 s10, 0, v3
	v_not_b32_e32 v3, v4
	v_lshlrev_b32_e32 v62, 26, v0
	v_cmp_ne_u32_e32 vcc_lo, 0, v6
	v_ashrrev_i32_e32 v6, 31, v64
	v_lshlrev_b32_e32 v63, 25, v0
	v_ashrrev_i32_e32 v3, 31, v3
	v_and_b32_e32 v1, 0xff, v0
	v_xor_b32_e32 v2, vcc_lo, v2
	v_cmp_gt_i32_e32 vcc_lo, 0, v4
	v_not_b32_e32 v4, v5
	v_xor_b32_e32 v6, s10, v6
	v_cmp_gt_i32_e64 s10, 0, v5
	v_and_b32_e32 v2, exec_lo, v2
	v_not_b32_e32 v5, v7
	v_ashrrev_i32_e32 v4, 31, v4
	v_xor_b32_e32 v3, vcc_lo, v3
	v_cmp_gt_i32_e32 vcc_lo, 0, v7
	v_and_b32_e32 v2, v2, v6
	v_not_b32_e32 v6, v62
	v_ashrrev_i32_e32 v5, 31, v5
	v_xor_b32_e32 v4, s10, v4
	v_lshlrev_b32_e32 v0, 24, v0
	v_and_b32_e32 v2, v2, v3
	v_cmp_gt_i32_e64 s10, 0, v62
	v_not_b32_e32 v3, v63
	v_ashrrev_i32_e32 v6, 31, v6
	v_xor_b32_e32 v5, vcc_lo, v5
	v_and_b32_e32 v2, v2, v4
	v_cmp_gt_i32_e32 vcc_lo, 0, v63
	v_not_b32_e32 v4, v0
	v_ashrrev_i32_e32 v3, 31, v3
	v_xor_b32_e32 v6, s10, v6
	v_and_b32_e32 v2, v2, v5
	v_mul_u32_u24_e32 v1, 10, v1
	v_cmp_gt_i32_e64 s10, 0, v0
	v_ashrrev_i32_e32 v0, 31, v4
	v_xor_b32_e32 v3, vcc_lo, v3
	v_and_b32_e32 v2, v2, v6
	v_add_lshl_u32 v1, v1, v45, 2
	s_delay_alu instid0(VALU_DEP_4) | instskip(NEXT) | instid1(VALU_DEP_3)
	v_xor_b32_e32 v0, s10, v0
	v_and_b32_e32 v2, v2, v3
	ds_load_b32 v62, v1 offset:40
	v_add_nc_u32_e32 v64, 40, v1
	; wave barrier
	v_and_b32_e32 v0, v2, v0
	s_delay_alu instid0(VALU_DEP_1) | instskip(SKIP_1) | instid1(VALU_DEP_2)
	v_mbcnt_lo_u32_b32 v63, v0, 0
	v_cmp_ne_u32_e64 s10, 0, v0
	v_cmp_eq_u32_e32 vcc_lo, 0, v63
	s_delay_alu instid0(VALU_DEP_2) | instskip(NEXT) | instid1(SALU_CYCLE_1)
	s_and_b32 s22, s10, vcc_lo
	s_and_saveexec_b32 s10, s22
	s_cbranch_execz .LBB134_20
; %bb.19:                               ;   in Loop: Header=BB134_4 Depth=2
	s_waitcnt lgkmcnt(0)
	v_bcnt_u32_b32 v0, v0, v62
	ds_store_b32 v64, v0
.LBB134_20:                             ;   in Loop: Header=BB134_4 Depth=2
	s_or_b32 exec_lo, exec_lo, s10
	; wave barrier
	s_waitcnt lgkmcnt(0)
	s_barrier
	buffer_gl0_inv
	ds_load_2addr_b64 v[4:7], v40 offset0:5 offset1:6
	ds_load_2addr_b64 v[0:3], v44 offset0:2 offset1:3
	s_waitcnt lgkmcnt(1)
	v_add_nc_u32_e32 v65, v5, v4
	s_delay_alu instid0(VALU_DEP_1) | instskip(SKIP_1) | instid1(VALU_DEP_1)
	v_add3_u32 v65, v65, v6, v7
	s_waitcnt lgkmcnt(0)
	v_add3_u32 v65, v65, v0, v1
	s_delay_alu instid0(VALU_DEP_1) | instskip(NEXT) | instid1(VALU_DEP_1)
	v_add3_u32 v3, v65, v2, v3
	v_mov_b32_dpp v65, v3 row_shr:1 row_mask:0xf bank_mask:0xf
	s_delay_alu instid0(VALU_DEP_1) | instskip(NEXT) | instid1(VALU_DEP_1)
	v_cndmask_b32_e64 v65, v65, 0, s0
	v_add_nc_u32_e32 v3, v65, v3
	s_delay_alu instid0(VALU_DEP_1) | instskip(NEXT) | instid1(VALU_DEP_1)
	v_mov_b32_dpp v65, v3 row_shr:2 row_mask:0xf bank_mask:0xf
	v_cndmask_b32_e64 v65, 0, v65, s1
	s_delay_alu instid0(VALU_DEP_1) | instskip(NEXT) | instid1(VALU_DEP_1)
	v_add_nc_u32_e32 v3, v3, v65
	v_mov_b32_dpp v65, v3 row_shr:4 row_mask:0xf bank_mask:0xf
	s_delay_alu instid0(VALU_DEP_1) | instskip(NEXT) | instid1(VALU_DEP_1)
	v_cndmask_b32_e64 v65, 0, v65, s2
	v_add_nc_u32_e32 v3, v3, v65
	s_delay_alu instid0(VALU_DEP_1) | instskip(NEXT) | instid1(VALU_DEP_1)
	v_mov_b32_dpp v65, v3 row_shr:8 row_mask:0xf bank_mask:0xf
	v_cndmask_b32_e64 v65, 0, v65, s3
	s_delay_alu instid0(VALU_DEP_1) | instskip(SKIP_3) | instid1(VALU_DEP_1)
	v_add_nc_u32_e32 v3, v3, v65
	ds_swizzle_b32 v65, v3 offset:swizzle(BROADCAST,32,15)
	s_waitcnt lgkmcnt(0)
	v_cndmask_b32_e64 v65, v65, 0, s4
	v_add_nc_u32_e32 v3, v3, v65
	s_and_saveexec_b32 s10, s5
	s_cbranch_execz .LBB134_22
; %bb.21:                               ;   in Loop: Header=BB134_4 Depth=2
	ds_store_b32 v47, v3
.LBB134_22:                             ;   in Loop: Header=BB134_4 Depth=2
	s_or_b32 exec_lo, exec_lo, s10
	s_waitcnt lgkmcnt(0)
	s_barrier
	buffer_gl0_inv
	s_and_saveexec_b32 s10, s6
	s_cbranch_execz .LBB134_24
; %bb.23:                               ;   in Loop: Header=BB134_4 Depth=2
	ds_load_b32 v65, v50
	s_waitcnt lgkmcnt(0)
	v_mov_b32_dpp v66, v65 row_shr:1 row_mask:0xf bank_mask:0xf
	s_delay_alu instid0(VALU_DEP_1) | instskip(NEXT) | instid1(VALU_DEP_1)
	v_cndmask_b32_e64 v66, v66, 0, s0
	v_add_nc_u32_e32 v65, v66, v65
	s_delay_alu instid0(VALU_DEP_1) | instskip(NEXT) | instid1(VALU_DEP_1)
	v_mov_b32_dpp v66, v65 row_shr:2 row_mask:0xf bank_mask:0xf
	v_cndmask_b32_e64 v66, 0, v66, s1
	s_delay_alu instid0(VALU_DEP_1) | instskip(NEXT) | instid1(VALU_DEP_1)
	v_add_nc_u32_e32 v65, v65, v66
	v_mov_b32_dpp v66, v65 row_shr:4 row_mask:0xf bank_mask:0xf
	s_delay_alu instid0(VALU_DEP_1) | instskip(NEXT) | instid1(VALU_DEP_1)
	v_cndmask_b32_e64 v66, 0, v66, s2
	v_add_nc_u32_e32 v65, v65, v66
	s_delay_alu instid0(VALU_DEP_1) | instskip(NEXT) | instid1(VALU_DEP_1)
	v_mov_b32_dpp v66, v65 row_shr:8 row_mask:0xf bank_mask:0xf
	v_cndmask_b32_e64 v66, 0, v66, s3
	s_delay_alu instid0(VALU_DEP_1)
	v_add_nc_u32_e32 v65, v65, v66
	ds_store_b32 v50, v65
.LBB134_24:                             ;   in Loop: Header=BB134_4 Depth=2
	s_or_b32 exec_lo, exec_lo, s10
	v_mov_b32_e32 v65, 0
	s_waitcnt lgkmcnt(0)
	s_barrier
	buffer_gl0_inv
	s_and_saveexec_b32 s10, s7
	s_cbranch_execz .LBB134_26
; %bb.25:                               ;   in Loop: Header=BB134_4 Depth=2
	ds_load_b32 v65, v48
.LBB134_26:                             ;   in Loop: Header=BB134_4 Depth=2
	s_or_b32 exec_lo, exec_lo, s10
	s_waitcnt lgkmcnt(0)
	v_add_nc_u32_e32 v3, v65, v3
	s_cmp_gt_u32 s16, 55
	ds_bpermute_b32 v3, v46, v3
	s_waitcnt lgkmcnt(0)
	v_cndmask_b32_e64 v3, v3, v65, s8
	s_delay_alu instid0(VALU_DEP_1) | instskip(NEXT) | instid1(VALU_DEP_1)
	v_cndmask_b32_e64 v3, v3, 0, s9
	v_add_nc_u32_e32 v4, v3, v4
	s_delay_alu instid0(VALU_DEP_1) | instskip(NEXT) | instid1(VALU_DEP_1)
	v_add_nc_u32_e32 v5, v4, v5
	v_add_nc_u32_e32 v6, v5, v6
	s_delay_alu instid0(VALU_DEP_1) | instskip(NEXT) | instid1(VALU_DEP_1)
	v_add_nc_u32_e32 v65, v6, v7
	;; [unrolled: 3-line block ×3, first 2 shown]
	v_add_nc_u32_e32 v1, v0, v2
	ds_store_2addr_b64 v40, v[3:4], v[5:6] offset0:5 offset1:6
	ds_store_2addr_b64 v44, v[65:66], v[0:1] offset0:2 offset1:3
	s_waitcnt lgkmcnt(0)
	s_barrier
	buffer_gl0_inv
	ds_load_b32 v0, v26
	ds_load_b32 v1, v29
	;; [unrolled: 1-line block ×8, first 2 shown]
	s_waitcnt lgkmcnt(7)
	v_add_nc_u32_e32 v55, v0, v16
	s_waitcnt lgkmcnt(6)
	v_add3_u32 v58, v28, v27, v1
	s_waitcnt lgkmcnt(5)
	v_add3_u32 v61, v31, v30, v2
	;; [unrolled: 2-line block ×7, first 2 shown]
	s_cbranch_scc0 .LBB134_3
; %bb.27:                               ;   in Loop: Header=BB134_2 Depth=1
                                        ; implicit-def: $vgpr30_vgpr31
                                        ; implicit-def: $vgpr28_vgpr29
                                        ; implicit-def: $vgpr26_vgpr27
                                        ; implicit-def: $vgpr6_vgpr7
                                        ; implicit-def: $vgpr4_vgpr5
                                        ; implicit-def: $vgpr2_vgpr3
                                        ; implicit-def: $vgpr0_vgpr1
                                        ; implicit-def: $vgpr32_vgpr33
                                        ; implicit-def: $sgpr16_sgpr17
	s_branch .LBB134_1
.LBB134_28:
	v_lshlrev_b32_e32 v0, 3, v17
	s_add_u32 s0, s18, s12
	s_addc_u32 s1, s19, s13
	s_delay_alu instid0(VALU_DEP_1) | instskip(NEXT) | instid1(VALU_DEP_1)
	v_add_co_u32 v23, s2, s0, v0
	v_add_co_ci_u32_e64 v24, null, s1, 0, s2
	s_delay_alu instid0(VALU_DEP_2) | instskip(NEXT) | instid1(VALU_DEP_2)
	v_add_co_u32 v17, vcc_lo, 0x1000, v23
	v_add_co_ci_u32_e32 v18, vcc_lo, 0, v24, vcc_lo
	v_add_co_u32 v19, vcc_lo, 0x2000, v23
	v_add_co_ci_u32_e32 v20, vcc_lo, 0, v24, vcc_lo
	v_add_co_u32 v21, vcc_lo, 0x3000, v23
	v_add_co_ci_u32_e32 v22, vcc_lo, 0, v24, vcc_lo
	v_add_co_u32 v23, vcc_lo, 0x4000, v23
	v_add_co_ci_u32_e32 v24, vcc_lo, 0, v24, vcc_lo
	s_clause 0x7
	global_store_b64 v0, v[13:14], s[0:1]
	global_store_b64 v0, v[15:16], s[0:1] offset:2560
	global_store_b64 v[17:18], v[9:10], off offset:1024
	global_store_b64 v[17:18], v[11:12], off offset:3584
	;; [unrolled: 1-line block ×6, first 2 shown]
	s_nop 0
	s_sendmsg sendmsg(MSG_DEALLOC_VGPRS)
	s_endpgm
	.section	.rodata,"a",@progbits
	.p2align	6, 0x0
	.amdhsa_kernel _Z16sort_keys_kernelI22helper_blocked_blockedxLj320ELj8ELj10EEvPKT0_PS1_
		.amdhsa_group_segment_fixed_size 21120
		.amdhsa_private_segment_fixed_size 0
		.amdhsa_kernarg_size 272
		.amdhsa_user_sgpr_count 15
		.amdhsa_user_sgpr_dispatch_ptr 0
		.amdhsa_user_sgpr_queue_ptr 0
		.amdhsa_user_sgpr_kernarg_segment_ptr 1
		.amdhsa_user_sgpr_dispatch_id 0
		.amdhsa_user_sgpr_private_segment_size 0
		.amdhsa_wavefront_size32 1
		.amdhsa_uses_dynamic_stack 0
		.amdhsa_enable_private_segment 0
		.amdhsa_system_sgpr_workgroup_id_x 1
		.amdhsa_system_sgpr_workgroup_id_y 0
		.amdhsa_system_sgpr_workgroup_id_z 0
		.amdhsa_system_sgpr_workgroup_info 0
		.amdhsa_system_vgpr_workitem_id 2
		.amdhsa_next_free_vgpr 67
		.amdhsa_next_free_sgpr 23
		.amdhsa_reserve_vcc 1
		.amdhsa_float_round_mode_32 0
		.amdhsa_float_round_mode_16_64 0
		.amdhsa_float_denorm_mode_32 3
		.amdhsa_float_denorm_mode_16_64 3
		.amdhsa_dx10_clamp 1
		.amdhsa_ieee_mode 1
		.amdhsa_fp16_overflow 0
		.amdhsa_workgroup_processor_mode 1
		.amdhsa_memory_ordered 1
		.amdhsa_forward_progress 0
		.amdhsa_shared_vgpr_count 0
		.amdhsa_exception_fp_ieee_invalid_op 0
		.amdhsa_exception_fp_denorm_src 0
		.amdhsa_exception_fp_ieee_div_zero 0
		.amdhsa_exception_fp_ieee_overflow 0
		.amdhsa_exception_fp_ieee_underflow 0
		.amdhsa_exception_fp_ieee_inexact 0
		.amdhsa_exception_int_div_zero 0
	.end_amdhsa_kernel
	.section	.text._Z16sort_keys_kernelI22helper_blocked_blockedxLj320ELj8ELj10EEvPKT0_PS1_,"axG",@progbits,_Z16sort_keys_kernelI22helper_blocked_blockedxLj320ELj8ELj10EEvPKT0_PS1_,comdat
.Lfunc_end134:
	.size	_Z16sort_keys_kernelI22helper_blocked_blockedxLj320ELj8ELj10EEvPKT0_PS1_, .Lfunc_end134-_Z16sort_keys_kernelI22helper_blocked_blockedxLj320ELj8ELj10EEvPKT0_PS1_
                                        ; -- End function
	.section	.AMDGPU.csdata,"",@progbits
; Kernel info:
; codeLenInByte = 5280
; NumSgprs: 25
; NumVgprs: 67
; ScratchSize: 0
; MemoryBound: 0
; FloatMode: 240
; IeeeMode: 1
; LDSByteSize: 21120 bytes/workgroup (compile time only)
; SGPRBlocks: 3
; VGPRBlocks: 8
; NumSGPRsForWavesPerEU: 25
; NumVGPRsForWavesPerEU: 67
; Occupancy: 15
; WaveLimiterHint : 1
; COMPUTE_PGM_RSRC2:SCRATCH_EN: 0
; COMPUTE_PGM_RSRC2:USER_SGPR: 15
; COMPUTE_PGM_RSRC2:TRAP_HANDLER: 0
; COMPUTE_PGM_RSRC2:TGID_X_EN: 1
; COMPUTE_PGM_RSRC2:TGID_Y_EN: 0
; COMPUTE_PGM_RSRC2:TGID_Z_EN: 0
; COMPUTE_PGM_RSRC2:TIDIG_COMP_CNT: 2
	.section	.text._Z17sort_pairs_kernelI22helper_blocked_blockedxLj320ELj8ELj10EEvPKT0_PS1_,"axG",@progbits,_Z17sort_pairs_kernelI22helper_blocked_blockedxLj320ELj8ELj10EEvPKT0_PS1_,comdat
	.protected	_Z17sort_pairs_kernelI22helper_blocked_blockedxLj320ELj8ELj10EEvPKT0_PS1_ ; -- Begin function _Z17sort_pairs_kernelI22helper_blocked_blockedxLj320ELj8ELj10EEvPKT0_PS1_
	.globl	_Z17sort_pairs_kernelI22helper_blocked_blockedxLj320ELj8ELj10EEvPKT0_PS1_
	.p2align	8
	.type	_Z17sort_pairs_kernelI22helper_blocked_blockedxLj320ELj8ELj10EEvPKT0_PS1_,@function
_Z17sort_pairs_kernelI22helper_blocked_blockedxLj320ELj8ELj10EEvPKT0_PS1_: ; @_Z17sort_pairs_kernelI22helper_blocked_blockedxLj320ELj8ELj10EEvPKT0_PS1_
; %bb.0:
	s_clause 0x1
	s_load_b128 s[16:19], s[0:1], 0x0
	s_load_b32 s9, s[0:1], 0x1c
	v_and_b32_e32 v33, 0x3ff, v0
	s_mov_b32 s21, 0
	s_mul_i32 s20, s15, 0xa00
	s_mov_b32 s14, s21
	s_lshl_b64 s[12:13], s[20:21], 3
	v_lshlrev_b32_e32 v17, 3, v33
	s_mov_b32 s20, s21
	s_mov_b32 s15, s21
	s_delay_alu instid0(VALU_DEP_1) | instskip(NEXT) | instid1(VALU_DEP_1)
	v_and_b32_e32 v25, 0xf00, v17
	v_or_b32_e32 v26, 0x60, v25
	v_or_b32_e32 v27, 0x80, v25
	;; [unrolled: 1-line block ×3, first 2 shown]
	s_waitcnt lgkmcnt(0)
	s_add_u32 s0, s16, s12
	s_addc_u32 s1, s17, s13
	v_add_co_u32 v18, s2, s0, v17
	s_delay_alu instid0(VALU_DEP_1) | instskip(SKIP_1) | instid1(VALU_DEP_3)
	v_add_co_ci_u32_e64 v19, null, s1, 0, s2
	v_or_b32_e32 v29, 0xc0, v25
	v_add_co_u32 v1, vcc_lo, 0x1000, v18
	s_delay_alu instid0(VALU_DEP_3)
	v_add_co_ci_u32_e32 v2, vcc_lo, 0, v19, vcc_lo
	v_add_co_u32 v3, vcc_lo, 0x2000, v18
	s_clause 0x2
	global_load_b64 v[13:14], v17, s[0:1]
	global_load_b64 v[15:16], v17, s[0:1] offset:2560
	global_load_b64 v[9:10], v[1:2], off offset:1024
	v_add_co_ci_u32_e32 v4, vcc_lo, 0, v19, vcc_lo
	global_load_b64 v[11:12], v[1:2], off offset:3584
	v_add_co_u32 v1, vcc_lo, 0x3000, v18
	v_add_co_ci_u32_e32 v2, vcc_lo, 0, v19, vcc_lo
	s_clause 0x1
	global_load_b64 v[5:6], v[3:4], off offset:2048
	global_load_b64 v[7:8], v[1:2], off offset:512
	v_add_co_u32 v3, vcc_lo, 0x4000, v18
	v_add_co_ci_u32_e32 v4, vcc_lo, 0, v19, vcc_lo
	s_clause 0x1
	global_load_b64 v[1:2], v[1:2], off offset:3072
	global_load_b64 v[3:4], v[3:4], off offset:1536
	v_mbcnt_lo_u32_b32 v18, -1, 0
	v_bfe_u32 v19, v0, 10, 10
	v_bfe_u32 v0, v0, 20, 10
	s_lshr_b32 s10, s9, 16
	s_and_b32 s11, s9, 0xffff
	v_add_nc_u32_e32 v22, -1, v18
	v_and_b32_e32 v20, 15, v18
	v_and_b32_e32 v21, 16, v18
	v_cmp_eq_u32_e64 s0, 0, v18
	v_lshrrev_b32_e32 v26, 5, v26
	v_cmp_gt_i32_e32 vcc_lo, 0, v22
	v_cmp_eq_u32_e64 s1, 0, v20
	v_cmp_lt_u32_e64 s2, 1, v20
	v_cmp_lt_u32_e64 s3, 3, v20
	;; [unrolled: 1-line block ×3, first 2 shown]
	v_dual_cndmask_b32 v20, v22, v18 :: v_dual_and_b32 v23, 0x1e0, v33
	v_cmp_eq_u32_e64 s5, 0, v21
	v_lshrrev_b32_e32 v21, 3, v33
	v_lshrrev_b32_e32 v22, 2, v33
	s_delay_alu instid0(VALU_DEP_4)
	v_lshlrev_b32_e32 v68, 2, v20
	v_or_b32_e32 v24, v18, v23
	v_min_u32_e32 v23, 0x120, v23
	v_and_b32_e32 v69, 60, v21
	v_or_b32_e32 v21, 32, v25
	v_add_lshl_u32 v70, v22, v17, 3
	v_or_b32_e32 v22, 64, v25
	v_lshlrev_b32_e32 v17, 1, v24
	v_or_b32_e32 v20, v18, v25
	v_lshrrev_b32_e32 v21, 5, v21
	v_or_b32_e32 v23, 31, v23
	v_lshrrev_b32_e32 v22, 5, v22
	v_and_b32_e32 v17, 0x3f8, v17
	v_lshrrev_b32_e32 v18, 5, v25
	v_add_lshl_u32 v74, v21, v20, 3
	v_or_b32_e32 v25, 0xe0, v25
	v_add_lshl_u32 v75, v22, v20, 3
	v_cmp_eq_u32_e64 s9, v23, v33
	v_lshrrev_b32_e32 v27, 5, v27
	v_mul_i32_i24_e32 v34, 0xffffffe4, v33
	v_mad_u32_u24 v0, v0, s10, v19
	v_lshl_add_u32 v73, v24, 6, v17
	v_lshrrev_b32_e32 v28, 5, v28
	v_lshrrev_b32_e32 v19, 5, v25
	;; [unrolled: 1-line block ×3, first 2 shown]
	v_add_lshl_u32 v76, v26, v20, 3
	v_add_lshl_u32 v77, v27, v20, 3
	;; [unrolled: 1-line block ×3, first 2 shown]
	v_mad_u64_u32 v[17:18], null, v0, s11, v[33:34]
	v_add_lshl_u32 v78, v28, v20, 3
	v_add_lshl_u32 v79, v29, v20, 3
	v_lshlrev_b32_e32 v66, 5, v33
	v_add_lshl_u32 v80, v19, v20, 3
	v_cmp_gt_u32_e64 s6, 10, v33
	v_cmp_lt_u32_e64 s7, 31, v33
	v_lshrrev_b32_e32 v81, 5, v17
	v_cmp_eq_u32_e64 s8, 0, v33
	v_add_nc_u32_e32 v67, 40, v66
	v_add_nc_u32_e32 v71, -4, v69
	v_add_nc_u32_e32 v82, v66, v34
	s_mov_b32 s11, s21
	s_waitcnt vmcnt(7)
	v_add_co_u32 v21, vcc_lo, v13, 1
	v_add_co_ci_u32_e32 v22, vcc_lo, 0, v14, vcc_lo
	s_waitcnt vmcnt(6)
	v_add_co_u32 v23, vcc_lo, v15, 1
	v_add_co_ci_u32_e32 v24, vcc_lo, 0, v16, vcc_lo
	;; [unrolled: 3-line block ×8, first 2 shown]
	s_branch .LBB135_2
.LBB135_1:                              ;   in Loop: Header=BB135_2 Depth=1
	v_lshrrev_b32_e32 v1, 2, v88
	v_lshrrev_b32_e32 v2, 2, v89
	;; [unrolled: 1-line block ×5, first 2 shown]
	v_and_b32_e32 v1, 0x3ffffff8, v1
	v_and_b32_e32 v2, 0x3ffffff8, v2
	;; [unrolled: 1-line block ×3, first 2 shown]
	v_lshrrev_b32_e32 v5, 2, v86
	v_and_b32_e32 v3, 0x3ffffff8, v3
	v_lshl_add_u32 v42, v88, 3, v1
	v_lshrrev_b32_e32 v1, 2, v32
	v_lshl_add_u32 v43, v89, 3, v2
	v_lshrrev_b32_e32 v2, 2, v83
	v_lshl_add_u32 v0, v87, 3, v0
	v_and_b32_e32 v4, 0x3ffffff8, v4
	v_and_b32_e32 v1, 0x3ffffff8, v1
	v_and_b32_e32 v5, 0x3ffffff8, v5
	v_and_b32_e32 v2, 0x3ffffff8, v2
	s_barrier
	buffer_gl0_inv
	ds_store_b64 v0, v[18:19]
	ds_store_b64 v42, v[22:23]
	;; [unrolled: 1-line block ×3, first 2 shown]
	v_lshl_add_u32 v18, v32, 3, v1
	v_lshl_add_u32 v19, v83, 3, v2
	;; [unrolled: 1-line block ×5, first 2 shown]
	ds_store_b64 v18, v[16:17]
	ds_store_b64 v19, v[14:15]
	;; [unrolled: 1-line block ×5, first 2 shown]
	s_waitcnt lgkmcnt(0)
	s_barrier
	buffer_gl0_inv
	ds_load_2addr_b64 v[13:16], v70 offset1:1
	ds_load_2addr_b64 v[9:12], v70 offset0:2 offset1:3
	ds_load_2addr_b64 v[5:8], v70 offset0:4 offset1:5
	;; [unrolled: 1-line block ×3, first 2 shown]
	s_waitcnt lgkmcnt(0)
	s_barrier
	buffer_gl0_inv
	ds_store_b64 v0, v[40:41]
	ds_store_b64 v42, v[38:39]
	;; [unrolled: 1-line block ×8, first 2 shown]
	s_waitcnt lgkmcnt(0)
	s_barrier
	buffer_gl0_inv
	ds_load_2addr_b64 v[21:24], v70 offset1:1
	ds_load_2addr_b64 v[25:28], v70 offset0:2 offset1:3
	ds_load_2addr_b64 v[29:32], v70 offset0:4 offset1:5
	;; [unrolled: 1-line block ×3, first 2 shown]
	s_add_i32 s11, s11, 1
	s_delay_alu instid0(SALU_CYCLE_1)
	s_cmp_eq_u32 s11, 10
	v_xor_b32_e32 v14, 0x80000000, v14
	v_xor_b32_e32 v16, 0x80000000, v16
	;; [unrolled: 1-line block ×8, first 2 shown]
	s_cbranch_scc1 .LBB135_28
.LBB135_2:                              ; =>This Loop Header: Depth=1
                                        ;     Child Loop BB135_4 Depth 2
	v_xor_b32_e32 v14, 0x80000000, v14
	v_xor_b32_e32 v16, 0x80000000, v16
	;; [unrolled: 1-line block ×8, first 2 shown]
	ds_store_2addr_b64 v73, v[13:14], v[15:16] offset1:1
	ds_store_2addr_b64 v73, v[9:10], v[11:12] offset0:2 offset1:3
	ds_store_2addr_b64 v73, v[5:6], v[7:8] offset0:4 offset1:5
	;; [unrolled: 1-line block ×3, first 2 shown]
	; wave barrier
	ds_load_b64 v[60:61], v72
	ds_load_b64 v[50:51], v74 offset:256
	ds_load_b64 v[52:53], v75 offset:512
	;; [unrolled: 1-line block ×7, first 2 shown]
	; wave barrier
	s_waitcnt lgkmcnt(15)
	ds_store_2addr_b64 v73, v[21:22], v[23:24] offset1:1
	s_waitcnt lgkmcnt(15)
	ds_store_2addr_b64 v73, v[25:26], v[27:28] offset0:2 offset1:3
	s_waitcnt lgkmcnt(15)
	ds_store_2addr_b64 v73, v[29:30], v[31:32] offset0:4 offset1:5
	;; [unrolled: 2-line block ×3, first 2 shown]
	; wave barrier
	ds_load_b64 v[0:1], v72
	ds_load_b64 v[2:3], v74 offset:256
	ds_load_b64 v[4:5], v75 offset:512
	;; [unrolled: 1-line block ×7, first 2 shown]
	s_mov_b64 s[16:17], 0
	s_waitcnt lgkmcnt(0)
	s_barrier
	s_branch .LBB135_4
.LBB135_3:                              ;   in Loop: Header=BB135_4 Depth=2
	v_lshrrev_b32_e32 v0, 2, v87
	v_lshrrev_b32_e32 v3, 2, v32
	;; [unrolled: 1-line block ×8, first 2 shown]
	v_and_b32_e32 v0, 0x3ffffff8, v0
	v_and_b32_e32 v3, 0x3ffffff8, v3
	v_and_b32_e32 v1, 0x3ffffff8, v1
	v_and_b32_e32 v4, 0x3ffffff8, v4
	v_and_b32_e32 v2, 0x3ffffff8, v2
	v_and_b32_e32 v5, 0x3ffffff8, v5
	v_and_b32_e32 v6, 0x3ffffff8, v6
	v_and_b32_e32 v7, 0x3ffffff8, v7
	v_lshl_add_u32 v0, v87, 3, v0
	v_lshl_add_u32 v3, v32, 3, v3
	v_lshl_add_u32 v1, v88, 3, v1
	v_lshl_add_u32 v4, v83, 3, v4
	v_lshl_add_u32 v2, v89, 3, v2
	v_lshl_add_u32 v5, v84, 3, v5
	v_lshl_add_u32 v6, v85, 3, v6
	v_lshl_add_u32 v7, v86, 3, v7
	s_barrier
	buffer_gl0_inv
	ds_store_b64 v0, v[18:19]
	ds_store_b64 v1, v[22:23]
	ds_store_b64 v2, v[20:21]
	ds_store_b64 v3, v[16:17]
	ds_store_b64 v4, v[14:15]
	ds_store_b64 v5, v[12:13]
	ds_store_b64 v6, v[10:11]
	ds_store_b64 v7, v[8:9]
	s_waitcnt lgkmcnt(0)
	s_barrier
	buffer_gl0_inv
	ds_load_b64 v[60:61], v72
	ds_load_b64 v[50:51], v74 offset:256
	ds_load_b64 v[52:53], v75 offset:512
	;; [unrolled: 1-line block ×7, first 2 shown]
	s_waitcnt lgkmcnt(0)
	s_barrier
	buffer_gl0_inv
	ds_store_b64 v0, v[40:41]
	ds_store_b64 v1, v[38:39]
	;; [unrolled: 1-line block ×8, first 2 shown]
	s_waitcnt lgkmcnt(0)
	s_barrier
	buffer_gl0_inv
	ds_load_b64 v[0:1], v72
	ds_load_b64 v[2:3], v74 offset:256
	ds_load_b64 v[4:5], v75 offset:512
	;; [unrolled: 1-line block ×7, first 2 shown]
	s_add_u32 s16, s16, 8
	s_addc_u32 s17, s17, 0
	s_waitcnt lgkmcnt(0)
	s_barrier
	s_cbranch_execz .LBB135_1
.LBB135_4:                              ;   Parent Loop BB135_2 Depth=1
                                        ; =>  This Inner Loop Header: Depth=2
	v_dual_mov_b32 v18, v60 :: v_dual_mov_b32 v19, v61
	v_dual_mov_b32 v8, v64 :: v_dual_mov_b32 v9, v65
	;; [unrolled: 1-line block ×3, first 2 shown]
	s_delay_alu instid0(VALU_DEP_3) | instskip(SKIP_3) | instid1(VALU_DEP_4)
	v_lshrrev_b64 v[60:61], s16, v[18:19]
	v_dual_mov_b32 v12, v58 :: v_dual_mov_b32 v13, v59
	v_dual_mov_b32 v14, v56 :: v_dual_mov_b32 v15, v57
	;; [unrolled: 1-line block ×3, first 2 shown]
	v_and_b32_e32 v24, 1, v60
	v_lshlrev_b32_e32 v25, 30, v60
	v_lshlrev_b32_e32 v26, 29, v60
	;; [unrolled: 1-line block ×4, first 2 shown]
	v_add_co_u32 v24, s10, v24, -1
	s_delay_alu instid0(VALU_DEP_1)
	v_cndmask_b32_e64 v28, 0, 1, s10
	v_not_b32_e32 v32, v25
	v_cmp_gt_i32_e64 s10, 0, v25
	v_not_b32_e32 v25, v26
	v_lshlrev_b32_e32 v30, 26, v60
	v_cmp_ne_u32_e32 vcc_lo, 0, v28
	v_ashrrev_i32_e32 v32, 31, v32
	v_lshlrev_b32_e32 v31, 25, v60
	v_ashrrev_i32_e32 v25, 31, v25
	v_lshlrev_b32_e32 v28, 24, v60
	v_xor_b32_e32 v24, vcc_lo, v24
	v_cmp_gt_i32_e32 vcc_lo, 0, v26
	v_not_b32_e32 v26, v27
	v_xor_b32_e32 v32, s10, v32
	v_cmp_gt_i32_e64 s10, 0, v27
	v_and_b32_e32 v24, exec_lo, v24
	v_not_b32_e32 v27, v29
	v_ashrrev_i32_e32 v26, 31, v26
	v_xor_b32_e32 v25, vcc_lo, v25
	v_cmp_gt_i32_e32 vcc_lo, 0, v29
	v_dual_mov_b32 v37, v5 :: v_dual_and_b32 v24, v24, v32
	v_not_b32_e32 v29, v30
	v_ashrrev_i32_e32 v27, 31, v27
	v_xor_b32_e32 v26, s10, v26
	s_delay_alu instid0(VALU_DEP_4) | instskip(SKIP_3) | instid1(VALU_DEP_4)
	v_dual_mov_b32 v39, v3 :: v_dual_and_b32 v24, v24, v25
	v_cmp_gt_i32_e64 s10, 0, v30
	v_ashrrev_i32_e32 v29, 31, v29
	v_xor_b32_e32 v27, vcc_lo, v27
	v_and_b32_e32 v24, v24, v26
	v_mov_b32_e32 v36, v4
	v_mov_b32_e32 v38, v2
	v_xor_b32_e32 v29, s10, v29
	v_mov_b32_e32 v3, s20
	v_and_b32_e32 v27, v24, v27
	v_not_b32_e32 v26, v28
	v_cmp_gt_i32_e64 s10, 0, v28
	v_mov_b32_e32 v4, s21
	v_dual_mov_b32 v20, v52 :: v_dual_mov_b32 v21, v53
	v_dual_mov_b32 v28, v44 :: v_dual_and_b32 v35, v27, v29
	v_not_b32_e32 v25, v31
	v_cmp_gt_i32_e32 vcc_lo, 0, v31
	v_ashrrev_i32_e32 v32, 31, v26
	v_mov_b32_e32 v26, v46
	v_dual_mov_b32 v22, v50 :: v_dual_mov_b32 v23, v51
	v_ashrrev_i32_e32 v30, 31, v25
	s_delay_alu instid0(VALU_DEP_4) | instskip(SKIP_2) | instid1(VALU_DEP_4)
	v_xor_b32_e32 v32, s10, v32
	v_dual_mov_b32 v24, v48 :: v_dual_mov_b32 v25, v49
	v_mov_b32_e32 v27, v47
	v_xor_b32_e32 v34, vcc_lo, v30
	v_dual_mov_b32 v30, v42 :: v_dual_mov_b32 v29, v45
	v_mov_b32_e32 v31, v43
	buffer_gl0_inv
	v_and_b32_e32 v40, v35, v34
	v_dual_mov_b32 v35, v7 :: v_dual_mov_b32 v34, v6
	v_dual_mov_b32 v5, s14 :: v_dual_mov_b32 v6, s15
	s_delay_alu instid0(VALU_DEP_3)
	v_dual_mov_b32 v41, v1 :: v_dual_and_b32 v2, v40, v32
	v_mov_b32_e32 v40, v0
	v_and_b32_e32 v0, 0xff, v60
	ds_store_2addr_b64 v66, v[3:4], v[5:6] offset0:5 offset1:6
	ds_store_2addr_b64 v67, v[3:4], v[5:6] offset0:2 offset1:3
	v_mbcnt_lo_u32_b32 v32, v2, 0
	v_cmp_ne_u32_e64 s10, 0, v2
	s_waitcnt lgkmcnt(0)
	v_mad_u32_u24 v0, v0, 10, v81
	s_barrier
	v_cmp_eq_u32_e32 vcc_lo, 0, v32
	buffer_gl0_inv
	v_lshl_add_u32 v42, v0, 2, 40
	; wave barrier
	s_and_b32 s22, s10, vcc_lo
	s_delay_alu instid0(SALU_CYCLE_1)
	s_and_saveexec_b32 s10, s22
	s_cbranch_execz .LBB135_6
; %bb.5:                                ;   in Loop: Header=BB135_4 Depth=2
	v_bcnt_u32_b32 v0, v2, 0
	ds_store_b32 v42, v0
.LBB135_6:                              ;   in Loop: Header=BB135_4 Depth=2
	s_or_b32 exec_lo, exec_lo, s10
	v_lshrrev_b64 v[0:1], s16, v[22:23]
	; wave barrier
	s_delay_alu instid0(VALU_DEP_1)
	v_and_b32_e32 v2, 1, v0
	v_lshlrev_b32_e32 v3, 30, v0
	v_lshlrev_b32_e32 v4, 29, v0
	;; [unrolled: 1-line block ×4, first 2 shown]
	v_add_co_u32 v2, s10, v2, -1
	s_delay_alu instid0(VALU_DEP_1)
	v_cndmask_b32_e64 v6, 0, 1, s10
	v_not_b32_e32 v45, v3
	v_cmp_gt_i32_e64 s10, 0, v3
	v_not_b32_e32 v3, v4
	v_lshlrev_b32_e32 v43, 26, v0
	v_cmp_ne_u32_e32 vcc_lo, 0, v6
	v_ashrrev_i32_e32 v6, 31, v45
	v_lshlrev_b32_e32 v44, 25, v0
	v_ashrrev_i32_e32 v3, 31, v3
	v_and_b32_e32 v1, 0xff, v0
	v_xor_b32_e32 v2, vcc_lo, v2
	v_cmp_gt_i32_e32 vcc_lo, 0, v4
	v_not_b32_e32 v4, v5
	v_xor_b32_e32 v6, s10, v6
	v_cmp_gt_i32_e64 s10, 0, v5
	v_and_b32_e32 v2, exec_lo, v2
	v_not_b32_e32 v5, v7
	v_ashrrev_i32_e32 v4, 31, v4
	v_xor_b32_e32 v3, vcc_lo, v3
	v_cmp_gt_i32_e32 vcc_lo, 0, v7
	v_and_b32_e32 v2, v2, v6
	v_not_b32_e32 v6, v43
	v_ashrrev_i32_e32 v5, 31, v5
	v_xor_b32_e32 v4, s10, v4
	v_lshlrev_b32_e32 v0, 24, v0
	v_and_b32_e32 v2, v2, v3
	v_cmp_gt_i32_e64 s10, 0, v43
	v_not_b32_e32 v3, v44
	v_ashrrev_i32_e32 v6, 31, v6
	v_xor_b32_e32 v5, vcc_lo, v5
	v_and_b32_e32 v2, v2, v4
	v_cmp_gt_i32_e32 vcc_lo, 0, v44
	v_not_b32_e32 v4, v0
	v_ashrrev_i32_e32 v3, 31, v3
	v_xor_b32_e32 v6, s10, v6
	v_and_b32_e32 v2, v2, v5
	v_mul_u32_u24_e32 v1, 10, v1
	v_cmp_gt_i32_e64 s10, 0, v0
	v_ashrrev_i32_e32 v0, 31, v4
	v_xor_b32_e32 v3, vcc_lo, v3
	v_and_b32_e32 v2, v2, v6
	v_add_lshl_u32 v1, v1, v81, 2
	s_delay_alu instid0(VALU_DEP_4) | instskip(NEXT) | instid1(VALU_DEP_3)
	v_xor_b32_e32 v0, s10, v0
	v_and_b32_e32 v2, v2, v3
	ds_load_b32 v43, v1 offset:40
	v_add_nc_u32_e32 v45, 40, v1
	; wave barrier
	v_and_b32_e32 v0, v2, v0
	s_delay_alu instid0(VALU_DEP_1) | instskip(SKIP_1) | instid1(VALU_DEP_2)
	v_mbcnt_lo_u32_b32 v44, v0, 0
	v_cmp_ne_u32_e64 s10, 0, v0
	v_cmp_eq_u32_e32 vcc_lo, 0, v44
	s_delay_alu instid0(VALU_DEP_2) | instskip(NEXT) | instid1(SALU_CYCLE_1)
	s_and_b32 s22, s10, vcc_lo
	s_and_saveexec_b32 s10, s22
	s_cbranch_execz .LBB135_8
; %bb.7:                                ;   in Loop: Header=BB135_4 Depth=2
	s_waitcnt lgkmcnt(0)
	v_bcnt_u32_b32 v0, v0, v43
	ds_store_b32 v45, v0
.LBB135_8:                              ;   in Loop: Header=BB135_4 Depth=2
	s_or_b32 exec_lo, exec_lo, s10
	v_lshrrev_b64 v[0:1], s16, v[20:21]
	; wave barrier
	s_delay_alu instid0(VALU_DEP_1)
	v_and_b32_e32 v2, 1, v0
	v_lshlrev_b32_e32 v3, 30, v0
	v_lshlrev_b32_e32 v4, 29, v0
	;; [unrolled: 1-line block ×4, first 2 shown]
	v_add_co_u32 v2, s10, v2, -1
	s_delay_alu instid0(VALU_DEP_1)
	v_cndmask_b32_e64 v6, 0, 1, s10
	v_not_b32_e32 v48, v3
	v_cmp_gt_i32_e64 s10, 0, v3
	v_not_b32_e32 v3, v4
	v_lshlrev_b32_e32 v46, 26, v0
	v_cmp_ne_u32_e32 vcc_lo, 0, v6
	v_ashrrev_i32_e32 v6, 31, v48
	v_lshlrev_b32_e32 v47, 25, v0
	v_ashrrev_i32_e32 v3, 31, v3
	v_and_b32_e32 v1, 0xff, v0
	v_xor_b32_e32 v2, vcc_lo, v2
	v_cmp_gt_i32_e32 vcc_lo, 0, v4
	v_not_b32_e32 v4, v5
	v_xor_b32_e32 v6, s10, v6
	v_cmp_gt_i32_e64 s10, 0, v5
	v_and_b32_e32 v2, exec_lo, v2
	v_not_b32_e32 v5, v7
	v_ashrrev_i32_e32 v4, 31, v4
	v_xor_b32_e32 v3, vcc_lo, v3
	v_cmp_gt_i32_e32 vcc_lo, 0, v7
	v_and_b32_e32 v2, v2, v6
	v_not_b32_e32 v6, v46
	v_ashrrev_i32_e32 v5, 31, v5
	v_xor_b32_e32 v4, s10, v4
	v_lshlrev_b32_e32 v0, 24, v0
	v_and_b32_e32 v2, v2, v3
	v_cmp_gt_i32_e64 s10, 0, v46
	v_not_b32_e32 v3, v47
	v_ashrrev_i32_e32 v6, 31, v6
	v_xor_b32_e32 v5, vcc_lo, v5
	v_and_b32_e32 v2, v2, v4
	v_cmp_gt_i32_e32 vcc_lo, 0, v47
	v_not_b32_e32 v4, v0
	v_ashrrev_i32_e32 v3, 31, v3
	v_xor_b32_e32 v6, s10, v6
	v_and_b32_e32 v2, v2, v5
	v_mul_u32_u24_e32 v1, 10, v1
	v_cmp_gt_i32_e64 s10, 0, v0
	v_ashrrev_i32_e32 v0, 31, v4
	v_xor_b32_e32 v3, vcc_lo, v3
	v_and_b32_e32 v2, v2, v6
	v_add_lshl_u32 v1, v1, v81, 2
	s_delay_alu instid0(VALU_DEP_4) | instskip(NEXT) | instid1(VALU_DEP_3)
	v_xor_b32_e32 v0, s10, v0
	v_and_b32_e32 v2, v2, v3
	ds_load_b32 v46, v1 offset:40
	v_add_nc_u32_e32 v48, 40, v1
	; wave barrier
	v_and_b32_e32 v0, v2, v0
	s_delay_alu instid0(VALU_DEP_1) | instskip(SKIP_1) | instid1(VALU_DEP_2)
	v_mbcnt_lo_u32_b32 v47, v0, 0
	v_cmp_ne_u32_e64 s10, 0, v0
	v_cmp_eq_u32_e32 vcc_lo, 0, v47
	s_delay_alu instid0(VALU_DEP_2) | instskip(NEXT) | instid1(SALU_CYCLE_1)
	s_and_b32 s22, s10, vcc_lo
	s_and_saveexec_b32 s10, s22
	s_cbranch_execz .LBB135_10
; %bb.9:                                ;   in Loop: Header=BB135_4 Depth=2
	s_waitcnt lgkmcnt(0)
	v_bcnt_u32_b32 v0, v0, v46
	ds_store_b32 v48, v0
.LBB135_10:                             ;   in Loop: Header=BB135_4 Depth=2
	s_or_b32 exec_lo, exec_lo, s10
	v_lshrrev_b64 v[0:1], s16, v[16:17]
	; wave barrier
	s_delay_alu instid0(VALU_DEP_1)
	v_and_b32_e32 v2, 1, v0
	v_lshlrev_b32_e32 v3, 30, v0
	v_lshlrev_b32_e32 v4, 29, v0
	;; [unrolled: 1-line block ×4, first 2 shown]
	v_add_co_u32 v2, s10, v2, -1
	s_delay_alu instid0(VALU_DEP_1)
	v_cndmask_b32_e64 v6, 0, 1, s10
	v_not_b32_e32 v51, v3
	v_cmp_gt_i32_e64 s10, 0, v3
	v_not_b32_e32 v3, v4
	v_lshlrev_b32_e32 v49, 26, v0
	v_cmp_ne_u32_e32 vcc_lo, 0, v6
	v_ashrrev_i32_e32 v6, 31, v51
	v_lshlrev_b32_e32 v50, 25, v0
	v_ashrrev_i32_e32 v3, 31, v3
	v_and_b32_e32 v1, 0xff, v0
	v_xor_b32_e32 v2, vcc_lo, v2
	v_cmp_gt_i32_e32 vcc_lo, 0, v4
	v_not_b32_e32 v4, v5
	v_xor_b32_e32 v6, s10, v6
	v_cmp_gt_i32_e64 s10, 0, v5
	v_and_b32_e32 v2, exec_lo, v2
	v_not_b32_e32 v5, v7
	v_ashrrev_i32_e32 v4, 31, v4
	v_xor_b32_e32 v3, vcc_lo, v3
	v_cmp_gt_i32_e32 vcc_lo, 0, v7
	v_and_b32_e32 v2, v2, v6
	v_not_b32_e32 v6, v49
	v_ashrrev_i32_e32 v5, 31, v5
	v_xor_b32_e32 v4, s10, v4
	v_lshlrev_b32_e32 v0, 24, v0
	v_and_b32_e32 v2, v2, v3
	v_cmp_gt_i32_e64 s10, 0, v49
	v_not_b32_e32 v3, v50
	v_ashrrev_i32_e32 v6, 31, v6
	v_xor_b32_e32 v5, vcc_lo, v5
	v_and_b32_e32 v2, v2, v4
	v_cmp_gt_i32_e32 vcc_lo, 0, v50
	v_not_b32_e32 v4, v0
	v_ashrrev_i32_e32 v3, 31, v3
	v_xor_b32_e32 v6, s10, v6
	v_and_b32_e32 v2, v2, v5
	v_mul_u32_u24_e32 v1, 10, v1
	v_cmp_gt_i32_e64 s10, 0, v0
	v_ashrrev_i32_e32 v0, 31, v4
	v_xor_b32_e32 v3, vcc_lo, v3
	v_and_b32_e32 v2, v2, v6
	v_add_lshl_u32 v1, v1, v81, 2
	s_delay_alu instid0(VALU_DEP_4) | instskip(NEXT) | instid1(VALU_DEP_3)
	v_xor_b32_e32 v0, s10, v0
	v_and_b32_e32 v2, v2, v3
	ds_load_b32 v49, v1 offset:40
	v_add_nc_u32_e32 v51, 40, v1
	; wave barrier
	v_and_b32_e32 v0, v2, v0
	s_delay_alu instid0(VALU_DEP_1) | instskip(SKIP_1) | instid1(VALU_DEP_2)
	v_mbcnt_lo_u32_b32 v50, v0, 0
	v_cmp_ne_u32_e64 s10, 0, v0
	v_cmp_eq_u32_e32 vcc_lo, 0, v50
	s_delay_alu instid0(VALU_DEP_2) | instskip(NEXT) | instid1(SALU_CYCLE_1)
	s_and_b32 s22, s10, vcc_lo
	s_and_saveexec_b32 s10, s22
	s_cbranch_execz .LBB135_12
; %bb.11:                               ;   in Loop: Header=BB135_4 Depth=2
	s_waitcnt lgkmcnt(0)
	v_bcnt_u32_b32 v0, v0, v49
	ds_store_b32 v51, v0
.LBB135_12:                             ;   in Loop: Header=BB135_4 Depth=2
	s_or_b32 exec_lo, exec_lo, s10
	v_lshrrev_b64 v[0:1], s16, v[14:15]
	; wave barrier
	s_delay_alu instid0(VALU_DEP_1)
	v_and_b32_e32 v2, 1, v0
	v_lshlrev_b32_e32 v3, 30, v0
	v_lshlrev_b32_e32 v4, 29, v0
	;; [unrolled: 1-line block ×4, first 2 shown]
	v_add_co_u32 v2, s10, v2, -1
	s_delay_alu instid0(VALU_DEP_1)
	v_cndmask_b32_e64 v6, 0, 1, s10
	v_not_b32_e32 v54, v3
	v_cmp_gt_i32_e64 s10, 0, v3
	v_not_b32_e32 v3, v4
	v_lshlrev_b32_e32 v52, 26, v0
	v_cmp_ne_u32_e32 vcc_lo, 0, v6
	v_ashrrev_i32_e32 v6, 31, v54
	v_lshlrev_b32_e32 v53, 25, v0
	v_ashrrev_i32_e32 v3, 31, v3
	v_and_b32_e32 v1, 0xff, v0
	v_xor_b32_e32 v2, vcc_lo, v2
	v_cmp_gt_i32_e32 vcc_lo, 0, v4
	v_not_b32_e32 v4, v5
	v_xor_b32_e32 v6, s10, v6
	v_cmp_gt_i32_e64 s10, 0, v5
	v_and_b32_e32 v2, exec_lo, v2
	v_not_b32_e32 v5, v7
	v_ashrrev_i32_e32 v4, 31, v4
	v_xor_b32_e32 v3, vcc_lo, v3
	v_cmp_gt_i32_e32 vcc_lo, 0, v7
	v_and_b32_e32 v2, v2, v6
	v_not_b32_e32 v6, v52
	v_ashrrev_i32_e32 v5, 31, v5
	v_xor_b32_e32 v4, s10, v4
	v_lshlrev_b32_e32 v0, 24, v0
	v_and_b32_e32 v2, v2, v3
	v_cmp_gt_i32_e64 s10, 0, v52
	v_not_b32_e32 v3, v53
	v_ashrrev_i32_e32 v6, 31, v6
	v_xor_b32_e32 v5, vcc_lo, v5
	v_and_b32_e32 v2, v2, v4
	v_cmp_gt_i32_e32 vcc_lo, 0, v53
	v_not_b32_e32 v4, v0
	v_ashrrev_i32_e32 v3, 31, v3
	v_xor_b32_e32 v6, s10, v6
	v_and_b32_e32 v2, v2, v5
	v_mul_u32_u24_e32 v1, 10, v1
	v_cmp_gt_i32_e64 s10, 0, v0
	v_ashrrev_i32_e32 v0, 31, v4
	v_xor_b32_e32 v3, vcc_lo, v3
	v_and_b32_e32 v2, v2, v6
	v_add_lshl_u32 v1, v1, v81, 2
	s_delay_alu instid0(VALU_DEP_4) | instskip(NEXT) | instid1(VALU_DEP_3)
	v_xor_b32_e32 v0, s10, v0
	v_and_b32_e32 v2, v2, v3
	ds_load_b32 v52, v1 offset:40
	v_add_nc_u32_e32 v54, 40, v1
	; wave barrier
	v_and_b32_e32 v0, v2, v0
	s_delay_alu instid0(VALU_DEP_1) | instskip(SKIP_1) | instid1(VALU_DEP_2)
	v_mbcnt_lo_u32_b32 v53, v0, 0
	v_cmp_ne_u32_e64 s10, 0, v0
	v_cmp_eq_u32_e32 vcc_lo, 0, v53
	s_delay_alu instid0(VALU_DEP_2) | instskip(NEXT) | instid1(SALU_CYCLE_1)
	s_and_b32 s22, s10, vcc_lo
	s_and_saveexec_b32 s10, s22
	s_cbranch_execz .LBB135_14
; %bb.13:                               ;   in Loop: Header=BB135_4 Depth=2
	s_waitcnt lgkmcnt(0)
	v_bcnt_u32_b32 v0, v0, v52
	ds_store_b32 v54, v0
.LBB135_14:                             ;   in Loop: Header=BB135_4 Depth=2
	s_or_b32 exec_lo, exec_lo, s10
	v_lshrrev_b64 v[0:1], s16, v[12:13]
	; wave barrier
	s_delay_alu instid0(VALU_DEP_1)
	v_and_b32_e32 v2, 1, v0
	v_lshlrev_b32_e32 v3, 30, v0
	v_lshlrev_b32_e32 v4, 29, v0
	;; [unrolled: 1-line block ×4, first 2 shown]
	v_add_co_u32 v2, s10, v2, -1
	s_delay_alu instid0(VALU_DEP_1)
	v_cndmask_b32_e64 v6, 0, 1, s10
	v_not_b32_e32 v57, v3
	v_cmp_gt_i32_e64 s10, 0, v3
	v_not_b32_e32 v3, v4
	v_lshlrev_b32_e32 v55, 26, v0
	v_cmp_ne_u32_e32 vcc_lo, 0, v6
	v_ashrrev_i32_e32 v6, 31, v57
	v_lshlrev_b32_e32 v56, 25, v0
	v_ashrrev_i32_e32 v3, 31, v3
	v_and_b32_e32 v1, 0xff, v0
	v_xor_b32_e32 v2, vcc_lo, v2
	v_cmp_gt_i32_e32 vcc_lo, 0, v4
	v_not_b32_e32 v4, v5
	v_xor_b32_e32 v6, s10, v6
	v_cmp_gt_i32_e64 s10, 0, v5
	v_and_b32_e32 v2, exec_lo, v2
	v_not_b32_e32 v5, v7
	v_ashrrev_i32_e32 v4, 31, v4
	v_xor_b32_e32 v3, vcc_lo, v3
	v_cmp_gt_i32_e32 vcc_lo, 0, v7
	v_and_b32_e32 v2, v2, v6
	v_not_b32_e32 v6, v55
	v_ashrrev_i32_e32 v5, 31, v5
	v_xor_b32_e32 v4, s10, v4
	v_lshlrev_b32_e32 v0, 24, v0
	v_and_b32_e32 v2, v2, v3
	v_cmp_gt_i32_e64 s10, 0, v55
	v_not_b32_e32 v3, v56
	v_ashrrev_i32_e32 v6, 31, v6
	v_xor_b32_e32 v5, vcc_lo, v5
	v_and_b32_e32 v2, v2, v4
	v_cmp_gt_i32_e32 vcc_lo, 0, v56
	v_not_b32_e32 v4, v0
	v_ashrrev_i32_e32 v3, 31, v3
	v_xor_b32_e32 v6, s10, v6
	v_and_b32_e32 v2, v2, v5
	v_mul_u32_u24_e32 v1, 10, v1
	v_cmp_gt_i32_e64 s10, 0, v0
	v_ashrrev_i32_e32 v0, 31, v4
	v_xor_b32_e32 v3, vcc_lo, v3
	v_and_b32_e32 v2, v2, v6
	v_add_lshl_u32 v1, v1, v81, 2
	s_delay_alu instid0(VALU_DEP_4) | instskip(NEXT) | instid1(VALU_DEP_3)
	v_xor_b32_e32 v0, s10, v0
	v_and_b32_e32 v2, v2, v3
	ds_load_b32 v55, v1 offset:40
	v_add_nc_u32_e32 v57, 40, v1
	; wave barrier
	v_and_b32_e32 v0, v2, v0
	s_delay_alu instid0(VALU_DEP_1) | instskip(SKIP_1) | instid1(VALU_DEP_2)
	v_mbcnt_lo_u32_b32 v56, v0, 0
	v_cmp_ne_u32_e64 s10, 0, v0
	v_cmp_eq_u32_e32 vcc_lo, 0, v56
	s_delay_alu instid0(VALU_DEP_2) | instskip(NEXT) | instid1(SALU_CYCLE_1)
	s_and_b32 s22, s10, vcc_lo
	s_and_saveexec_b32 s10, s22
	s_cbranch_execz .LBB135_16
; %bb.15:                               ;   in Loop: Header=BB135_4 Depth=2
	s_waitcnt lgkmcnt(0)
	v_bcnt_u32_b32 v0, v0, v55
	ds_store_b32 v57, v0
.LBB135_16:                             ;   in Loop: Header=BB135_4 Depth=2
	s_or_b32 exec_lo, exec_lo, s10
	v_lshrrev_b64 v[0:1], s16, v[10:11]
	; wave barrier
	s_delay_alu instid0(VALU_DEP_1)
	v_and_b32_e32 v2, 1, v0
	v_lshlrev_b32_e32 v3, 30, v0
	v_lshlrev_b32_e32 v4, 29, v0
	;; [unrolled: 1-line block ×4, first 2 shown]
	v_add_co_u32 v2, s10, v2, -1
	s_delay_alu instid0(VALU_DEP_1)
	v_cndmask_b32_e64 v6, 0, 1, s10
	v_not_b32_e32 v60, v3
	v_cmp_gt_i32_e64 s10, 0, v3
	v_not_b32_e32 v3, v4
	v_lshlrev_b32_e32 v58, 26, v0
	v_cmp_ne_u32_e32 vcc_lo, 0, v6
	v_ashrrev_i32_e32 v6, 31, v60
	v_lshlrev_b32_e32 v59, 25, v0
	v_ashrrev_i32_e32 v3, 31, v3
	v_and_b32_e32 v1, 0xff, v0
	v_xor_b32_e32 v2, vcc_lo, v2
	v_cmp_gt_i32_e32 vcc_lo, 0, v4
	v_not_b32_e32 v4, v5
	v_xor_b32_e32 v6, s10, v6
	v_cmp_gt_i32_e64 s10, 0, v5
	v_and_b32_e32 v2, exec_lo, v2
	v_not_b32_e32 v5, v7
	v_ashrrev_i32_e32 v4, 31, v4
	v_xor_b32_e32 v3, vcc_lo, v3
	v_cmp_gt_i32_e32 vcc_lo, 0, v7
	v_and_b32_e32 v2, v2, v6
	v_not_b32_e32 v6, v58
	v_ashrrev_i32_e32 v5, 31, v5
	v_xor_b32_e32 v4, s10, v4
	v_lshlrev_b32_e32 v0, 24, v0
	v_and_b32_e32 v2, v2, v3
	v_cmp_gt_i32_e64 s10, 0, v58
	v_not_b32_e32 v3, v59
	v_ashrrev_i32_e32 v6, 31, v6
	v_xor_b32_e32 v5, vcc_lo, v5
	v_and_b32_e32 v2, v2, v4
	v_cmp_gt_i32_e32 vcc_lo, 0, v59
	v_not_b32_e32 v4, v0
	v_ashrrev_i32_e32 v3, 31, v3
	v_xor_b32_e32 v6, s10, v6
	v_and_b32_e32 v2, v2, v5
	v_mul_u32_u24_e32 v1, 10, v1
	v_cmp_gt_i32_e64 s10, 0, v0
	v_ashrrev_i32_e32 v0, 31, v4
	v_xor_b32_e32 v3, vcc_lo, v3
	v_and_b32_e32 v2, v2, v6
	v_add_lshl_u32 v1, v1, v81, 2
	s_delay_alu instid0(VALU_DEP_4) | instskip(NEXT) | instid1(VALU_DEP_3)
	v_xor_b32_e32 v0, s10, v0
	v_and_b32_e32 v2, v2, v3
	ds_load_b32 v58, v1 offset:40
	v_add_nc_u32_e32 v60, 40, v1
	; wave barrier
	v_and_b32_e32 v0, v2, v0
	s_delay_alu instid0(VALU_DEP_1) | instskip(SKIP_1) | instid1(VALU_DEP_2)
	v_mbcnt_lo_u32_b32 v59, v0, 0
	v_cmp_ne_u32_e64 s10, 0, v0
	v_cmp_eq_u32_e32 vcc_lo, 0, v59
	s_delay_alu instid0(VALU_DEP_2) | instskip(NEXT) | instid1(SALU_CYCLE_1)
	s_and_b32 s22, s10, vcc_lo
	s_and_saveexec_b32 s10, s22
	s_cbranch_execz .LBB135_18
; %bb.17:                               ;   in Loop: Header=BB135_4 Depth=2
	s_waitcnt lgkmcnt(0)
	v_bcnt_u32_b32 v0, v0, v58
	ds_store_b32 v60, v0
.LBB135_18:                             ;   in Loop: Header=BB135_4 Depth=2
	s_or_b32 exec_lo, exec_lo, s10
	v_lshrrev_b64 v[0:1], s16, v[8:9]
	; wave barrier
	s_delay_alu instid0(VALU_DEP_1)
	v_and_b32_e32 v2, 1, v0
	v_lshlrev_b32_e32 v3, 30, v0
	v_lshlrev_b32_e32 v4, 29, v0
	;; [unrolled: 1-line block ×4, first 2 shown]
	v_add_co_u32 v2, s10, v2, -1
	s_delay_alu instid0(VALU_DEP_1)
	v_cndmask_b32_e64 v6, 0, 1, s10
	v_not_b32_e32 v63, v3
	v_cmp_gt_i32_e64 s10, 0, v3
	v_not_b32_e32 v3, v4
	v_lshlrev_b32_e32 v61, 26, v0
	v_cmp_ne_u32_e32 vcc_lo, 0, v6
	v_ashrrev_i32_e32 v6, 31, v63
	v_lshlrev_b32_e32 v62, 25, v0
	v_ashrrev_i32_e32 v3, 31, v3
	v_and_b32_e32 v1, 0xff, v0
	v_xor_b32_e32 v2, vcc_lo, v2
	v_cmp_gt_i32_e32 vcc_lo, 0, v4
	v_not_b32_e32 v4, v5
	v_xor_b32_e32 v6, s10, v6
	v_cmp_gt_i32_e64 s10, 0, v5
	v_and_b32_e32 v2, exec_lo, v2
	v_not_b32_e32 v5, v7
	v_ashrrev_i32_e32 v4, 31, v4
	v_xor_b32_e32 v3, vcc_lo, v3
	v_cmp_gt_i32_e32 vcc_lo, 0, v7
	v_and_b32_e32 v2, v2, v6
	v_not_b32_e32 v6, v61
	v_ashrrev_i32_e32 v5, 31, v5
	v_xor_b32_e32 v4, s10, v4
	v_lshlrev_b32_e32 v0, 24, v0
	v_and_b32_e32 v2, v2, v3
	v_cmp_gt_i32_e64 s10, 0, v61
	v_not_b32_e32 v3, v62
	v_ashrrev_i32_e32 v6, 31, v6
	v_xor_b32_e32 v5, vcc_lo, v5
	v_and_b32_e32 v2, v2, v4
	v_cmp_gt_i32_e32 vcc_lo, 0, v62
	v_not_b32_e32 v4, v0
	v_ashrrev_i32_e32 v3, 31, v3
	v_xor_b32_e32 v6, s10, v6
	v_and_b32_e32 v2, v2, v5
	v_mul_u32_u24_e32 v1, 10, v1
	v_cmp_gt_i32_e64 s10, 0, v0
	v_ashrrev_i32_e32 v0, 31, v4
	v_xor_b32_e32 v3, vcc_lo, v3
	v_and_b32_e32 v2, v2, v6
	v_add_lshl_u32 v1, v1, v81, 2
	s_delay_alu instid0(VALU_DEP_4) | instskip(NEXT) | instid1(VALU_DEP_3)
	v_xor_b32_e32 v0, s10, v0
	v_and_b32_e32 v2, v2, v3
	ds_load_b32 v61, v1 offset:40
	v_add_nc_u32_e32 v63, 40, v1
	; wave barrier
	v_and_b32_e32 v0, v2, v0
	s_delay_alu instid0(VALU_DEP_1) | instskip(SKIP_1) | instid1(VALU_DEP_2)
	v_mbcnt_lo_u32_b32 v62, v0, 0
	v_cmp_ne_u32_e64 s10, 0, v0
	v_cmp_eq_u32_e32 vcc_lo, 0, v62
	s_delay_alu instid0(VALU_DEP_2) | instskip(NEXT) | instid1(SALU_CYCLE_1)
	s_and_b32 s22, s10, vcc_lo
	s_and_saveexec_b32 s10, s22
	s_cbranch_execz .LBB135_20
; %bb.19:                               ;   in Loop: Header=BB135_4 Depth=2
	s_waitcnt lgkmcnt(0)
	v_bcnt_u32_b32 v0, v0, v61
	ds_store_b32 v63, v0
.LBB135_20:                             ;   in Loop: Header=BB135_4 Depth=2
	s_or_b32 exec_lo, exec_lo, s10
	; wave barrier
	s_waitcnt lgkmcnt(0)
	s_barrier
	buffer_gl0_inv
	ds_load_2addr_b64 v[4:7], v66 offset0:5 offset1:6
	ds_load_2addr_b64 v[0:3], v67 offset0:2 offset1:3
	s_waitcnt lgkmcnt(1)
	v_add_nc_u32_e32 v64, v5, v4
	s_delay_alu instid0(VALU_DEP_1) | instskip(SKIP_1) | instid1(VALU_DEP_1)
	v_add3_u32 v64, v64, v6, v7
	s_waitcnt lgkmcnt(0)
	v_add3_u32 v64, v64, v0, v1
	s_delay_alu instid0(VALU_DEP_1) | instskip(NEXT) | instid1(VALU_DEP_1)
	v_add3_u32 v3, v64, v2, v3
	v_mov_b32_dpp v64, v3 row_shr:1 row_mask:0xf bank_mask:0xf
	s_delay_alu instid0(VALU_DEP_1) | instskip(NEXT) | instid1(VALU_DEP_1)
	v_cndmask_b32_e64 v64, v64, 0, s1
	v_add_nc_u32_e32 v3, v64, v3
	s_delay_alu instid0(VALU_DEP_1) | instskip(NEXT) | instid1(VALU_DEP_1)
	v_mov_b32_dpp v64, v3 row_shr:2 row_mask:0xf bank_mask:0xf
	v_cndmask_b32_e64 v64, 0, v64, s2
	s_delay_alu instid0(VALU_DEP_1) | instskip(NEXT) | instid1(VALU_DEP_1)
	v_add_nc_u32_e32 v3, v3, v64
	v_mov_b32_dpp v64, v3 row_shr:4 row_mask:0xf bank_mask:0xf
	s_delay_alu instid0(VALU_DEP_1) | instskip(NEXT) | instid1(VALU_DEP_1)
	v_cndmask_b32_e64 v64, 0, v64, s3
	v_add_nc_u32_e32 v3, v3, v64
	s_delay_alu instid0(VALU_DEP_1) | instskip(NEXT) | instid1(VALU_DEP_1)
	v_mov_b32_dpp v64, v3 row_shr:8 row_mask:0xf bank_mask:0xf
	v_cndmask_b32_e64 v64, 0, v64, s4
	s_delay_alu instid0(VALU_DEP_1) | instskip(SKIP_3) | instid1(VALU_DEP_1)
	v_add_nc_u32_e32 v3, v3, v64
	ds_swizzle_b32 v64, v3 offset:swizzle(BROADCAST,32,15)
	s_waitcnt lgkmcnt(0)
	v_cndmask_b32_e64 v64, v64, 0, s5
	v_add_nc_u32_e32 v3, v3, v64
	s_and_saveexec_b32 s10, s9
	s_cbranch_execz .LBB135_22
; %bb.21:                               ;   in Loop: Header=BB135_4 Depth=2
	ds_store_b32 v69, v3
.LBB135_22:                             ;   in Loop: Header=BB135_4 Depth=2
	s_or_b32 exec_lo, exec_lo, s10
	s_waitcnt lgkmcnt(0)
	s_barrier
	buffer_gl0_inv
	s_and_saveexec_b32 s10, s6
	s_cbranch_execz .LBB135_24
; %bb.23:                               ;   in Loop: Header=BB135_4 Depth=2
	ds_load_b32 v64, v82
	s_waitcnt lgkmcnt(0)
	v_mov_b32_dpp v65, v64 row_shr:1 row_mask:0xf bank_mask:0xf
	s_delay_alu instid0(VALU_DEP_1) | instskip(NEXT) | instid1(VALU_DEP_1)
	v_cndmask_b32_e64 v65, v65, 0, s1
	v_add_nc_u32_e32 v64, v65, v64
	s_delay_alu instid0(VALU_DEP_1) | instskip(NEXT) | instid1(VALU_DEP_1)
	v_mov_b32_dpp v65, v64 row_shr:2 row_mask:0xf bank_mask:0xf
	v_cndmask_b32_e64 v65, 0, v65, s2
	s_delay_alu instid0(VALU_DEP_1) | instskip(NEXT) | instid1(VALU_DEP_1)
	v_add_nc_u32_e32 v64, v64, v65
	v_mov_b32_dpp v65, v64 row_shr:4 row_mask:0xf bank_mask:0xf
	s_delay_alu instid0(VALU_DEP_1) | instskip(NEXT) | instid1(VALU_DEP_1)
	v_cndmask_b32_e64 v65, 0, v65, s3
	v_add_nc_u32_e32 v64, v64, v65
	s_delay_alu instid0(VALU_DEP_1) | instskip(NEXT) | instid1(VALU_DEP_1)
	v_mov_b32_dpp v65, v64 row_shr:8 row_mask:0xf bank_mask:0xf
	v_cndmask_b32_e64 v65, 0, v65, s4
	s_delay_alu instid0(VALU_DEP_1)
	v_add_nc_u32_e32 v64, v64, v65
	ds_store_b32 v82, v64
.LBB135_24:                             ;   in Loop: Header=BB135_4 Depth=2
	s_or_b32 exec_lo, exec_lo, s10
	v_mov_b32_e32 v64, 0
	s_waitcnt lgkmcnt(0)
	s_barrier
	buffer_gl0_inv
	s_and_saveexec_b32 s10, s7
	s_cbranch_execz .LBB135_26
; %bb.25:                               ;   in Loop: Header=BB135_4 Depth=2
	ds_load_b32 v64, v71
.LBB135_26:                             ;   in Loop: Header=BB135_4 Depth=2
	s_or_b32 exec_lo, exec_lo, s10
	s_waitcnt lgkmcnt(0)
	v_add_nc_u32_e32 v3, v64, v3
	s_cmp_gt_u32 s16, 55
	ds_bpermute_b32 v3, v68, v3
	s_waitcnt lgkmcnt(0)
	v_cndmask_b32_e64 v3, v3, v64, s0
	s_delay_alu instid0(VALU_DEP_1) | instskip(NEXT) | instid1(VALU_DEP_1)
	v_cndmask_b32_e64 v3, v3, 0, s8
	v_add_nc_u32_e32 v4, v3, v4
	s_delay_alu instid0(VALU_DEP_1) | instskip(NEXT) | instid1(VALU_DEP_1)
	v_add_nc_u32_e32 v5, v4, v5
	v_add_nc_u32_e32 v6, v5, v6
	s_delay_alu instid0(VALU_DEP_1) | instskip(NEXT) | instid1(VALU_DEP_1)
	v_add_nc_u32_e32 v64, v6, v7
	;; [unrolled: 3-line block ×3, first 2 shown]
	v_add_nc_u32_e32 v1, v0, v2
	ds_store_2addr_b64 v66, v[3:4], v[5:6] offset0:5 offset1:6
	ds_store_2addr_b64 v67, v[64:65], v[0:1] offset0:2 offset1:3
	s_waitcnt lgkmcnt(0)
	s_barrier
	buffer_gl0_inv
	ds_load_b32 v0, v42
	ds_load_b32 v1, v45
	;; [unrolled: 1-line block ×8, first 2 shown]
	s_waitcnt lgkmcnt(7)
	v_add_nc_u32_e32 v87, v0, v32
	s_waitcnt lgkmcnt(6)
	v_add3_u32 v88, v44, v43, v1
	s_waitcnt lgkmcnt(5)
	v_add3_u32 v89, v47, v46, v2
	;; [unrolled: 2-line block ×7, first 2 shown]
	s_cbranch_scc0 .LBB135_3
; %bb.27:                               ;   in Loop: Header=BB135_2 Depth=1
                                        ; implicit-def: $vgpr64_vgpr65
                                        ; implicit-def: $vgpr62_vgpr63
                                        ; implicit-def: $vgpr58_vgpr59
                                        ; implicit-def: $vgpr56_vgpr57
                                        ; implicit-def: $vgpr54_vgpr55
                                        ; implicit-def: $vgpr52_vgpr53
                                        ; implicit-def: $vgpr50_vgpr51
                                        ; implicit-def: $vgpr60_vgpr61
                                        ; implicit-def: $vgpr48_vgpr49
                                        ; implicit-def: $vgpr46_vgpr47
                                        ; implicit-def: $vgpr44_vgpr45
                                        ; implicit-def: $vgpr42_vgpr43
                                        ; implicit-def: $vgpr6_vgpr7
                                        ; implicit-def: $vgpr4_vgpr5
                                        ; implicit-def: $vgpr2_vgpr3
                                        ; implicit-def: $vgpr0_vgpr1
                                        ; implicit-def: $sgpr16_sgpr17
	s_branch .LBB135_1
.LBB135_28:
	s_waitcnt lgkmcnt(3)
	v_add_co_u32 v13, vcc_lo, v13, v21
	v_add_co_ci_u32_e32 v14, vcc_lo, v14, v22, vcc_lo
	v_add_co_u32 v15, vcc_lo, v15, v23
	v_add_co_ci_u32_e32 v16, vcc_lo, v16, v24, vcc_lo
	s_waitcnt lgkmcnt(2)
	v_add_co_u32 v9, vcc_lo, v9, v25
	v_add_co_ci_u32_e32 v10, vcc_lo, v10, v26, vcc_lo
	v_add_co_u32 v11, vcc_lo, v11, v27
	v_add_co_ci_u32_e32 v12, vcc_lo, v12, v28, vcc_lo
	s_waitcnt lgkmcnt(1)
	v_add_co_u32 v5, vcc_lo, v5, v29
	v_add_co_ci_u32_e32 v6, vcc_lo, v6, v30, vcc_lo
	v_lshlrev_b32_e32 v25, 3, v33
	v_add_co_u32 v7, vcc_lo, v7, v31
	v_add_co_ci_u32_e32 v8, vcc_lo, v8, v32, vcc_lo
	s_add_u32 s0, s18, s12
	s_waitcnt lgkmcnt(0)
	v_add_co_u32 v0, vcc_lo, v1, v17
	s_addc_u32 s1, s19, s13
	v_add_co_u32 v23, s2, s0, v25
	v_add_co_ci_u32_e32 v1, vcc_lo, v2, v18, vcc_lo
	v_add_co_ci_u32_e64 v24, null, s1, 0, s2
	v_add_co_u32 v2, vcc_lo, v3, v19
	v_add_co_ci_u32_e32 v3, vcc_lo, v4, v20, vcc_lo
	v_add_co_u32 v17, vcc_lo, 0x1000, v23
	s_delay_alu instid0(VALU_DEP_4)
	v_add_co_ci_u32_e32 v18, vcc_lo, 0, v24, vcc_lo
	v_add_co_u32 v19, vcc_lo, 0x2000, v23
	v_add_co_ci_u32_e32 v20, vcc_lo, 0, v24, vcc_lo
	v_add_co_u32 v21, vcc_lo, 0x3000, v23
	;; [unrolled: 2-line block ×3, first 2 shown]
	v_add_co_ci_u32_e32 v24, vcc_lo, 0, v24, vcc_lo
	s_clause 0x7
	global_store_b64 v25, v[13:14], s[0:1]
	global_store_b64 v25, v[15:16], s[0:1] offset:2560
	global_store_b64 v[17:18], v[9:10], off offset:1024
	global_store_b64 v[17:18], v[11:12], off offset:3584
	;; [unrolled: 1-line block ×6, first 2 shown]
	s_nop 0
	s_sendmsg sendmsg(MSG_DEALLOC_VGPRS)
	s_endpgm
	.section	.rodata,"a",@progbits
	.p2align	6, 0x0
	.amdhsa_kernel _Z17sort_pairs_kernelI22helper_blocked_blockedxLj320ELj8ELj10EEvPKT0_PS1_
		.amdhsa_group_segment_fixed_size 21120
		.amdhsa_private_segment_fixed_size 0
		.amdhsa_kernarg_size 272
		.amdhsa_user_sgpr_count 15
		.amdhsa_user_sgpr_dispatch_ptr 0
		.amdhsa_user_sgpr_queue_ptr 0
		.amdhsa_user_sgpr_kernarg_segment_ptr 1
		.amdhsa_user_sgpr_dispatch_id 0
		.amdhsa_user_sgpr_private_segment_size 0
		.amdhsa_wavefront_size32 1
		.amdhsa_uses_dynamic_stack 0
		.amdhsa_enable_private_segment 0
		.amdhsa_system_sgpr_workgroup_id_x 1
		.amdhsa_system_sgpr_workgroup_id_y 0
		.amdhsa_system_sgpr_workgroup_id_z 0
		.amdhsa_system_sgpr_workgroup_info 0
		.amdhsa_system_vgpr_workitem_id 2
		.amdhsa_next_free_vgpr 90
		.amdhsa_next_free_sgpr 23
		.amdhsa_reserve_vcc 1
		.amdhsa_float_round_mode_32 0
		.amdhsa_float_round_mode_16_64 0
		.amdhsa_float_denorm_mode_32 3
		.amdhsa_float_denorm_mode_16_64 3
		.amdhsa_dx10_clamp 1
		.amdhsa_ieee_mode 1
		.amdhsa_fp16_overflow 0
		.amdhsa_workgroup_processor_mode 1
		.amdhsa_memory_ordered 1
		.amdhsa_forward_progress 0
		.amdhsa_shared_vgpr_count 0
		.amdhsa_exception_fp_ieee_invalid_op 0
		.amdhsa_exception_fp_denorm_src 0
		.amdhsa_exception_fp_ieee_div_zero 0
		.amdhsa_exception_fp_ieee_overflow 0
		.amdhsa_exception_fp_ieee_underflow 0
		.amdhsa_exception_fp_ieee_inexact 0
		.amdhsa_exception_int_div_zero 0
	.end_amdhsa_kernel
	.section	.text._Z17sort_pairs_kernelI22helper_blocked_blockedxLj320ELj8ELj10EEvPKT0_PS1_,"axG",@progbits,_Z17sort_pairs_kernelI22helper_blocked_blockedxLj320ELj8ELj10EEvPKT0_PS1_,comdat
.Lfunc_end135:
	.size	_Z17sort_pairs_kernelI22helper_blocked_blockedxLj320ELj8ELj10EEvPKT0_PS1_, .Lfunc_end135-_Z17sort_pairs_kernelI22helper_blocked_blockedxLj320ELj8ELj10EEvPKT0_PS1_
                                        ; -- End function
	.section	.AMDGPU.csdata,"",@progbits
; Kernel info:
; codeLenInByte = 5876
; NumSgprs: 25
; NumVgprs: 90
; ScratchSize: 0
; MemoryBound: 0
; FloatMode: 240
; IeeeMode: 1
; LDSByteSize: 21120 bytes/workgroup (compile time only)
; SGPRBlocks: 3
; VGPRBlocks: 11
; NumSGPRsForWavesPerEU: 25
; NumVGPRsForWavesPerEU: 90
; Occupancy: 15
; WaveLimiterHint : 1
; COMPUTE_PGM_RSRC2:SCRATCH_EN: 0
; COMPUTE_PGM_RSRC2:USER_SGPR: 15
; COMPUTE_PGM_RSRC2:TRAP_HANDLER: 0
; COMPUTE_PGM_RSRC2:TGID_X_EN: 1
; COMPUTE_PGM_RSRC2:TGID_Y_EN: 0
; COMPUTE_PGM_RSRC2:TGID_Z_EN: 0
; COMPUTE_PGM_RSRC2:TIDIG_COMP_CNT: 2
	.section	.text._Z16sort_keys_kernelI22helper_blocked_blockedxLj512ELj1ELj10EEvPKT0_PS1_,"axG",@progbits,_Z16sort_keys_kernelI22helper_blocked_blockedxLj512ELj1ELj10EEvPKT0_PS1_,comdat
	.protected	_Z16sort_keys_kernelI22helper_blocked_blockedxLj512ELj1ELj10EEvPKT0_PS1_ ; -- Begin function _Z16sort_keys_kernelI22helper_blocked_blockedxLj512ELj1ELj10EEvPKT0_PS1_
	.globl	_Z16sort_keys_kernelI22helper_blocked_blockedxLj512ELj1ELj10EEvPKT0_PS1_
	.p2align	8
	.type	_Z16sort_keys_kernelI22helper_blocked_blockedxLj512ELj1ELj10EEvPKT0_PS1_,@function
_Z16sort_keys_kernelI22helper_blocked_blockedxLj512ELj1ELj10EEvPKT0_PS1_: ; @_Z16sort_keys_kernelI22helper_blocked_blockedxLj512ELj1ELj10EEvPKT0_PS1_
; %bb.0:
	s_clause 0x1
	s_load_b128 s[16:19], s[0:1], 0x0
	s_load_b32 s9, s[0:1], 0x1c
	v_and_b32_e32 v8, 0x3ff, v0
	s_mov_b32 s11, 0
	s_lshl_b32 s10, s15, 9
	v_mbcnt_lo_u32_b32 v5, -1, 0
	s_lshl_b64 s[12:13], s[10:11], 3
	v_lshlrev_b32_e32 v1, 3, v8
	v_bfe_u32 v3, v0, 10, 10
	v_bfe_u32 v0, v0, 20, 10
	s_mov_b32 s10, s11
	v_dual_mov_b32 v12, s11 :: v_dual_add_nc_u32 v7, -1, v5
	v_dual_mov_b32 v11, s10 :: v_dual_and_b32 v4, 15, v5
	v_and_b32_e32 v6, 16, v5
	s_delay_alu instid0(VALU_DEP_3) | instskip(NEXT) | instid1(VALU_DEP_3)
	v_cmp_gt_i32_e32 vcc_lo, 0, v7
	v_cmp_lt_u32_e64 s2, 1, v4
	v_cmp_lt_u32_e64 s3, 3, v4
	s_waitcnt lgkmcnt(0)
	s_add_u32 s0, s16, s12
	s_addc_u32 s1, s17, s13
	s_lshr_b32 s10, s9, 16
	global_load_b64 v[1:2], v1, s[0:1]
	s_mov_b32 s1, s11
	s_mov_b32 s0, s11
	s_delay_alu instid0(SALU_CYCLE_1)
	v_dual_mov_b32 v10, s1 :: v_dual_mov_b32 v9, s0
	v_mad_u32_u24 v0, v0, s10, v3
	v_lshlrev_b32_e32 v15, 5, v8
	v_cmp_eq_u32_e64 s5, 0, v6
	v_dual_cndmask_b32 v7, v7, v5 :: v_dual_and_b32 v6, 0x1e0, v8
	v_lshrrev_b32_e32 v13, 3, v8
	s_and_b32 s9, s9, 0xffff
	v_cmp_eq_u32_e64 s1, 0, v4
	v_cmp_lt_u32_e64 s4, 7, v4
	v_mad_u64_u32 v[3:4], null, v0, s9, v[8:9]
	v_lshlrev_b32_e32 v14, 2, v8
	v_or_b32_e32 v20, 31, v6
	v_and_b32_e32 v17, 60, v13
	v_or_b32_e32 v0, v5, v6
	v_mad_i32_i24 v19, 0xffffffe4, v8, v15
	v_cmp_eq_u32_e64 s0, 0, v5
	v_cmp_gt_u32_e64 s6, 16, v8
	v_cmp_lt_u32_e64 s7, 31, v8
	v_cmp_eq_u32_e64 s8, 0, v8
	v_add_nc_u32_e32 v16, 64, v15
	v_lshlrev_b32_e32 v18, 2, v7
	v_cmp_eq_u32_e64 s9, v20, v8
	v_add_nc_u32_e32 v20, -4, v17
	v_lshlrev_b32_e32 v21, 3, v0
	v_lshrrev_b32_e32 v22, 5, v3
	v_add_nc_u32_e32 v23, v19, v14
	s_waitcnt vmcnt(0)
	v_xor_b32_e32 v2, 0x80000000, v2
	s_branch .LBB136_2
.LBB136_1:                              ;   in Loop: Header=BB136_2 Depth=1
	s_delay_alu instid0(VALU_DEP_1)
	v_lshlrev_b32_e32 v0, 3, v0
	s_barrier
	buffer_gl0_inv
	s_add_i32 s11, s11, 1
	ds_store_b64 v0, v[13:14]
	s_waitcnt lgkmcnt(0)
	s_barrier
	buffer_gl0_inv
	ds_load_b64 v[1:2], v23
	s_cmp_eq_u32 s11, 10
	s_cbranch_scc1 .LBB136_14
.LBB136_2:                              ; =>This Loop Header: Depth=1
                                        ;     Child Loop BB136_4 Depth 2
	s_mov_b64 s[14:15], 0
	s_branch .LBB136_4
.LBB136_3:                              ;   in Loop: Header=BB136_4 Depth=2
	s_delay_alu instid0(VALU_DEP_1)
	v_lshlrev_b32_e32 v1, 3, v0
	s_barrier
	buffer_gl0_inv
	s_add_u32 s14, s14, 8
	ds_store_b64 v1, v[13:14]
	s_waitcnt lgkmcnt(0)
	s_barrier
	buffer_gl0_inv
	ds_load_b64 v[1:2], v21
	s_addc_u32 s15, s15, 0
	s_waitcnt lgkmcnt(0)
	s_barrier
	buffer_gl0_inv
	s_cbranch_execz .LBB136_1
.LBB136_4:                              ;   Parent Loop BB136_2 Depth=1
                                        ; =>  This Inner Loop Header: Depth=2
	s_waitcnt lgkmcnt(0)
	v_dual_mov_b32 v14, v2 :: v_dual_mov_b32 v13, v1
	ds_store_2addr_b64 v15, v[11:12], v[9:10] offset0:8 offset1:9
	ds_store_2addr_b64 v16, v[11:12], v[9:10] offset0:2 offset1:3
	s_waitcnt lgkmcnt(0)
	s_barrier
	buffer_gl0_inv
	v_lshrrev_b64 v[1:2], s14, v[13:14]
	; wave barrier
	s_delay_alu instid0(VALU_DEP_1)
	v_and_b32_e32 v0, 1, v1
	v_lshlrev_b32_e32 v2, 30, v1
	v_lshlrev_b32_e32 v3, 29, v1
	;; [unrolled: 1-line block ×4, first 2 shown]
	v_add_co_u32 v0, s10, v0, -1
	s_delay_alu instid0(VALU_DEP_1)
	v_cndmask_b32_e64 v5, 0, 1, s10
	v_not_b32_e32 v25, v2
	v_cmp_gt_i32_e64 s10, 0, v2
	v_not_b32_e32 v2, v3
	v_lshlrev_b32_e32 v7, 26, v1
	v_cmp_ne_u32_e32 vcc_lo, 0, v5
	v_ashrrev_i32_e32 v25, 31, v25
	v_lshlrev_b32_e32 v24, 25, v1
	v_ashrrev_i32_e32 v2, 31, v2
	v_lshlrev_b32_e32 v5, 24, v1
	v_xor_b32_e32 v0, vcc_lo, v0
	v_cmp_gt_i32_e32 vcc_lo, 0, v3
	v_not_b32_e32 v3, v4
	v_xor_b32_e32 v25, s10, v25
	v_cmp_gt_i32_e64 s10, 0, v4
	v_and_b32_e32 v0, exec_lo, v0
	v_not_b32_e32 v4, v6
	v_ashrrev_i32_e32 v3, 31, v3
	v_xor_b32_e32 v2, vcc_lo, v2
	v_cmp_gt_i32_e32 vcc_lo, 0, v6
	v_and_b32_e32 v0, v0, v25
	v_not_b32_e32 v6, v7
	v_ashrrev_i32_e32 v4, 31, v4
	v_xor_b32_e32 v3, s10, v3
	v_cmp_gt_i32_e64 s10, 0, v7
	v_and_b32_e32 v0, v0, v2
	v_not_b32_e32 v2, v24
	v_ashrrev_i32_e32 v6, 31, v6
	v_xor_b32_e32 v4, vcc_lo, v4
	v_cmp_gt_i32_e32 vcc_lo, 0, v24
	v_and_b32_e32 v0, v0, v3
	v_not_b32_e32 v3, v5
	v_ashrrev_i32_e32 v2, 31, v2
	v_xor_b32_e32 v6, s10, v6
	v_cmp_gt_i32_e64 s10, 0, v5
	v_and_b32_e32 v0, v0, v4
	v_ashrrev_i32_e32 v3, 31, v3
	v_xor_b32_e32 v2, vcc_lo, v2
	v_and_b32_e32 v1, 0xff, v1
	s_delay_alu instid0(VALU_DEP_4) | instskip(NEXT) | instid1(VALU_DEP_4)
	v_and_b32_e32 v0, v0, v6
	v_xor_b32_e32 v3, s10, v3
	s_delay_alu instid0(VALU_DEP_3) | instskip(NEXT) | instid1(VALU_DEP_3)
	v_lshl_add_u32 v1, v1, 4, v22
	v_and_b32_e32 v0, v0, v2
	s_delay_alu instid0(VALU_DEP_2) | instskip(NEXT) | instid1(VALU_DEP_2)
	v_lshl_add_u32 v25, v1, 2, 64
	v_and_b32_e32 v0, v0, v3
	s_delay_alu instid0(VALU_DEP_1) | instskip(SKIP_1) | instid1(VALU_DEP_2)
	v_mbcnt_lo_u32_b32 v24, v0, 0
	v_cmp_ne_u32_e64 s10, 0, v0
	v_cmp_eq_u32_e32 vcc_lo, 0, v24
	s_delay_alu instid0(VALU_DEP_2) | instskip(NEXT) | instid1(SALU_CYCLE_1)
	s_and_b32 s16, s10, vcc_lo
	s_and_saveexec_b32 s10, s16
	s_cbranch_execz .LBB136_6
; %bb.5:                                ;   in Loop: Header=BB136_4 Depth=2
	v_bcnt_u32_b32 v0, v0, 0
	ds_store_b32 v25, v0
.LBB136_6:                              ;   in Loop: Header=BB136_4 Depth=2
	s_or_b32 exec_lo, exec_lo, s10
	; wave barrier
	s_waitcnt lgkmcnt(0)
	s_barrier
	buffer_gl0_inv
	ds_load_2addr_b64 v[4:7], v15 offset0:8 offset1:9
	ds_load_2addr_b64 v[0:3], v16 offset0:2 offset1:3
	s_waitcnt lgkmcnt(1)
	v_add_nc_u32_e32 v26, v5, v4
	s_delay_alu instid0(VALU_DEP_1) | instskip(SKIP_1) | instid1(VALU_DEP_1)
	v_add3_u32 v26, v26, v6, v7
	s_waitcnt lgkmcnt(0)
	v_add3_u32 v26, v26, v0, v1
	s_delay_alu instid0(VALU_DEP_1) | instskip(NEXT) | instid1(VALU_DEP_1)
	v_add3_u32 v3, v26, v2, v3
	v_mov_b32_dpp v26, v3 row_shr:1 row_mask:0xf bank_mask:0xf
	s_delay_alu instid0(VALU_DEP_1) | instskip(NEXT) | instid1(VALU_DEP_1)
	v_cndmask_b32_e64 v26, v26, 0, s1
	v_add_nc_u32_e32 v3, v26, v3
	s_delay_alu instid0(VALU_DEP_1) | instskip(NEXT) | instid1(VALU_DEP_1)
	v_mov_b32_dpp v26, v3 row_shr:2 row_mask:0xf bank_mask:0xf
	v_cndmask_b32_e64 v26, 0, v26, s2
	s_delay_alu instid0(VALU_DEP_1) | instskip(NEXT) | instid1(VALU_DEP_1)
	v_add_nc_u32_e32 v3, v3, v26
	v_mov_b32_dpp v26, v3 row_shr:4 row_mask:0xf bank_mask:0xf
	s_delay_alu instid0(VALU_DEP_1) | instskip(NEXT) | instid1(VALU_DEP_1)
	v_cndmask_b32_e64 v26, 0, v26, s3
	v_add_nc_u32_e32 v3, v3, v26
	s_delay_alu instid0(VALU_DEP_1) | instskip(NEXT) | instid1(VALU_DEP_1)
	v_mov_b32_dpp v26, v3 row_shr:8 row_mask:0xf bank_mask:0xf
	v_cndmask_b32_e64 v26, 0, v26, s4
	s_delay_alu instid0(VALU_DEP_1) | instskip(SKIP_3) | instid1(VALU_DEP_1)
	v_add_nc_u32_e32 v3, v3, v26
	ds_swizzle_b32 v26, v3 offset:swizzle(BROADCAST,32,15)
	s_waitcnt lgkmcnt(0)
	v_cndmask_b32_e64 v26, v26, 0, s5
	v_add_nc_u32_e32 v3, v3, v26
	s_and_saveexec_b32 s10, s9
	s_cbranch_execz .LBB136_8
; %bb.7:                                ;   in Loop: Header=BB136_4 Depth=2
	ds_store_b32 v17, v3
.LBB136_8:                              ;   in Loop: Header=BB136_4 Depth=2
	s_or_b32 exec_lo, exec_lo, s10
	s_waitcnt lgkmcnt(0)
	s_barrier
	buffer_gl0_inv
	s_and_saveexec_b32 s10, s6
	s_cbranch_execz .LBB136_10
; %bb.9:                                ;   in Loop: Header=BB136_4 Depth=2
	ds_load_b32 v26, v19
	s_waitcnt lgkmcnt(0)
	v_mov_b32_dpp v27, v26 row_shr:1 row_mask:0xf bank_mask:0xf
	s_delay_alu instid0(VALU_DEP_1) | instskip(NEXT) | instid1(VALU_DEP_1)
	v_cndmask_b32_e64 v27, v27, 0, s1
	v_add_nc_u32_e32 v26, v27, v26
	s_delay_alu instid0(VALU_DEP_1) | instskip(NEXT) | instid1(VALU_DEP_1)
	v_mov_b32_dpp v27, v26 row_shr:2 row_mask:0xf bank_mask:0xf
	v_cndmask_b32_e64 v27, 0, v27, s2
	s_delay_alu instid0(VALU_DEP_1) | instskip(NEXT) | instid1(VALU_DEP_1)
	v_add_nc_u32_e32 v26, v26, v27
	v_mov_b32_dpp v27, v26 row_shr:4 row_mask:0xf bank_mask:0xf
	s_delay_alu instid0(VALU_DEP_1) | instskip(NEXT) | instid1(VALU_DEP_1)
	v_cndmask_b32_e64 v27, 0, v27, s3
	v_add_nc_u32_e32 v26, v26, v27
	s_delay_alu instid0(VALU_DEP_1) | instskip(NEXT) | instid1(VALU_DEP_1)
	v_mov_b32_dpp v27, v26 row_shr:8 row_mask:0xf bank_mask:0xf
	v_cndmask_b32_e64 v27, 0, v27, s4
	s_delay_alu instid0(VALU_DEP_1)
	v_add_nc_u32_e32 v26, v26, v27
	ds_store_b32 v19, v26
.LBB136_10:                             ;   in Loop: Header=BB136_4 Depth=2
	s_or_b32 exec_lo, exec_lo, s10
	v_mov_b32_e32 v26, 0
	s_waitcnt lgkmcnt(0)
	s_barrier
	buffer_gl0_inv
	s_and_saveexec_b32 s10, s7
	s_cbranch_execz .LBB136_12
; %bb.11:                               ;   in Loop: Header=BB136_4 Depth=2
	ds_load_b32 v26, v20
.LBB136_12:                             ;   in Loop: Header=BB136_4 Depth=2
	s_or_b32 exec_lo, exec_lo, s10
	s_waitcnt lgkmcnt(0)
	v_add_nc_u32_e32 v3, v26, v3
	s_cmp_gt_u32 s14, 55
	ds_bpermute_b32 v3, v18, v3
	s_waitcnt lgkmcnt(0)
	v_cndmask_b32_e64 v3, v3, v26, s0
	s_delay_alu instid0(VALU_DEP_1) | instskip(NEXT) | instid1(VALU_DEP_1)
	v_cndmask_b32_e64 v3, v3, 0, s8
	v_add_nc_u32_e32 v4, v3, v4
	s_delay_alu instid0(VALU_DEP_1) | instskip(NEXT) | instid1(VALU_DEP_1)
	v_add_nc_u32_e32 v5, v4, v5
	v_add_nc_u32_e32 v6, v5, v6
	s_delay_alu instid0(VALU_DEP_1) | instskip(NEXT) | instid1(VALU_DEP_1)
	v_add_nc_u32_e32 v26, v6, v7
	;; [unrolled: 3-line block ×3, first 2 shown]
	v_add_nc_u32_e32 v1, v0, v2
	ds_store_2addr_b64 v15, v[3:4], v[5:6] offset0:8 offset1:9
	ds_store_2addr_b64 v16, v[26:27], v[0:1] offset0:2 offset1:3
	s_waitcnt lgkmcnt(0)
	s_barrier
	buffer_gl0_inv
	ds_load_b32 v0, v25
	s_waitcnt lgkmcnt(0)
	v_add_nc_u32_e32 v0, v0, v24
	s_cbranch_scc0 .LBB136_3
; %bb.13:                               ;   in Loop: Header=BB136_2 Depth=1
                                        ; implicit-def: $vgpr1_vgpr2
                                        ; implicit-def: $sgpr14_sgpr15
	s_branch .LBB136_1
.LBB136_14:
	s_waitcnt lgkmcnt(0)
	v_xor_b32_e32 v2, 0x80000000, v2
	v_lshlrev_b32_e32 v0, 3, v8
	s_add_u32 s0, s18, s12
	s_addc_u32 s1, s19, s13
	global_store_b64 v0, v[1:2], s[0:1]
	s_nop 0
	s_sendmsg sendmsg(MSG_DEALLOC_VGPRS)
	s_endpgm
	.section	.rodata,"a",@progbits
	.p2align	6, 0x0
	.amdhsa_kernel _Z16sort_keys_kernelI22helper_blocked_blockedxLj512ELj1ELj10EEvPKT0_PS1_
		.amdhsa_group_segment_fixed_size 16448
		.amdhsa_private_segment_fixed_size 0
		.amdhsa_kernarg_size 272
		.amdhsa_user_sgpr_count 15
		.amdhsa_user_sgpr_dispatch_ptr 0
		.amdhsa_user_sgpr_queue_ptr 0
		.amdhsa_user_sgpr_kernarg_segment_ptr 1
		.amdhsa_user_sgpr_dispatch_id 0
		.amdhsa_user_sgpr_private_segment_size 0
		.amdhsa_wavefront_size32 1
		.amdhsa_uses_dynamic_stack 0
		.amdhsa_enable_private_segment 0
		.amdhsa_system_sgpr_workgroup_id_x 1
		.amdhsa_system_sgpr_workgroup_id_y 0
		.amdhsa_system_sgpr_workgroup_id_z 0
		.amdhsa_system_sgpr_workgroup_info 0
		.amdhsa_system_vgpr_workitem_id 2
		.amdhsa_next_free_vgpr 28
		.amdhsa_next_free_sgpr 20
		.amdhsa_reserve_vcc 1
		.amdhsa_float_round_mode_32 0
		.amdhsa_float_round_mode_16_64 0
		.amdhsa_float_denorm_mode_32 3
		.amdhsa_float_denorm_mode_16_64 3
		.amdhsa_dx10_clamp 1
		.amdhsa_ieee_mode 1
		.amdhsa_fp16_overflow 0
		.amdhsa_workgroup_processor_mode 1
		.amdhsa_memory_ordered 1
		.amdhsa_forward_progress 0
		.amdhsa_shared_vgpr_count 0
		.amdhsa_exception_fp_ieee_invalid_op 0
		.amdhsa_exception_fp_denorm_src 0
		.amdhsa_exception_fp_ieee_div_zero 0
		.amdhsa_exception_fp_ieee_overflow 0
		.amdhsa_exception_fp_ieee_underflow 0
		.amdhsa_exception_fp_ieee_inexact 0
		.amdhsa_exception_int_div_zero 0
	.end_amdhsa_kernel
	.section	.text._Z16sort_keys_kernelI22helper_blocked_blockedxLj512ELj1ELj10EEvPKT0_PS1_,"axG",@progbits,_Z16sort_keys_kernelI22helper_blocked_blockedxLj512ELj1ELj10EEvPKT0_PS1_,comdat
.Lfunc_end136:
	.size	_Z16sort_keys_kernelI22helper_blocked_blockedxLj512ELj1ELj10EEvPKT0_PS1_, .Lfunc_end136-_Z16sort_keys_kernelI22helper_blocked_blockedxLj512ELj1ELj10EEvPKT0_PS1_
                                        ; -- End function
	.section	.AMDGPU.csdata,"",@progbits
; Kernel info:
; codeLenInByte = 1460
; NumSgprs: 22
; NumVgprs: 28
; ScratchSize: 0
; MemoryBound: 0
; FloatMode: 240
; IeeeMode: 1
; LDSByteSize: 16448 bytes/workgroup (compile time only)
; SGPRBlocks: 2
; VGPRBlocks: 3
; NumSGPRsForWavesPerEU: 22
; NumVGPRsForWavesPerEU: 28
; Occupancy: 16
; WaveLimiterHint : 0
; COMPUTE_PGM_RSRC2:SCRATCH_EN: 0
; COMPUTE_PGM_RSRC2:USER_SGPR: 15
; COMPUTE_PGM_RSRC2:TRAP_HANDLER: 0
; COMPUTE_PGM_RSRC2:TGID_X_EN: 1
; COMPUTE_PGM_RSRC2:TGID_Y_EN: 0
; COMPUTE_PGM_RSRC2:TGID_Z_EN: 0
; COMPUTE_PGM_RSRC2:TIDIG_COMP_CNT: 2
	.section	.text._Z17sort_pairs_kernelI22helper_blocked_blockedxLj512ELj1ELj10EEvPKT0_PS1_,"axG",@progbits,_Z17sort_pairs_kernelI22helper_blocked_blockedxLj512ELj1ELj10EEvPKT0_PS1_,comdat
	.protected	_Z17sort_pairs_kernelI22helper_blocked_blockedxLj512ELj1ELj10EEvPKT0_PS1_ ; -- Begin function _Z17sort_pairs_kernelI22helper_blocked_blockedxLj512ELj1ELj10EEvPKT0_PS1_
	.globl	_Z17sort_pairs_kernelI22helper_blocked_blockedxLj512ELj1ELj10EEvPKT0_PS1_
	.p2align	8
	.type	_Z17sort_pairs_kernelI22helper_blocked_blockedxLj512ELj1ELj10EEvPKT0_PS1_,@function
_Z17sort_pairs_kernelI22helper_blocked_blockedxLj512ELj1ELj10EEvPKT0_PS1_: ; @_Z17sort_pairs_kernelI22helper_blocked_blockedxLj512ELj1ELj10EEvPKT0_PS1_
; %bb.0:
	s_clause 0x1
	s_load_b128 s[16:19], s[0:1], 0x0
	s_load_b32 s9, s[0:1], 0x1c
	v_and_b32_e32 v8, 0x3ff, v0
	s_mov_b32 s11, 0
	s_lshl_b32 s10, s15, 9
	v_mbcnt_lo_u32_b32 v5, -1, 0
	s_lshl_b64 s[12:13], s[10:11], 3
	v_lshlrev_b32_e32 v1, 3, v8
	v_bfe_u32 v3, v0, 10, 10
	v_bfe_u32 v0, v0, 20, 10
	s_mov_b32 s10, s11
	v_dual_mov_b32 v12, s11 :: v_dual_add_nc_u32 v7, -1, v5
	v_dual_mov_b32 v11, s10 :: v_dual_and_b32 v4, 15, v5
	v_and_b32_e32 v6, 16, v5
	s_delay_alu instid0(VALU_DEP_3) | instskip(NEXT) | instid1(VALU_DEP_3)
	v_cmp_gt_i32_e32 vcc_lo, 0, v7
	v_cmp_lt_u32_e64 s2, 1, v4
	v_cmp_lt_u32_e64 s3, 3, v4
	s_waitcnt lgkmcnt(0)
	s_add_u32 s0, s16, s12
	s_addc_u32 s1, s17, s13
	s_lshr_b32 s10, s9, 16
	global_load_b64 v[1:2], v1, s[0:1]
	s_mov_b32 s1, s11
	s_mov_b32 s0, s11
	s_delay_alu instid0(SALU_CYCLE_1)
	v_dual_mov_b32 v10, s1 :: v_dual_mov_b32 v9, s0
	v_mad_u32_u24 v0, v0, s10, v3
	s_and_b32 s9, s9, 0xffff
	v_lshlrev_b32_e32 v17, 5, v8
	v_cmp_eq_u32_e64 s1, 0, v4
	v_cmp_lt_u32_e64 s4, 7, v4
	v_cmp_eq_u32_e64 s5, 0, v6
	v_dual_cndmask_b32 v7, v7, v5 :: v_dual_and_b32 v6, 0x1e0, v8
	v_lshrrev_b32_e32 v13, 3, v8
	v_mad_u64_u32 v[3:4], null, v0, s9, v[8:9]
	v_lshlrev_b32_e32 v14, 2, v8
	s_delay_alu instid0(VALU_DEP_4) | instskip(NEXT) | instid1(VALU_DEP_4)
	v_or_b32_e32 v15, 31, v6
	v_and_b32_e32 v19, 60, v13
	v_or_b32_e32 v0, v5, v6
	v_mad_i32_i24 v21, 0xffffffe4, v8, v17
	v_cmp_eq_u32_e64 s0, 0, v5
	v_lshrrev_b32_e32 v24, 5, v3
	v_cmp_gt_u32_e64 s6, 16, v8
	v_cmp_lt_u32_e64 s7, 31, v8
	v_cmp_eq_u32_e64 s8, 0, v8
	v_add_nc_u32_e32 v18, 64, v17
	v_lshlrev_b32_e32 v20, 2, v7
	v_cmp_eq_u32_e64 s9, v15, v8
	v_add_nc_u32_e32 v22, -4, v19
	v_lshlrev_b32_e32 v23, 3, v0
	v_add_nc_u32_e32 v25, v21, v14
	s_waitcnt vmcnt(0)
	v_add_co_u32 v3, vcc_lo, v1, 1
	v_add_co_ci_u32_e32 v4, vcc_lo, 0, v2, vcc_lo
	v_xor_b32_e32 v2, 0x80000000, v2
	s_branch .LBB137_2
.LBB137_1:                              ;   in Loop: Header=BB137_2 Depth=1
	s_delay_alu instid0(VALU_DEP_1)
	v_lshlrev_b32_e32 v0, 3, v0
	s_barrier
	buffer_gl0_inv
	s_add_i32 s11, s11, 1
	ds_store_b64 v0, v[13:14]
	s_waitcnt lgkmcnt(0)
	s_barrier
	buffer_gl0_inv
	ds_load_b64 v[1:2], v25
	s_waitcnt lgkmcnt(0)
	s_barrier
	buffer_gl0_inv
	ds_store_b64 v0, v[15:16]
	s_waitcnt lgkmcnt(0)
	s_barrier
	buffer_gl0_inv
	ds_load_b64 v[3:4], v25
	s_cmp_lg_u32 s11, 10
	s_cbranch_scc0 .LBB137_14
.LBB137_2:                              ; =>This Loop Header: Depth=1
                                        ;     Child Loop BB137_4 Depth 2
	s_mov_b64 s[14:15], 0
	s_branch .LBB137_4
.LBB137_3:                              ;   in Loop: Header=BB137_4 Depth=2
	s_delay_alu instid0(VALU_DEP_1)
	v_lshlrev_b32_e32 v3, 3, v0
	s_barrier
	buffer_gl0_inv
	s_add_u32 s14, s14, 8
	ds_store_b64 v3, v[13:14]
	s_waitcnt lgkmcnt(0)
	s_barrier
	buffer_gl0_inv
	ds_load_b64 v[1:2], v23
	s_waitcnt lgkmcnt(0)
	s_barrier
	buffer_gl0_inv
	ds_store_b64 v3, v[15:16]
	s_waitcnt lgkmcnt(0)
	s_barrier
	buffer_gl0_inv
	ds_load_b64 v[3:4], v23
	s_addc_u32 s15, s15, 0
	s_waitcnt lgkmcnt(0)
	s_barrier
	buffer_gl0_inv
	s_cbranch_execz .LBB137_1
.LBB137_4:                              ;   Parent Loop BB137_2 Depth=1
                                        ; =>  This Inner Loop Header: Depth=2
	s_delay_alu instid0(VALU_DEP_1)
	v_dual_mov_b32 v14, v2 :: v_dual_mov_b32 v13, v1
	ds_store_2addr_b64 v17, v[11:12], v[9:10] offset0:8 offset1:9
	ds_store_2addr_b64 v18, v[11:12], v[9:10] offset0:2 offset1:3
	s_waitcnt lgkmcnt(0)
	s_barrier
	buffer_gl0_inv
	v_lshrrev_b64 v[1:2], s14, v[13:14]
	; wave barrier
	s_delay_alu instid0(VALU_DEP_1)
	v_and_b32_e32 v0, 1, v1
	v_lshlrev_b32_e32 v2, 30, v1
	v_lshlrev_b32_e32 v5, 29, v1
	;; [unrolled: 1-line block ×4, first 2 shown]
	v_add_co_u32 v0, s10, v0, -1
	s_delay_alu instid0(VALU_DEP_1)
	v_cndmask_b32_e64 v7, 0, 1, s10
	v_not_b32_e32 v27, v2
	v_cmp_gt_i32_e64 s10, 0, v2
	v_not_b32_e32 v2, v5
	v_lshlrev_b32_e32 v16, 26, v1
	v_cmp_ne_u32_e32 vcc_lo, 0, v7
	v_ashrrev_i32_e32 v27, 31, v27
	v_lshlrev_b32_e32 v26, 25, v1
	v_ashrrev_i32_e32 v2, 31, v2
	v_lshlrev_b32_e32 v7, 24, v1
	v_xor_b32_e32 v0, vcc_lo, v0
	v_cmp_gt_i32_e32 vcc_lo, 0, v5
	v_not_b32_e32 v5, v6
	v_xor_b32_e32 v27, s10, v27
	v_cmp_gt_i32_e64 s10, 0, v6
	v_and_b32_e32 v0, exec_lo, v0
	v_not_b32_e32 v6, v15
	v_ashrrev_i32_e32 v5, 31, v5
	v_xor_b32_e32 v2, vcc_lo, v2
	v_cmp_gt_i32_e32 vcc_lo, 0, v15
	v_and_b32_e32 v0, v0, v27
	v_not_b32_e32 v15, v16
	v_ashrrev_i32_e32 v6, 31, v6
	v_xor_b32_e32 v5, s10, v5
	v_cmp_gt_i32_e64 s10, 0, v16
	v_and_b32_e32 v0, v0, v2
	v_not_b32_e32 v2, v26
	v_ashrrev_i32_e32 v15, 31, v15
	v_xor_b32_e32 v6, vcc_lo, v6
	v_cmp_gt_i32_e32 vcc_lo, 0, v26
	v_and_b32_e32 v0, v0, v5
	v_not_b32_e32 v5, v7
	v_ashrrev_i32_e32 v2, 31, v2
	v_xor_b32_e32 v15, s10, v15
	v_cmp_gt_i32_e64 s10, 0, v7
	v_and_b32_e32 v0, v0, v6
	v_ashrrev_i32_e32 v5, 31, v5
	v_xor_b32_e32 v2, vcc_lo, v2
	v_and_b32_e32 v1, 0xff, v1
	s_delay_alu instid0(VALU_DEP_4) | instskip(SKIP_2) | instid1(VALU_DEP_4)
	v_and_b32_e32 v0, v0, v15
	v_mov_b32_e32 v16, v4
	v_xor_b32_e32 v5, s10, v5
	v_lshl_add_u32 v1, v1, 4, v24
	s_delay_alu instid0(VALU_DEP_4) | instskip(NEXT) | instid1(VALU_DEP_2)
	v_dual_mov_b32 v15, v3 :: v_dual_and_b32 v0, v0, v2
	v_lshl_add_u32 v27, v1, 2, 64
	s_delay_alu instid0(VALU_DEP_2) | instskip(NEXT) | instid1(VALU_DEP_1)
	v_and_b32_e32 v0, v0, v5
	v_mbcnt_lo_u32_b32 v26, v0, 0
	v_cmp_ne_u32_e64 s10, 0, v0
	s_delay_alu instid0(VALU_DEP_2) | instskip(NEXT) | instid1(VALU_DEP_2)
	v_cmp_eq_u32_e32 vcc_lo, 0, v26
	s_and_b32 s16, s10, vcc_lo
	s_delay_alu instid0(SALU_CYCLE_1)
	s_and_saveexec_b32 s10, s16
	s_cbranch_execz .LBB137_6
; %bb.5:                                ;   in Loop: Header=BB137_4 Depth=2
	v_bcnt_u32_b32 v0, v0, 0
	ds_store_b32 v27, v0
.LBB137_6:                              ;   in Loop: Header=BB137_4 Depth=2
	s_or_b32 exec_lo, exec_lo, s10
	; wave barrier
	s_waitcnt lgkmcnt(0)
	s_barrier
	buffer_gl0_inv
	ds_load_2addr_b64 v[4:7], v17 offset0:8 offset1:9
	ds_load_2addr_b64 v[0:3], v18 offset0:2 offset1:3
	s_waitcnt lgkmcnt(1)
	v_add_nc_u32_e32 v28, v5, v4
	s_delay_alu instid0(VALU_DEP_1) | instskip(SKIP_1) | instid1(VALU_DEP_1)
	v_add3_u32 v28, v28, v6, v7
	s_waitcnt lgkmcnt(0)
	v_add3_u32 v28, v28, v0, v1
	s_delay_alu instid0(VALU_DEP_1) | instskip(NEXT) | instid1(VALU_DEP_1)
	v_add3_u32 v3, v28, v2, v3
	v_mov_b32_dpp v28, v3 row_shr:1 row_mask:0xf bank_mask:0xf
	s_delay_alu instid0(VALU_DEP_1) | instskip(NEXT) | instid1(VALU_DEP_1)
	v_cndmask_b32_e64 v28, v28, 0, s1
	v_add_nc_u32_e32 v3, v28, v3
	s_delay_alu instid0(VALU_DEP_1) | instskip(NEXT) | instid1(VALU_DEP_1)
	v_mov_b32_dpp v28, v3 row_shr:2 row_mask:0xf bank_mask:0xf
	v_cndmask_b32_e64 v28, 0, v28, s2
	s_delay_alu instid0(VALU_DEP_1) | instskip(NEXT) | instid1(VALU_DEP_1)
	v_add_nc_u32_e32 v3, v3, v28
	v_mov_b32_dpp v28, v3 row_shr:4 row_mask:0xf bank_mask:0xf
	s_delay_alu instid0(VALU_DEP_1) | instskip(NEXT) | instid1(VALU_DEP_1)
	v_cndmask_b32_e64 v28, 0, v28, s3
	v_add_nc_u32_e32 v3, v3, v28
	s_delay_alu instid0(VALU_DEP_1) | instskip(NEXT) | instid1(VALU_DEP_1)
	v_mov_b32_dpp v28, v3 row_shr:8 row_mask:0xf bank_mask:0xf
	v_cndmask_b32_e64 v28, 0, v28, s4
	s_delay_alu instid0(VALU_DEP_1) | instskip(SKIP_3) | instid1(VALU_DEP_1)
	v_add_nc_u32_e32 v3, v3, v28
	ds_swizzle_b32 v28, v3 offset:swizzle(BROADCAST,32,15)
	s_waitcnt lgkmcnt(0)
	v_cndmask_b32_e64 v28, v28, 0, s5
	v_add_nc_u32_e32 v3, v3, v28
	s_and_saveexec_b32 s10, s9
	s_cbranch_execz .LBB137_8
; %bb.7:                                ;   in Loop: Header=BB137_4 Depth=2
	ds_store_b32 v19, v3
.LBB137_8:                              ;   in Loop: Header=BB137_4 Depth=2
	s_or_b32 exec_lo, exec_lo, s10
	s_waitcnt lgkmcnt(0)
	s_barrier
	buffer_gl0_inv
	s_and_saveexec_b32 s10, s6
	s_cbranch_execz .LBB137_10
; %bb.9:                                ;   in Loop: Header=BB137_4 Depth=2
	ds_load_b32 v28, v21
	s_waitcnt lgkmcnt(0)
	v_mov_b32_dpp v29, v28 row_shr:1 row_mask:0xf bank_mask:0xf
	s_delay_alu instid0(VALU_DEP_1) | instskip(NEXT) | instid1(VALU_DEP_1)
	v_cndmask_b32_e64 v29, v29, 0, s1
	v_add_nc_u32_e32 v28, v29, v28
	s_delay_alu instid0(VALU_DEP_1) | instskip(NEXT) | instid1(VALU_DEP_1)
	v_mov_b32_dpp v29, v28 row_shr:2 row_mask:0xf bank_mask:0xf
	v_cndmask_b32_e64 v29, 0, v29, s2
	s_delay_alu instid0(VALU_DEP_1) | instskip(NEXT) | instid1(VALU_DEP_1)
	v_add_nc_u32_e32 v28, v28, v29
	v_mov_b32_dpp v29, v28 row_shr:4 row_mask:0xf bank_mask:0xf
	s_delay_alu instid0(VALU_DEP_1) | instskip(NEXT) | instid1(VALU_DEP_1)
	v_cndmask_b32_e64 v29, 0, v29, s3
	v_add_nc_u32_e32 v28, v28, v29
	s_delay_alu instid0(VALU_DEP_1) | instskip(NEXT) | instid1(VALU_DEP_1)
	v_mov_b32_dpp v29, v28 row_shr:8 row_mask:0xf bank_mask:0xf
	v_cndmask_b32_e64 v29, 0, v29, s4
	s_delay_alu instid0(VALU_DEP_1)
	v_add_nc_u32_e32 v28, v28, v29
	ds_store_b32 v21, v28
.LBB137_10:                             ;   in Loop: Header=BB137_4 Depth=2
	s_or_b32 exec_lo, exec_lo, s10
	v_mov_b32_e32 v28, 0
	s_waitcnt lgkmcnt(0)
	s_barrier
	buffer_gl0_inv
	s_and_saveexec_b32 s10, s7
	s_cbranch_execz .LBB137_12
; %bb.11:                               ;   in Loop: Header=BB137_4 Depth=2
	ds_load_b32 v28, v22
.LBB137_12:                             ;   in Loop: Header=BB137_4 Depth=2
	s_or_b32 exec_lo, exec_lo, s10
	s_waitcnt lgkmcnt(0)
	v_add_nc_u32_e32 v3, v28, v3
	s_cmp_gt_u32 s14, 55
	ds_bpermute_b32 v3, v20, v3
	s_waitcnt lgkmcnt(0)
	v_cndmask_b32_e64 v3, v3, v28, s0
	s_delay_alu instid0(VALU_DEP_1) | instskip(NEXT) | instid1(VALU_DEP_1)
	v_cndmask_b32_e64 v3, v3, 0, s8
	v_add_nc_u32_e32 v4, v3, v4
	s_delay_alu instid0(VALU_DEP_1) | instskip(NEXT) | instid1(VALU_DEP_1)
	v_add_nc_u32_e32 v5, v4, v5
	v_add_nc_u32_e32 v6, v5, v6
	s_delay_alu instid0(VALU_DEP_1) | instskip(NEXT) | instid1(VALU_DEP_1)
	v_add_nc_u32_e32 v28, v6, v7
	;; [unrolled: 3-line block ×3, first 2 shown]
	v_add_nc_u32_e32 v1, v0, v2
	ds_store_2addr_b64 v17, v[3:4], v[5:6] offset0:8 offset1:9
	ds_store_2addr_b64 v18, v[28:29], v[0:1] offset0:2 offset1:3
	s_waitcnt lgkmcnt(0)
	s_barrier
	buffer_gl0_inv
	ds_load_b32 v0, v27
	s_waitcnt lgkmcnt(0)
	v_add_nc_u32_e32 v0, v0, v26
	s_cbranch_scc0 .LBB137_3
; %bb.13:                               ;   in Loop: Header=BB137_2 Depth=1
                                        ; implicit-def: $vgpr3_vgpr4
                                        ; implicit-def: $vgpr1_vgpr2
                                        ; implicit-def: $sgpr14_sgpr15
	s_branch .LBB137_1
.LBB137_14:
	s_waitcnt lgkmcnt(0)
	v_add_co_u32 v0, vcc_lo, v3, v1
	v_add_co_ci_u32_e32 v1, vcc_lo, v4, v2, vcc_lo
	v_lshlrev_b32_e32 v2, 3, v8
	s_delay_alu instid0(VALU_DEP_3) | instskip(NEXT) | instid1(VALU_DEP_3)
	v_add_co_u32 v0, vcc_lo, v0, 0
	v_add_co_ci_u32_e32 v1, vcc_lo, 0x80000000, v1, vcc_lo
	s_add_u32 s0, s18, s12
	s_addc_u32 s1, s19, s13
	global_store_b64 v2, v[0:1], s[0:1]
	s_nop 0
	s_sendmsg sendmsg(MSG_DEALLOC_VGPRS)
	s_endpgm
	.section	.rodata,"a",@progbits
	.p2align	6, 0x0
	.amdhsa_kernel _Z17sort_pairs_kernelI22helper_blocked_blockedxLj512ELj1ELj10EEvPKT0_PS1_
		.amdhsa_group_segment_fixed_size 16448
		.amdhsa_private_segment_fixed_size 0
		.amdhsa_kernarg_size 272
		.amdhsa_user_sgpr_count 15
		.amdhsa_user_sgpr_dispatch_ptr 0
		.amdhsa_user_sgpr_queue_ptr 0
		.amdhsa_user_sgpr_kernarg_segment_ptr 1
		.amdhsa_user_sgpr_dispatch_id 0
		.amdhsa_user_sgpr_private_segment_size 0
		.amdhsa_wavefront_size32 1
		.amdhsa_uses_dynamic_stack 0
		.amdhsa_enable_private_segment 0
		.amdhsa_system_sgpr_workgroup_id_x 1
		.amdhsa_system_sgpr_workgroup_id_y 0
		.amdhsa_system_sgpr_workgroup_id_z 0
		.amdhsa_system_sgpr_workgroup_info 0
		.amdhsa_system_vgpr_workitem_id 2
		.amdhsa_next_free_vgpr 30
		.amdhsa_next_free_sgpr 20
		.amdhsa_reserve_vcc 1
		.amdhsa_float_round_mode_32 0
		.amdhsa_float_round_mode_16_64 0
		.amdhsa_float_denorm_mode_32 3
		.amdhsa_float_denorm_mode_16_64 3
		.amdhsa_dx10_clamp 1
		.amdhsa_ieee_mode 1
		.amdhsa_fp16_overflow 0
		.amdhsa_workgroup_processor_mode 1
		.amdhsa_memory_ordered 1
		.amdhsa_forward_progress 0
		.amdhsa_shared_vgpr_count 0
		.amdhsa_exception_fp_ieee_invalid_op 0
		.amdhsa_exception_fp_denorm_src 0
		.amdhsa_exception_fp_ieee_div_zero 0
		.amdhsa_exception_fp_ieee_overflow 0
		.amdhsa_exception_fp_ieee_underflow 0
		.amdhsa_exception_fp_ieee_inexact 0
		.amdhsa_exception_int_div_zero 0
	.end_amdhsa_kernel
	.section	.text._Z17sort_pairs_kernelI22helper_blocked_blockedxLj512ELj1ELj10EEvPKT0_PS1_,"axG",@progbits,_Z17sort_pairs_kernelI22helper_blocked_blockedxLj512ELj1ELj10EEvPKT0_PS1_,comdat
.Lfunc_end137:
	.size	_Z17sort_pairs_kernelI22helper_blocked_blockedxLj512ELj1ELj10EEvPKT0_PS1_, .Lfunc_end137-_Z17sort_pairs_kernelI22helper_blocked_blockedxLj512ELj1ELj10EEvPKT0_PS1_
                                        ; -- End function
	.section	.AMDGPU.csdata,"",@progbits
; Kernel info:
; codeLenInByte = 1604
; NumSgprs: 22
; NumVgprs: 30
; ScratchSize: 0
; MemoryBound: 0
; FloatMode: 240
; IeeeMode: 1
; LDSByteSize: 16448 bytes/workgroup (compile time only)
; SGPRBlocks: 2
; VGPRBlocks: 3
; NumSGPRsForWavesPerEU: 22
; NumVGPRsForWavesPerEU: 30
; Occupancy: 16
; WaveLimiterHint : 0
; COMPUTE_PGM_RSRC2:SCRATCH_EN: 0
; COMPUTE_PGM_RSRC2:USER_SGPR: 15
; COMPUTE_PGM_RSRC2:TRAP_HANDLER: 0
; COMPUTE_PGM_RSRC2:TGID_X_EN: 1
; COMPUTE_PGM_RSRC2:TGID_Y_EN: 0
; COMPUTE_PGM_RSRC2:TGID_Z_EN: 0
; COMPUTE_PGM_RSRC2:TIDIG_COMP_CNT: 2
	.section	.text._Z16sort_keys_kernelI22helper_blocked_blockedxLj512ELj3ELj10EEvPKT0_PS1_,"axG",@progbits,_Z16sort_keys_kernelI22helper_blocked_blockedxLj512ELj3ELj10EEvPKT0_PS1_,comdat
	.protected	_Z16sort_keys_kernelI22helper_blocked_blockedxLj512ELj3ELj10EEvPKT0_PS1_ ; -- Begin function _Z16sort_keys_kernelI22helper_blocked_blockedxLj512ELj3ELj10EEvPKT0_PS1_
	.globl	_Z16sort_keys_kernelI22helper_blocked_blockedxLj512ELj3ELj10EEvPKT0_PS1_
	.p2align	8
	.type	_Z16sort_keys_kernelI22helper_blocked_blockedxLj512ELj3ELj10EEvPKT0_PS1_,@function
_Z16sort_keys_kernelI22helper_blocked_blockedxLj512ELj3ELj10EEvPKT0_PS1_: ; @_Z16sort_keys_kernelI22helper_blocked_blockedxLj512ELj3ELj10EEvPKT0_PS1_
; %bb.0:
	s_clause 0x1
	s_load_b128 s[16:19], s[0:1], 0x0
	s_load_b32 s2, s[0:1], 0x1c
	s_mov_b32 s11, 0
	s_mul_i32 s10, s15, 0x600
	v_bfe_u32 v9, v0, 10, 10
	s_lshl_b64 s[12:13], s[10:11], 3
	s_mov_b32 s10, s11
	v_and_b32_e32 v8, 0x3ff, v0
	v_bfe_u32 v0, v0, 20, 10
	v_mbcnt_lo_u32_b32 v12, -1, 0
	s_mov_b32 s14, s11
	s_mov_b32 s15, s11
	v_lshlrev_b32_e32 v1, 3, v8
	v_lshrrev_b32_e32 v7, 5, v8
	v_cmp_eq_u32_e64 s8, 0, v12
	s_delay_alu instid0(VALU_DEP_2)
	v_mul_u32_u24_e32 v11, 0x60, v7
	v_lshlrev_b32_e32 v25, 2, v7
	s_waitcnt lgkmcnt(0)
	s_add_u32 s0, s16, s12
	s_addc_u32 s1, s17, s13
	v_add_co_u32 v2, s3, s0, v1
	s_delay_alu instid0(VALU_DEP_1) | instskip(SKIP_1) | instid1(VALU_DEP_3)
	v_add_co_ci_u32_e64 v3, null, s1, 0, s3
	v_lshlrev_b32_e32 v13, 3, v11
	v_add_co_u32 v5, vcc_lo, v2, 0x2000
	s_delay_alu instid0(VALU_DEP_3) | instskip(NEXT) | instid1(VALU_DEP_3)
	v_add_co_ci_u32_e32 v6, vcc_lo, 0, v3, vcc_lo
	v_mad_u32_u24 v20, v12, 24, v13
	v_add_nc_u32_e32 v27, -4, v25
	s_clause 0x2
	global_load_b64 v[1:2], v1, s[0:1]
	global_load_b64 v[3:4], v[5:6], off offset:-4096
	global_load_b64 v[5:6], v[5:6], off
	s_lshr_b32 s0, s2, 16
	s_delay_alu instid0(SALU_CYCLE_1)
	v_mad_u32_u24 v0, v0, s0, v9
	s_and_b32 s0, s2, 0xffff
	s_delay_alu instid0(VALU_DEP_1) | instid1(SALU_CYCLE_1)
	v_mad_u64_u32 v[9:10], null, v0, s0, v[8:9]
	v_or_b32_e32 v0, v12, v11
	v_add_nc_u32_e32 v11, -1, v12
	v_and_b32_e32 v10, 15, v12
	s_delay_alu instid0(VALU_DEP_3)
	v_lshlrev_b32_e32 v21, 3, v0
	v_lshrrev_b32_e32 v23, 5, v9
	v_and_b32_e32 v9, 16, v12
	v_cmp_gt_i32_e32 vcc_lo, 0, v11
	v_cmp_eq_u32_e64 s0, 0, v10
	v_cmp_lt_u32_e64 s1, 1, v10
	v_cmp_lt_u32_e64 s2, 3, v10
	v_cmp_eq_u32_e64 s4, 0, v9
	v_cndmask_b32_e32 v9, v11, v12, vcc_lo
	v_cmp_lt_u32_e64 s3, 7, v10
	s_delay_alu instid0(VALU_DEP_2)
	v_dual_mov_b32 v9, s10 :: v_dual_lshlrev_b32 v24, 2, v9
	v_and_b32_e32 v0, 0x1e0, v8
	v_lshlrev_b32_e32 v19, 5, v8
	v_cmp_gt_u32_e64 s6, 16, v8
	v_cmp_lt_u32_e64 s7, 31, v8
	v_cmp_eq_u32_e64 s9, 0, v8
	v_or_b32_e32 v13, 31, v0
	v_mul_u32_u24_e32 v0, 3, v0
	v_mad_i32_i24 v26, 0xffffffe4, v8, v19
	v_add_nc_u32_e32 v22, 64, v19
	v_mov_b32_e32 v10, s11
	v_cmp_eq_u32_e64 s5, v13, v8
	v_or_b32_e32 v0, v12, v0
	v_dual_mov_b32 v11, s14 :: v_dual_mov_b32 v12, s15
	s_delay_alu instid0(VALU_DEP_2) | instskip(SKIP_1) | instid1(VALU_DEP_1)
	v_lshlrev_b32_e32 v28, 3, v0
	v_mul_u32_u24_e32 v0, 20, v8
	v_add_nc_u32_e32 v29, v26, v0
	s_branch .LBB138_2
.LBB138_1:                              ;   in Loop: Header=BB138_2 Depth=1
	v_lshlrev_b32_e32 v0, 3, v30
	v_lshlrev_b32_e32 v1, 3, v7
	;; [unrolled: 1-line block ×3, first 2 shown]
	s_barrier
	buffer_gl0_inv
	ds_store_b64 v0, v[13:14]
	ds_store_b64 v1, v[17:18]
	;; [unrolled: 1-line block ×3, first 2 shown]
	s_waitcnt lgkmcnt(0)
	s_barrier
	buffer_gl0_inv
	ds_load_2addr_b64 v[1:4], v29 offset1:1
	ds_load_b64 v[5:6], v29 offset:16
	s_add_i32 s11, s11, 1
	s_delay_alu instid0(SALU_CYCLE_1)
	s_cmp_eq_u32 s11, 10
	s_waitcnt lgkmcnt(1)
	v_xor_b32_e32 v2, 0x80000000, v2
	v_xor_b32_e32 v4, 0x80000000, v4
	s_waitcnt lgkmcnt(0)
	v_xor_b32_e32 v6, 0x80000000, v6
	s_cbranch_scc1 .LBB138_18
.LBB138_2:                              ; =>This Loop Header: Depth=1
                                        ;     Child Loop BB138_4 Depth 2
	s_waitcnt vmcnt(2)
	v_xor_b32_e32 v2, 0x80000000, v2
	s_waitcnt vmcnt(1)
	v_xor_b32_e32 v4, 0x80000000, v4
	;; [unrolled: 2-line block ×3, first 2 shown]
	s_mov_b64 s[14:15], 0
	ds_store_2addr_b64 v20, v[1:2], v[3:4] offset1:1
	ds_store_b64 v20, v[5:6] offset:16
	; wave barrier
	ds_load_2addr_b64 v[0:3], v21 offset1:32
	ds_load_b64 v[4:5], v21 offset:512
	s_waitcnt lgkmcnt(0)
	s_barrier
	buffer_gl0_inv
	; wave barrier
	s_barrier
	s_branch .LBB138_4
.LBB138_3:                              ;   in Loop: Header=BB138_4 Depth=2
	v_lshlrev_b32_e32 v0, 3, v30
	v_lshlrev_b32_e32 v1, 3, v7
	s_delay_alu instid0(VALU_DEP_3)
	v_lshlrev_b32_e32 v2, 3, v6
	s_barrier
	buffer_gl0_inv
	ds_store_b64 v0, v[13:14]
	ds_store_b64 v1, v[17:18]
	;; [unrolled: 1-line block ×3, first 2 shown]
	s_waitcnt lgkmcnt(0)
	s_barrier
	buffer_gl0_inv
	ds_load_2addr_b64 v[0:3], v28 offset1:32
	ds_load_b64 v[4:5], v28 offset:512
	s_add_u32 s14, s14, 8
	s_addc_u32 s15, s15, 0
	s_waitcnt lgkmcnt(0)
	s_barrier
	s_cbranch_execz .LBB138_1
.LBB138_4:                              ;   Parent Loop BB138_2 Depth=1
                                        ; =>  This Inner Loop Header: Depth=2
	v_dual_mov_b32 v14, v1 :: v_dual_mov_b32 v13, v0
	buffer_gl0_inv
	ds_store_2addr_b64 v19, v[9:10], v[11:12] offset0:8 offset1:9
	ds_store_2addr_b64 v22, v[9:10], v[11:12] offset0:2 offset1:3
	s_waitcnt lgkmcnt(0)
	s_barrier
	v_lshrrev_b64 v[6:7], s14, v[13:14]
	buffer_gl0_inv
	; wave barrier
	v_and_b32_e32 v0, 1, v6
	v_lshlrev_b32_e32 v1, 30, v6
	v_lshlrev_b32_e32 v7, 29, v6
	;; [unrolled: 1-line block ×4, first 2 shown]
	v_add_co_u32 v0, s10, v0, -1
	s_delay_alu instid0(VALU_DEP_1)
	v_cndmask_b32_e64 v16, 0, 1, s10
	v_not_b32_e32 v31, v1
	v_cmp_gt_i32_e64 s10, 0, v1
	v_not_b32_e32 v1, v7
	v_lshlrev_b32_e32 v18, 26, v6
	v_cmp_ne_u32_e32 vcc_lo, 0, v16
	v_ashrrev_i32_e32 v31, 31, v31
	v_lshlrev_b32_e32 v30, 25, v6
	v_ashrrev_i32_e32 v1, 31, v1
	v_lshlrev_b32_e32 v16, 24, v6
	v_xor_b32_e32 v0, vcc_lo, v0
	v_cmp_gt_i32_e32 vcc_lo, 0, v7
	v_not_b32_e32 v7, v15
	v_xor_b32_e32 v31, s10, v31
	v_cmp_gt_i32_e64 s10, 0, v15
	v_and_b32_e32 v0, exec_lo, v0
	v_not_b32_e32 v15, v17
	v_ashrrev_i32_e32 v7, 31, v7
	v_xor_b32_e32 v1, vcc_lo, v1
	v_cmp_gt_i32_e32 vcc_lo, 0, v17
	v_and_b32_e32 v0, v0, v31
	v_not_b32_e32 v17, v18
	v_ashrrev_i32_e32 v15, 31, v15
	v_xor_b32_e32 v7, s10, v7
	v_cmp_gt_i32_e64 s10, 0, v18
	v_and_b32_e32 v0, v0, v1
	v_not_b32_e32 v1, v30
	v_ashrrev_i32_e32 v17, 31, v17
	v_xor_b32_e32 v15, vcc_lo, v15
	v_cmp_gt_i32_e32 vcc_lo, 0, v30
	v_and_b32_e32 v0, v0, v7
	v_not_b32_e32 v7, v16
	v_ashrrev_i32_e32 v1, 31, v1
	v_xor_b32_e32 v17, s10, v17
	v_cmp_gt_i32_e64 s10, 0, v16
	v_and_b32_e32 v0, v0, v15
	v_ashrrev_i32_e32 v7, 31, v7
	v_xor_b32_e32 v1, vcc_lo, v1
	v_dual_mov_b32 v16, v5 :: v_dual_mov_b32 v15, v4
	s_delay_alu instid0(VALU_DEP_4) | instskip(NEXT) | instid1(VALU_DEP_4)
	v_and_b32_e32 v0, v0, v17
	v_xor_b32_e32 v7, s10, v7
	v_dual_mov_b32 v18, v3 :: v_dual_mov_b32 v17, v2
	s_delay_alu instid0(VALU_DEP_3) | instskip(SKIP_1) | instid1(VALU_DEP_2)
	v_and_b32_e32 v0, v0, v1
	v_and_b32_e32 v1, 0xff, v6
	;; [unrolled: 1-line block ×3, first 2 shown]
	s_delay_alu instid0(VALU_DEP_2) | instskip(NEXT) | instid1(VALU_DEP_2)
	v_lshl_add_u32 v1, v1, 4, v23
	v_mbcnt_lo_u32_b32 v30, v0, 0
	v_cmp_ne_u32_e64 s10, 0, v0
	s_delay_alu instid0(VALU_DEP_3) | instskip(NEXT) | instid1(VALU_DEP_3)
	v_lshl_add_u32 v31, v1, 2, 64
	v_cmp_eq_u32_e32 vcc_lo, 0, v30
	s_delay_alu instid0(VALU_DEP_3) | instskip(NEXT) | instid1(SALU_CYCLE_1)
	s_and_b32 s16, s10, vcc_lo
	s_and_saveexec_b32 s10, s16
	s_cbranch_execz .LBB138_6
; %bb.5:                                ;   in Loop: Header=BB138_4 Depth=2
	v_bcnt_u32_b32 v0, v0, 0
	ds_store_b32 v31, v0
.LBB138_6:                              ;   in Loop: Header=BB138_4 Depth=2
	s_or_b32 exec_lo, exec_lo, s10
	v_lshrrev_b64 v[0:1], s14, v[17:18]
	; wave barrier
	s_delay_alu instid0(VALU_DEP_1)
	v_and_b32_e32 v2, 1, v0
	v_lshlrev_b32_e32 v3, 30, v0
	v_lshlrev_b32_e32 v4, 29, v0
	;; [unrolled: 1-line block ×4, first 2 shown]
	v_add_co_u32 v2, s10, v2, -1
	s_delay_alu instid0(VALU_DEP_1)
	v_cndmask_b32_e64 v6, 0, 1, s10
	v_not_b32_e32 v34, v3
	v_cmp_gt_i32_e64 s10, 0, v3
	v_not_b32_e32 v3, v4
	v_lshlrev_b32_e32 v32, 26, v0
	v_cmp_ne_u32_e32 vcc_lo, 0, v6
	v_ashrrev_i32_e32 v6, 31, v34
	v_lshlrev_b32_e32 v33, 25, v0
	v_ashrrev_i32_e32 v3, 31, v3
	v_and_b32_e32 v1, 0xff, v0
	v_xor_b32_e32 v2, vcc_lo, v2
	v_cmp_gt_i32_e32 vcc_lo, 0, v4
	v_not_b32_e32 v4, v5
	v_xor_b32_e32 v6, s10, v6
	v_cmp_gt_i32_e64 s10, 0, v5
	v_and_b32_e32 v2, exec_lo, v2
	v_not_b32_e32 v5, v7
	v_ashrrev_i32_e32 v4, 31, v4
	v_xor_b32_e32 v3, vcc_lo, v3
	v_cmp_gt_i32_e32 vcc_lo, 0, v7
	v_and_b32_e32 v2, v2, v6
	v_not_b32_e32 v6, v32
	v_ashrrev_i32_e32 v5, 31, v5
	v_xor_b32_e32 v4, s10, v4
	v_lshlrev_b32_e32 v0, 24, v0
	v_and_b32_e32 v2, v2, v3
	v_cmp_gt_i32_e64 s10, 0, v32
	v_not_b32_e32 v3, v33
	v_ashrrev_i32_e32 v6, 31, v6
	v_xor_b32_e32 v5, vcc_lo, v5
	v_and_b32_e32 v2, v2, v4
	v_cmp_gt_i32_e32 vcc_lo, 0, v33
	v_not_b32_e32 v4, v0
	v_ashrrev_i32_e32 v3, 31, v3
	v_xor_b32_e32 v6, s10, v6
	v_and_b32_e32 v2, v2, v5
	v_lshlrev_b32_e32 v1, 4, v1
	v_cmp_gt_i32_e64 s10, 0, v0
	v_ashrrev_i32_e32 v0, 31, v4
	v_xor_b32_e32 v3, vcc_lo, v3
	v_and_b32_e32 v2, v2, v6
	v_add_lshl_u32 v1, v1, v23, 2
	s_delay_alu instid0(VALU_DEP_4) | instskip(NEXT) | instid1(VALU_DEP_3)
	v_xor_b32_e32 v0, s10, v0
	v_and_b32_e32 v2, v2, v3
	ds_load_b32 v32, v1 offset:64
	v_add_nc_u32_e32 v34, 64, v1
	; wave barrier
	v_and_b32_e32 v0, v2, v0
	s_delay_alu instid0(VALU_DEP_1) | instskip(SKIP_1) | instid1(VALU_DEP_2)
	v_mbcnt_lo_u32_b32 v33, v0, 0
	v_cmp_ne_u32_e64 s10, 0, v0
	v_cmp_eq_u32_e32 vcc_lo, 0, v33
	s_delay_alu instid0(VALU_DEP_2) | instskip(NEXT) | instid1(SALU_CYCLE_1)
	s_and_b32 s16, s10, vcc_lo
	s_and_saveexec_b32 s10, s16
	s_cbranch_execz .LBB138_8
; %bb.7:                                ;   in Loop: Header=BB138_4 Depth=2
	s_waitcnt lgkmcnt(0)
	v_bcnt_u32_b32 v0, v0, v32
	ds_store_b32 v34, v0
.LBB138_8:                              ;   in Loop: Header=BB138_4 Depth=2
	s_or_b32 exec_lo, exec_lo, s10
	v_lshrrev_b64 v[0:1], s14, v[15:16]
	; wave barrier
	s_delay_alu instid0(VALU_DEP_1)
	v_and_b32_e32 v2, 1, v0
	v_lshlrev_b32_e32 v3, 30, v0
	v_lshlrev_b32_e32 v4, 29, v0
	v_lshlrev_b32_e32 v5, 28, v0
	v_lshlrev_b32_e32 v7, 27, v0
	v_add_co_u32 v2, s10, v2, -1
	s_delay_alu instid0(VALU_DEP_1)
	v_cndmask_b32_e64 v6, 0, 1, s10
	v_not_b32_e32 v37, v3
	v_cmp_gt_i32_e64 s10, 0, v3
	v_not_b32_e32 v3, v4
	v_lshlrev_b32_e32 v35, 26, v0
	v_cmp_ne_u32_e32 vcc_lo, 0, v6
	v_ashrrev_i32_e32 v6, 31, v37
	v_lshlrev_b32_e32 v36, 25, v0
	v_ashrrev_i32_e32 v3, 31, v3
	v_and_b32_e32 v1, 0xff, v0
	v_xor_b32_e32 v2, vcc_lo, v2
	v_cmp_gt_i32_e32 vcc_lo, 0, v4
	v_not_b32_e32 v4, v5
	v_xor_b32_e32 v6, s10, v6
	v_cmp_gt_i32_e64 s10, 0, v5
	v_and_b32_e32 v2, exec_lo, v2
	v_not_b32_e32 v5, v7
	v_ashrrev_i32_e32 v4, 31, v4
	v_xor_b32_e32 v3, vcc_lo, v3
	v_cmp_gt_i32_e32 vcc_lo, 0, v7
	v_and_b32_e32 v2, v2, v6
	v_not_b32_e32 v6, v35
	v_ashrrev_i32_e32 v5, 31, v5
	v_xor_b32_e32 v4, s10, v4
	v_lshlrev_b32_e32 v0, 24, v0
	v_and_b32_e32 v2, v2, v3
	v_cmp_gt_i32_e64 s10, 0, v35
	v_not_b32_e32 v3, v36
	v_ashrrev_i32_e32 v6, 31, v6
	v_xor_b32_e32 v5, vcc_lo, v5
	v_and_b32_e32 v2, v2, v4
	v_cmp_gt_i32_e32 vcc_lo, 0, v36
	v_not_b32_e32 v4, v0
	v_ashrrev_i32_e32 v3, 31, v3
	v_xor_b32_e32 v6, s10, v6
	v_and_b32_e32 v2, v2, v5
	v_lshlrev_b32_e32 v1, 4, v1
	v_cmp_gt_i32_e64 s10, 0, v0
	v_ashrrev_i32_e32 v0, 31, v4
	v_xor_b32_e32 v3, vcc_lo, v3
	v_and_b32_e32 v2, v2, v6
	v_add_lshl_u32 v1, v1, v23, 2
	s_delay_alu instid0(VALU_DEP_4) | instskip(NEXT) | instid1(VALU_DEP_3)
	v_xor_b32_e32 v0, s10, v0
	v_and_b32_e32 v2, v2, v3
	ds_load_b32 v35, v1 offset:64
	v_add_nc_u32_e32 v37, 64, v1
	; wave barrier
	v_and_b32_e32 v0, v2, v0
	s_delay_alu instid0(VALU_DEP_1) | instskip(SKIP_1) | instid1(VALU_DEP_2)
	v_mbcnt_lo_u32_b32 v36, v0, 0
	v_cmp_ne_u32_e64 s10, 0, v0
	v_cmp_eq_u32_e32 vcc_lo, 0, v36
	s_delay_alu instid0(VALU_DEP_2) | instskip(NEXT) | instid1(SALU_CYCLE_1)
	s_and_b32 s16, s10, vcc_lo
	s_and_saveexec_b32 s10, s16
	s_cbranch_execz .LBB138_10
; %bb.9:                                ;   in Loop: Header=BB138_4 Depth=2
	s_waitcnt lgkmcnt(0)
	v_bcnt_u32_b32 v0, v0, v35
	ds_store_b32 v37, v0
.LBB138_10:                             ;   in Loop: Header=BB138_4 Depth=2
	s_or_b32 exec_lo, exec_lo, s10
	; wave barrier
	s_waitcnt lgkmcnt(0)
	s_barrier
	buffer_gl0_inv
	ds_load_2addr_b64 v[4:7], v19 offset0:8 offset1:9
	ds_load_2addr_b64 v[0:3], v22 offset0:2 offset1:3
	s_waitcnt lgkmcnt(1)
	v_add_nc_u32_e32 v38, v5, v4
	s_delay_alu instid0(VALU_DEP_1) | instskip(SKIP_1) | instid1(VALU_DEP_1)
	v_add3_u32 v38, v38, v6, v7
	s_waitcnt lgkmcnt(0)
	v_add3_u32 v38, v38, v0, v1
	s_delay_alu instid0(VALU_DEP_1) | instskip(NEXT) | instid1(VALU_DEP_1)
	v_add3_u32 v3, v38, v2, v3
	v_mov_b32_dpp v38, v3 row_shr:1 row_mask:0xf bank_mask:0xf
	s_delay_alu instid0(VALU_DEP_1) | instskip(NEXT) | instid1(VALU_DEP_1)
	v_cndmask_b32_e64 v38, v38, 0, s0
	v_add_nc_u32_e32 v3, v38, v3
	s_delay_alu instid0(VALU_DEP_1) | instskip(NEXT) | instid1(VALU_DEP_1)
	v_mov_b32_dpp v38, v3 row_shr:2 row_mask:0xf bank_mask:0xf
	v_cndmask_b32_e64 v38, 0, v38, s1
	s_delay_alu instid0(VALU_DEP_1) | instskip(NEXT) | instid1(VALU_DEP_1)
	v_add_nc_u32_e32 v3, v3, v38
	v_mov_b32_dpp v38, v3 row_shr:4 row_mask:0xf bank_mask:0xf
	s_delay_alu instid0(VALU_DEP_1) | instskip(NEXT) | instid1(VALU_DEP_1)
	v_cndmask_b32_e64 v38, 0, v38, s2
	v_add_nc_u32_e32 v3, v3, v38
	s_delay_alu instid0(VALU_DEP_1) | instskip(NEXT) | instid1(VALU_DEP_1)
	v_mov_b32_dpp v38, v3 row_shr:8 row_mask:0xf bank_mask:0xf
	v_cndmask_b32_e64 v38, 0, v38, s3
	s_delay_alu instid0(VALU_DEP_1) | instskip(SKIP_3) | instid1(VALU_DEP_1)
	v_add_nc_u32_e32 v3, v3, v38
	ds_swizzle_b32 v38, v3 offset:swizzle(BROADCAST,32,15)
	s_waitcnt lgkmcnt(0)
	v_cndmask_b32_e64 v38, v38, 0, s4
	v_add_nc_u32_e32 v3, v3, v38
	s_and_saveexec_b32 s10, s5
	s_cbranch_execz .LBB138_12
; %bb.11:                               ;   in Loop: Header=BB138_4 Depth=2
	ds_store_b32 v25, v3
.LBB138_12:                             ;   in Loop: Header=BB138_4 Depth=2
	s_or_b32 exec_lo, exec_lo, s10
	s_waitcnt lgkmcnt(0)
	s_barrier
	buffer_gl0_inv
	s_and_saveexec_b32 s10, s6
	s_cbranch_execz .LBB138_14
; %bb.13:                               ;   in Loop: Header=BB138_4 Depth=2
	ds_load_b32 v38, v26
	s_waitcnt lgkmcnt(0)
	v_mov_b32_dpp v39, v38 row_shr:1 row_mask:0xf bank_mask:0xf
	s_delay_alu instid0(VALU_DEP_1) | instskip(NEXT) | instid1(VALU_DEP_1)
	v_cndmask_b32_e64 v39, v39, 0, s0
	v_add_nc_u32_e32 v38, v39, v38
	s_delay_alu instid0(VALU_DEP_1) | instskip(NEXT) | instid1(VALU_DEP_1)
	v_mov_b32_dpp v39, v38 row_shr:2 row_mask:0xf bank_mask:0xf
	v_cndmask_b32_e64 v39, 0, v39, s1
	s_delay_alu instid0(VALU_DEP_1) | instskip(NEXT) | instid1(VALU_DEP_1)
	v_add_nc_u32_e32 v38, v38, v39
	v_mov_b32_dpp v39, v38 row_shr:4 row_mask:0xf bank_mask:0xf
	s_delay_alu instid0(VALU_DEP_1) | instskip(NEXT) | instid1(VALU_DEP_1)
	v_cndmask_b32_e64 v39, 0, v39, s2
	v_add_nc_u32_e32 v38, v38, v39
	s_delay_alu instid0(VALU_DEP_1) | instskip(NEXT) | instid1(VALU_DEP_1)
	v_mov_b32_dpp v39, v38 row_shr:8 row_mask:0xf bank_mask:0xf
	v_cndmask_b32_e64 v39, 0, v39, s3
	s_delay_alu instid0(VALU_DEP_1)
	v_add_nc_u32_e32 v38, v38, v39
	ds_store_b32 v26, v38
.LBB138_14:                             ;   in Loop: Header=BB138_4 Depth=2
	s_or_b32 exec_lo, exec_lo, s10
	v_mov_b32_e32 v38, 0
	s_waitcnt lgkmcnt(0)
	s_barrier
	buffer_gl0_inv
	s_and_saveexec_b32 s10, s7
	s_cbranch_execz .LBB138_16
; %bb.15:                               ;   in Loop: Header=BB138_4 Depth=2
	ds_load_b32 v38, v27
.LBB138_16:                             ;   in Loop: Header=BB138_4 Depth=2
	s_or_b32 exec_lo, exec_lo, s10
	s_waitcnt lgkmcnt(0)
	v_add_nc_u32_e32 v3, v38, v3
	s_cmp_gt_u32 s14, 55
	ds_bpermute_b32 v3, v24, v3
	s_waitcnt lgkmcnt(0)
	v_cndmask_b32_e64 v3, v3, v38, s8
	s_delay_alu instid0(VALU_DEP_1) | instskip(NEXT) | instid1(VALU_DEP_1)
	v_cndmask_b32_e64 v3, v3, 0, s9
	v_add_nc_u32_e32 v4, v3, v4
	s_delay_alu instid0(VALU_DEP_1) | instskip(NEXT) | instid1(VALU_DEP_1)
	v_add_nc_u32_e32 v5, v4, v5
	v_add_nc_u32_e32 v6, v5, v6
	s_delay_alu instid0(VALU_DEP_1) | instskip(NEXT) | instid1(VALU_DEP_1)
	v_add_nc_u32_e32 v38, v6, v7
	;; [unrolled: 3-line block ×3, first 2 shown]
	v_add_nc_u32_e32 v1, v0, v2
	ds_store_2addr_b64 v19, v[3:4], v[5:6] offset0:8 offset1:9
	ds_store_2addr_b64 v22, v[38:39], v[0:1] offset0:2 offset1:3
	s_waitcnt lgkmcnt(0)
	s_barrier
	buffer_gl0_inv
	ds_load_b32 v0, v31
	ds_load_b32 v1, v34
	;; [unrolled: 1-line block ×3, first 2 shown]
	s_waitcnt lgkmcnt(2)
	v_add_nc_u32_e32 v30, v0, v30
	s_waitcnt lgkmcnt(1)
	v_add3_u32 v7, v33, v32, v1
	s_waitcnt lgkmcnt(0)
	v_add3_u32 v6, v36, v35, v2
	s_cbranch_scc0 .LBB138_3
; %bb.17:                               ;   in Loop: Header=BB138_2 Depth=1
                                        ; implicit-def: $vgpr4_vgpr5
                                        ; implicit-def: $vgpr2_vgpr3
                                        ; implicit-def: $sgpr14_sgpr15
	s_branch .LBB138_1
.LBB138_18:
	v_lshlrev_b32_e32 v0, 3, v8
	s_add_u32 s0, s18, s12
	s_addc_u32 s1, s19, s13
	s_delay_alu instid0(VALU_DEP_1) | instskip(NEXT) | instid1(VALU_DEP_1)
	v_add_co_u32 v7, s2, s0, v0
	v_add_co_ci_u32_e64 v8, null, s1, 0, s2
	s_delay_alu instid0(VALU_DEP_2) | instskip(NEXT) | instid1(VALU_DEP_2)
	v_add_co_u32 v7, vcc_lo, v7, 0x2000
	v_add_co_ci_u32_e32 v8, vcc_lo, 0, v8, vcc_lo
	s_clause 0x2
	global_store_b64 v0, v[1:2], s[0:1]
	global_store_b64 v[7:8], v[3:4], off offset:-4096
	global_store_b64 v[7:8], v[5:6], off
	s_nop 0
	s_sendmsg sendmsg(MSG_DEALLOC_VGPRS)
	s_endpgm
	.section	.rodata,"a",@progbits
	.p2align	6, 0x0
	.amdhsa_kernel _Z16sort_keys_kernelI22helper_blocked_blockedxLj512ELj3ELj10EEvPKT0_PS1_
		.amdhsa_group_segment_fixed_size 16448
		.amdhsa_private_segment_fixed_size 0
		.amdhsa_kernarg_size 272
		.amdhsa_user_sgpr_count 15
		.amdhsa_user_sgpr_dispatch_ptr 0
		.amdhsa_user_sgpr_queue_ptr 0
		.amdhsa_user_sgpr_kernarg_segment_ptr 1
		.amdhsa_user_sgpr_dispatch_id 0
		.amdhsa_user_sgpr_private_segment_size 0
		.amdhsa_wavefront_size32 1
		.amdhsa_uses_dynamic_stack 0
		.amdhsa_enable_private_segment 0
		.amdhsa_system_sgpr_workgroup_id_x 1
		.amdhsa_system_sgpr_workgroup_id_y 0
		.amdhsa_system_sgpr_workgroup_id_z 0
		.amdhsa_system_sgpr_workgroup_info 0
		.amdhsa_system_vgpr_workitem_id 2
		.amdhsa_next_free_vgpr 40
		.amdhsa_next_free_sgpr 20
		.amdhsa_reserve_vcc 1
		.amdhsa_float_round_mode_32 0
		.amdhsa_float_round_mode_16_64 0
		.amdhsa_float_denorm_mode_32 3
		.amdhsa_float_denorm_mode_16_64 3
		.amdhsa_dx10_clamp 1
		.amdhsa_ieee_mode 1
		.amdhsa_fp16_overflow 0
		.amdhsa_workgroup_processor_mode 1
		.amdhsa_memory_ordered 1
		.amdhsa_forward_progress 0
		.amdhsa_shared_vgpr_count 0
		.amdhsa_exception_fp_ieee_invalid_op 0
		.amdhsa_exception_fp_denorm_src 0
		.amdhsa_exception_fp_ieee_div_zero 0
		.amdhsa_exception_fp_ieee_overflow 0
		.amdhsa_exception_fp_ieee_underflow 0
		.amdhsa_exception_fp_ieee_inexact 0
		.amdhsa_exception_int_div_zero 0
	.end_amdhsa_kernel
	.section	.text._Z16sort_keys_kernelI22helper_blocked_blockedxLj512ELj3ELj10EEvPKT0_PS1_,"axG",@progbits,_Z16sort_keys_kernelI22helper_blocked_blockedxLj512ELj3ELj10EEvPKT0_PS1_,comdat
.Lfunc_end138:
	.size	_Z16sort_keys_kernelI22helper_blocked_blockedxLj512ELj3ELj10EEvPKT0_PS1_, .Lfunc_end138-_Z16sort_keys_kernelI22helper_blocked_blockedxLj512ELj3ELj10EEvPKT0_PS1_
                                        ; -- End function
	.section	.AMDGPU.csdata,"",@progbits
; Kernel info:
; codeLenInByte = 2504
; NumSgprs: 22
; NumVgprs: 40
; ScratchSize: 0
; MemoryBound: 0
; FloatMode: 240
; IeeeMode: 1
; LDSByteSize: 16448 bytes/workgroup (compile time only)
; SGPRBlocks: 2
; VGPRBlocks: 4
; NumSGPRsForWavesPerEU: 22
; NumVGPRsForWavesPerEU: 40
; Occupancy: 16
; WaveLimiterHint : 1
; COMPUTE_PGM_RSRC2:SCRATCH_EN: 0
; COMPUTE_PGM_RSRC2:USER_SGPR: 15
; COMPUTE_PGM_RSRC2:TRAP_HANDLER: 0
; COMPUTE_PGM_RSRC2:TGID_X_EN: 1
; COMPUTE_PGM_RSRC2:TGID_Y_EN: 0
; COMPUTE_PGM_RSRC2:TGID_Z_EN: 0
; COMPUTE_PGM_RSRC2:TIDIG_COMP_CNT: 2
	.section	.text._Z17sort_pairs_kernelI22helper_blocked_blockedxLj512ELj3ELj10EEvPKT0_PS1_,"axG",@progbits,_Z17sort_pairs_kernelI22helper_blocked_blockedxLj512ELj3ELj10EEvPKT0_PS1_,comdat
	.protected	_Z17sort_pairs_kernelI22helper_blocked_blockedxLj512ELj3ELj10EEvPKT0_PS1_ ; -- Begin function _Z17sort_pairs_kernelI22helper_blocked_blockedxLj512ELj3ELj10EEvPKT0_PS1_
	.globl	_Z17sort_pairs_kernelI22helper_blocked_blockedxLj512ELj3ELj10EEvPKT0_PS1_
	.p2align	8
	.type	_Z17sort_pairs_kernelI22helper_blocked_blockedxLj512ELj3ELj10EEvPKT0_PS1_,@function
_Z17sort_pairs_kernelI22helper_blocked_blockedxLj512ELj3ELj10EEvPKT0_PS1_: ; @_Z17sort_pairs_kernelI22helper_blocked_blockedxLj512ELj3ELj10EEvPKT0_PS1_
; %bb.0:
	s_clause 0x1
	s_load_b128 s[16:19], s[0:1], 0x0
	s_load_b32 s9, s[0:1], 0x1c
	v_and_b32_e32 v9, 0x3ff, v0
	s_mov_b32 s11, 0
	s_mul_i32 s10, s15, 0x600
	v_mbcnt_lo_u32_b32 v7, -1, 0
	s_lshl_b64 s[12:13], s[10:11], 3
	s_mov_b32 s10, s11
	v_lshlrev_b32_e32 v1, 3, v9
	v_dual_mov_b32 v13, s11 :: v_dual_mov_b32 v12, s10
	v_and_b32_e32 v8, 16, v7
	v_add_nc_u32_e32 v16, -1, v7
	s_delay_alu instid0(VALU_DEP_2) | instskip(SKIP_4) | instid1(VALU_DEP_1)
	v_cmp_eq_u32_e64 s5, 0, v8
	s_waitcnt lgkmcnt(0)
	s_add_u32 s0, s16, s12
	s_addc_u32 s1, s17, s13
	v_add_co_u32 v2, s2, s0, v1
	v_add_co_ci_u32_e64 v3, null, s1, 0, s2
	s_lshr_b32 s10, s9, 16
	s_delay_alu instid0(VALU_DEP_2) | instskip(NEXT) | instid1(VALU_DEP_2)
	v_add_co_u32 v5, vcc_lo, v2, 0x2000
	v_add_co_ci_u32_e32 v6, vcc_lo, 0, v3, vcc_lo
	v_cmp_gt_i32_e32 vcc_lo, 0, v16
	s_and_b32 s9, s9, 0xffff
	s_clause 0x2
	global_load_b64 v[1:2], v1, s[0:1]
	global_load_b64 v[3:4], v[5:6], off offset:-4096
	global_load_b64 v[14:15], v[5:6], off
	s_mov_b32 s1, s11
	s_mov_b32 s0, s11
	v_dual_mov_b32 v11, s1 :: v_dual_and_b32 v6, 15, v7
	v_bfe_u32 v5, v0, 10, 10
	v_bfe_u32 v0, v0, 20, 10
	v_mov_b32_e32 v10, s0
	v_lshlrev_b32_e32 v30, 5, v9
	v_cmp_eq_u32_e64 s1, 0, v6
	v_cmp_lt_u32_e64 s2, 1, v6
	v_cmp_lt_u32_e64 s3, 3, v6
	;; [unrolled: 1-line block ×3, first 2 shown]
	v_and_b32_e32 v6, 0x1e0, v9
	v_dual_cndmask_b32 v8, v16, v7 :: v_dual_add_nc_u32 v31, 64, v30
	v_mad_u32_u24 v0, v0, s10, v5
	v_lshrrev_b32_e32 v17, 5, v9
	s_delay_alu instid0(VALU_DEP_4) | instskip(NEXT) | instid1(VALU_DEP_4)
	v_or_b32_e32 v19, 31, v6
	v_lshlrev_b32_e32 v32, 2, v8
	v_mul_u32_u24_e32 v8, 3, v6
	v_mad_u64_u32 v[5:6], null, v0, s9, v[9:10]
	v_mul_u32_u24_e32 v16, 0x60, v17
	v_lshlrev_b32_e32 v33, 2, v17
	s_delay_alu instid0(VALU_DEP_4)
	v_or_b32_e32 v6, v7, v8
	v_cmp_eq_u32_e64 s0, 0, v7
	v_mul_u32_u24_e32 v18, 20, v9
	v_lshlrev_b32_e32 v17, 3, v16
	v_lshrrev_b32_e32 v39, 5, v5
	v_lshlrev_b32_e32 v38, 3, v6
	v_mad_i32_i24 v34, 0xffffffe4, v9, v30
	v_or_b32_e32 v0, v7, v16
	v_mad_u32_u24 v36, v7, 24, v17
	v_cmp_gt_u32_e64 s6, 16, v9
	v_cmp_lt_u32_e64 s7, 31, v9
	v_cmp_eq_u32_e64 s8, 0, v9
	v_cmp_eq_u32_e64 s9, v19, v9
	v_add_nc_u32_e32 v35, -4, v33
	v_lshlrev_b32_e32 v37, 3, v0
	v_add_nc_u32_e32 v40, v34, v18
	s_waitcnt vmcnt(2)
	v_add_co_u32 v5, vcc_lo, v1, 1
	v_add_co_ci_u32_e32 v6, vcc_lo, 0, v2, vcc_lo
	s_waitcnt vmcnt(1)
	v_add_co_u32 v7, vcc_lo, v3, 1
	v_add_co_ci_u32_e32 v8, vcc_lo, 0, v4, vcc_lo
	;; [unrolled: 3-line block ×3, first 2 shown]
	s_branch .LBB139_2
.LBB139_1:                              ;   in Loop: Header=BB139_2 Depth=1
	v_lshlrev_b32_e32 v0, 3, v44
	v_lshlrev_b32_e32 v5, 3, v43
	;; [unrolled: 1-line block ×3, first 2 shown]
	s_barrier
	buffer_gl0_inv
	ds_store_b64 v0, v[14:15]
	ds_store_b64 v5, v[24:25]
	;; [unrolled: 1-line block ×3, first 2 shown]
	s_waitcnt lgkmcnt(0)
	s_barrier
	buffer_gl0_inv
	ds_load_2addr_b64 v[1:4], v40 offset1:1
	ds_load_b64 v[14:15], v40 offset:16
	s_waitcnt lgkmcnt(0)
	s_barrier
	buffer_gl0_inv
	ds_store_b64 v0, v[20:21]
	ds_store_b64 v5, v[18:19]
	;; [unrolled: 1-line block ×3, first 2 shown]
	s_waitcnt lgkmcnt(0)
	s_barrier
	buffer_gl0_inv
	ds_load_2addr_b64 v[5:8], v40 offset1:1
	ds_load_b64 v[16:17], v40 offset:16
	s_add_i32 s11, s11, 1
	s_delay_alu instid0(SALU_CYCLE_1)
	s_cmp_eq_u32 s11, 10
	v_xor_b32_e32 v2, 0x80000000, v2
	v_xor_b32_e32 v4, 0x80000000, v4
	v_xor_b32_e32 v15, 0x80000000, v15
	s_cbranch_scc1 .LBB139_18
.LBB139_2:                              ; =>This Loop Header: Depth=1
                                        ;     Child Loop BB139_4 Depth 2
	s_delay_alu instid0(VALU_DEP_3) | instskip(NEXT) | instid1(VALU_DEP_3)
	v_xor_b32_e32 v2, 0x80000000, v2
	v_xor_b32_e32 v4, 0x80000000, v4
	s_delay_alu instid0(VALU_DEP_3)
	v_xor_b32_e32 v15, 0x80000000, v15
	s_mov_b64 s[14:15], 0
	ds_store_2addr_b64 v36, v[1:2], v[3:4] offset1:1
	ds_store_b64 v36, v[14:15] offset:16
	; wave barrier
	ds_load_2addr_b64 v[0:3], v37 offset1:32
	ds_load_b64 v[26:27], v37 offset:512
	; wave barrier
	s_waitcnt lgkmcnt(5)
	ds_store_2addr_b64 v36, v[5:6], v[7:8] offset1:1
	s_waitcnt lgkmcnt(5)
	ds_store_b64 v36, v[16:17] offset:16
	; wave barrier
	ds_load_2addr_b64 v[4:7], v37 offset1:32
	ds_load_b64 v[28:29], v37 offset:512
	s_waitcnt lgkmcnt(0)
	s_barrier
	s_branch .LBB139_4
.LBB139_3:                              ;   in Loop: Header=BB139_4 Depth=2
	v_lshlrev_b32_e32 v4, 3, v44
	v_lshlrev_b32_e32 v5, 3, v43
	s_delay_alu instid0(VALU_DEP_3)
	v_lshlrev_b32_e32 v6, 3, v8
	s_barrier
	buffer_gl0_inv
	ds_store_b64 v4, v[14:15]
	ds_store_b64 v5, v[24:25]
	;; [unrolled: 1-line block ×3, first 2 shown]
	s_waitcnt lgkmcnt(0)
	s_barrier
	buffer_gl0_inv
	ds_load_2addr_b64 v[0:3], v38 offset1:32
	ds_load_b64 v[26:27], v38 offset:512
	s_waitcnt lgkmcnt(0)
	s_barrier
	buffer_gl0_inv
	ds_store_b64 v4, v[20:21]
	ds_store_b64 v5, v[18:19]
	;; [unrolled: 1-line block ×3, first 2 shown]
	s_waitcnt lgkmcnt(0)
	s_barrier
	buffer_gl0_inv
	ds_load_2addr_b64 v[4:7], v38 offset1:32
	ds_load_b64 v[28:29], v38 offset:512
	s_add_u32 s14, s14, 8
	s_addc_u32 s15, s15, 0
	s_waitcnt lgkmcnt(0)
	s_barrier
	s_cbranch_execz .LBB139_1
.LBB139_4:                              ;   Parent Loop BB139_2 Depth=1
                                        ; =>  This Inner Loop Header: Depth=2
	v_dual_mov_b32 v15, v1 :: v_dual_mov_b32 v14, v0
	buffer_gl0_inv
	ds_store_2addr_b64 v30, v[12:13], v[10:11] offset0:8 offset1:9
	ds_store_2addr_b64 v31, v[12:13], v[10:11] offset0:2 offset1:3
	s_waitcnt lgkmcnt(0)
	s_barrier
	v_lshrrev_b64 v[41:42], s14, v[14:15]
	buffer_gl0_inv
	; wave barrier
	v_dual_mov_b32 v22, v26 :: v_dual_mov_b32 v25, v3
	v_dual_mov_b32 v23, v27 :: v_dual_and_b32 v0, 1, v41
	v_lshlrev_b32_e32 v1, 30, v41
	v_lshlrev_b32_e32 v8, 29, v41
	;; [unrolled: 1-line block ×3, first 2 shown]
	s_delay_alu instid0(VALU_DEP_4) | instskip(NEXT) | instid1(VALU_DEP_1)
	v_add_co_u32 v0, s10, v0, -1
	v_cndmask_b32_e64 v17, 0, 1, s10
	v_not_b32_e32 v21, v1
	v_cmp_gt_i32_e64 s10, 0, v1
	v_not_b32_e32 v1, v8
	v_lshlrev_b32_e32 v18, 27, v41
	v_cmp_ne_u32_e32 vcc_lo, 0, v17
	v_ashrrev_i32_e32 v21, 31, v21
	v_dual_mov_b32 v24, v2 :: v_dual_lshlrev_b32 v19, 26, v41
	v_ashrrev_i32_e32 v1, 31, v1
	v_xor_b32_e32 v0, vcc_lo, v0
	v_cmp_gt_i32_e32 vcc_lo, 0, v8
	v_not_b32_e32 v8, v16
	v_xor_b32_e32 v21, s10, v21
	v_cmp_gt_i32_e64 s10, 0, v16
	v_and_b32_e32 v0, exec_lo, v0
	v_not_b32_e32 v16, v18
	v_ashrrev_i32_e32 v8, 31, v8
	v_xor_b32_e32 v1, vcc_lo, v1
	v_cmp_gt_i32_e32 vcc_lo, 0, v18
	v_and_b32_e32 v0, v0, v21
	v_not_b32_e32 v18, v19
	v_ashrrev_i32_e32 v16, 31, v16
	v_xor_b32_e32 v8, s10, v8
	v_cmp_gt_i32_e64 s10, 0, v19
	v_and_b32_e32 v0, v0, v1
	v_ashrrev_i32_e32 v18, 31, v18
	v_xor_b32_e32 v16, vcc_lo, v16
	v_lshlrev_b32_e32 v20, 25, v41
	v_lshlrev_b32_e32 v17, 24, v41
	v_and_b32_e32 v0, v0, v8
	v_xor_b32_e32 v18, s10, v18
	s_delay_alu instid0(VALU_DEP_2) | instskip(NEXT) | instid1(VALU_DEP_1)
	v_and_b32_e32 v0, v0, v16
	v_dual_mov_b32 v19, v7 :: v_dual_and_b32 v0, v0, v18
	v_mov_b32_e32 v18, v6
	v_not_b32_e32 v1, v20
	v_cmp_gt_i32_e32 vcc_lo, 0, v20
	v_not_b32_e32 v8, v17
	v_cmp_gt_i32_e64 s10, 0, v17
	v_mov_b32_e32 v16, v28
	v_ashrrev_i32_e32 v1, 31, v1
	v_mov_b32_e32 v21, v5
	v_ashrrev_i32_e32 v8, 31, v8
	v_dual_mov_b32 v17, v29 :: v_dual_mov_b32 v20, v4
	s_delay_alu instid0(VALU_DEP_4) | instskip(NEXT) | instid1(VALU_DEP_3)
	v_xor_b32_e32 v1, vcc_lo, v1
	v_xor_b32_e32 v8, s10, v8
	s_delay_alu instid0(VALU_DEP_2) | instskip(SKIP_1) | instid1(VALU_DEP_2)
	v_and_b32_e32 v0, v0, v1
	v_and_b32_e32 v1, 0xff, v41
	;; [unrolled: 1-line block ×3, first 2 shown]
	s_delay_alu instid0(VALU_DEP_2) | instskip(NEXT) | instid1(VALU_DEP_2)
	v_lshl_add_u32 v1, v1, 4, v39
	v_mbcnt_lo_u32_b32 v8, v0, 0
	v_cmp_ne_u32_e64 s10, 0, v0
	s_delay_alu instid0(VALU_DEP_3) | instskip(NEXT) | instid1(VALU_DEP_3)
	v_lshl_add_u32 v26, v1, 2, 64
	v_cmp_eq_u32_e32 vcc_lo, 0, v8
	s_delay_alu instid0(VALU_DEP_3) | instskip(NEXT) | instid1(SALU_CYCLE_1)
	s_and_b32 s16, s10, vcc_lo
	s_and_saveexec_b32 s10, s16
	s_cbranch_execz .LBB139_6
; %bb.5:                                ;   in Loop: Header=BB139_4 Depth=2
	v_bcnt_u32_b32 v0, v0, 0
	ds_store_b32 v26, v0
.LBB139_6:                              ;   in Loop: Header=BB139_4 Depth=2
	s_or_b32 exec_lo, exec_lo, s10
	v_lshrrev_b64 v[0:1], s14, v[24:25]
	; wave barrier
	s_delay_alu instid0(VALU_DEP_1)
	v_and_b32_e32 v2, 1, v0
	v_lshlrev_b32_e32 v3, 30, v0
	v_lshlrev_b32_e32 v4, 29, v0
	;; [unrolled: 1-line block ×4, first 2 shown]
	v_add_co_u32 v2, s10, v2, -1
	s_delay_alu instid0(VALU_DEP_1)
	v_cndmask_b32_e64 v6, 0, 1, s10
	v_not_b32_e32 v29, v3
	v_cmp_gt_i32_e64 s10, 0, v3
	v_not_b32_e32 v3, v4
	v_lshlrev_b32_e32 v27, 26, v0
	v_cmp_ne_u32_e32 vcc_lo, 0, v6
	v_ashrrev_i32_e32 v6, 31, v29
	v_lshlrev_b32_e32 v28, 25, v0
	v_ashrrev_i32_e32 v3, 31, v3
	v_and_b32_e32 v1, 0xff, v0
	v_xor_b32_e32 v2, vcc_lo, v2
	v_cmp_gt_i32_e32 vcc_lo, 0, v4
	v_not_b32_e32 v4, v5
	v_xor_b32_e32 v6, s10, v6
	v_cmp_gt_i32_e64 s10, 0, v5
	v_and_b32_e32 v2, exec_lo, v2
	v_not_b32_e32 v5, v7
	v_ashrrev_i32_e32 v4, 31, v4
	v_xor_b32_e32 v3, vcc_lo, v3
	v_cmp_gt_i32_e32 vcc_lo, 0, v7
	v_and_b32_e32 v2, v2, v6
	v_not_b32_e32 v6, v27
	v_ashrrev_i32_e32 v5, 31, v5
	v_xor_b32_e32 v4, s10, v4
	v_lshlrev_b32_e32 v0, 24, v0
	v_and_b32_e32 v2, v2, v3
	v_cmp_gt_i32_e64 s10, 0, v27
	v_not_b32_e32 v3, v28
	v_ashrrev_i32_e32 v6, 31, v6
	v_xor_b32_e32 v5, vcc_lo, v5
	v_and_b32_e32 v2, v2, v4
	v_cmp_gt_i32_e32 vcc_lo, 0, v28
	v_not_b32_e32 v4, v0
	v_ashrrev_i32_e32 v3, 31, v3
	v_xor_b32_e32 v6, s10, v6
	v_and_b32_e32 v2, v2, v5
	v_lshlrev_b32_e32 v1, 4, v1
	v_cmp_gt_i32_e64 s10, 0, v0
	v_ashrrev_i32_e32 v0, 31, v4
	v_xor_b32_e32 v3, vcc_lo, v3
	v_and_b32_e32 v2, v2, v6
	v_add_lshl_u32 v1, v1, v39, 2
	s_delay_alu instid0(VALU_DEP_4) | instskip(NEXT) | instid1(VALU_DEP_3)
	v_xor_b32_e32 v0, s10, v0
	v_and_b32_e32 v2, v2, v3
	ds_load_b32 v27, v1 offset:64
	v_add_nc_u32_e32 v29, 64, v1
	; wave barrier
	v_and_b32_e32 v0, v2, v0
	s_delay_alu instid0(VALU_DEP_1) | instskip(SKIP_1) | instid1(VALU_DEP_2)
	v_mbcnt_lo_u32_b32 v28, v0, 0
	v_cmp_ne_u32_e64 s10, 0, v0
	v_cmp_eq_u32_e32 vcc_lo, 0, v28
	s_delay_alu instid0(VALU_DEP_2) | instskip(NEXT) | instid1(SALU_CYCLE_1)
	s_and_b32 s16, s10, vcc_lo
	s_and_saveexec_b32 s10, s16
	s_cbranch_execz .LBB139_8
; %bb.7:                                ;   in Loop: Header=BB139_4 Depth=2
	s_waitcnt lgkmcnt(0)
	v_bcnt_u32_b32 v0, v0, v27
	ds_store_b32 v29, v0
.LBB139_8:                              ;   in Loop: Header=BB139_4 Depth=2
	s_or_b32 exec_lo, exec_lo, s10
	v_lshrrev_b64 v[0:1], s14, v[22:23]
	; wave barrier
	s_delay_alu instid0(VALU_DEP_1)
	v_and_b32_e32 v2, 1, v0
	v_lshlrev_b32_e32 v3, 30, v0
	v_lshlrev_b32_e32 v4, 29, v0
	;; [unrolled: 1-line block ×4, first 2 shown]
	v_add_co_u32 v2, s10, v2, -1
	s_delay_alu instid0(VALU_DEP_1)
	v_cndmask_b32_e64 v6, 0, 1, s10
	v_not_b32_e32 v43, v3
	v_cmp_gt_i32_e64 s10, 0, v3
	v_not_b32_e32 v3, v4
	v_lshlrev_b32_e32 v41, 26, v0
	v_cmp_ne_u32_e32 vcc_lo, 0, v6
	v_ashrrev_i32_e32 v6, 31, v43
	v_lshlrev_b32_e32 v42, 25, v0
	v_ashrrev_i32_e32 v3, 31, v3
	v_and_b32_e32 v1, 0xff, v0
	v_xor_b32_e32 v2, vcc_lo, v2
	v_cmp_gt_i32_e32 vcc_lo, 0, v4
	v_not_b32_e32 v4, v5
	v_xor_b32_e32 v6, s10, v6
	v_cmp_gt_i32_e64 s10, 0, v5
	v_and_b32_e32 v2, exec_lo, v2
	v_not_b32_e32 v5, v7
	v_ashrrev_i32_e32 v4, 31, v4
	v_xor_b32_e32 v3, vcc_lo, v3
	v_cmp_gt_i32_e32 vcc_lo, 0, v7
	v_and_b32_e32 v2, v2, v6
	v_not_b32_e32 v6, v41
	v_ashrrev_i32_e32 v5, 31, v5
	v_xor_b32_e32 v4, s10, v4
	v_lshlrev_b32_e32 v0, 24, v0
	v_and_b32_e32 v2, v2, v3
	v_cmp_gt_i32_e64 s10, 0, v41
	v_not_b32_e32 v3, v42
	v_ashrrev_i32_e32 v6, 31, v6
	v_xor_b32_e32 v5, vcc_lo, v5
	v_and_b32_e32 v2, v2, v4
	v_cmp_gt_i32_e32 vcc_lo, 0, v42
	v_not_b32_e32 v4, v0
	v_ashrrev_i32_e32 v3, 31, v3
	v_xor_b32_e32 v6, s10, v6
	v_and_b32_e32 v2, v2, v5
	v_lshlrev_b32_e32 v1, 4, v1
	v_cmp_gt_i32_e64 s10, 0, v0
	v_ashrrev_i32_e32 v0, 31, v4
	v_xor_b32_e32 v3, vcc_lo, v3
	v_and_b32_e32 v2, v2, v6
	v_add_lshl_u32 v1, v1, v39, 2
	s_delay_alu instid0(VALU_DEP_4) | instskip(NEXT) | instid1(VALU_DEP_3)
	v_xor_b32_e32 v0, s10, v0
	v_and_b32_e32 v2, v2, v3
	ds_load_b32 v41, v1 offset:64
	v_add_nc_u32_e32 v43, 64, v1
	; wave barrier
	v_and_b32_e32 v0, v2, v0
	s_delay_alu instid0(VALU_DEP_1) | instskip(SKIP_1) | instid1(VALU_DEP_2)
	v_mbcnt_lo_u32_b32 v42, v0, 0
	v_cmp_ne_u32_e64 s10, 0, v0
	v_cmp_eq_u32_e32 vcc_lo, 0, v42
	s_delay_alu instid0(VALU_DEP_2) | instskip(NEXT) | instid1(SALU_CYCLE_1)
	s_and_b32 s16, s10, vcc_lo
	s_and_saveexec_b32 s10, s16
	s_cbranch_execz .LBB139_10
; %bb.9:                                ;   in Loop: Header=BB139_4 Depth=2
	s_waitcnt lgkmcnt(0)
	v_bcnt_u32_b32 v0, v0, v41
	ds_store_b32 v43, v0
.LBB139_10:                             ;   in Loop: Header=BB139_4 Depth=2
	s_or_b32 exec_lo, exec_lo, s10
	; wave barrier
	s_waitcnt lgkmcnt(0)
	s_barrier
	buffer_gl0_inv
	ds_load_2addr_b64 v[4:7], v30 offset0:8 offset1:9
	ds_load_2addr_b64 v[0:3], v31 offset0:2 offset1:3
	s_waitcnt lgkmcnt(1)
	v_add_nc_u32_e32 v44, v5, v4
	s_delay_alu instid0(VALU_DEP_1) | instskip(SKIP_1) | instid1(VALU_DEP_1)
	v_add3_u32 v44, v44, v6, v7
	s_waitcnt lgkmcnt(0)
	v_add3_u32 v44, v44, v0, v1
	s_delay_alu instid0(VALU_DEP_1) | instskip(NEXT) | instid1(VALU_DEP_1)
	v_add3_u32 v3, v44, v2, v3
	v_mov_b32_dpp v44, v3 row_shr:1 row_mask:0xf bank_mask:0xf
	s_delay_alu instid0(VALU_DEP_1) | instskip(NEXT) | instid1(VALU_DEP_1)
	v_cndmask_b32_e64 v44, v44, 0, s1
	v_add_nc_u32_e32 v3, v44, v3
	s_delay_alu instid0(VALU_DEP_1) | instskip(NEXT) | instid1(VALU_DEP_1)
	v_mov_b32_dpp v44, v3 row_shr:2 row_mask:0xf bank_mask:0xf
	v_cndmask_b32_e64 v44, 0, v44, s2
	s_delay_alu instid0(VALU_DEP_1) | instskip(NEXT) | instid1(VALU_DEP_1)
	v_add_nc_u32_e32 v3, v3, v44
	v_mov_b32_dpp v44, v3 row_shr:4 row_mask:0xf bank_mask:0xf
	s_delay_alu instid0(VALU_DEP_1) | instskip(NEXT) | instid1(VALU_DEP_1)
	v_cndmask_b32_e64 v44, 0, v44, s3
	v_add_nc_u32_e32 v3, v3, v44
	s_delay_alu instid0(VALU_DEP_1) | instskip(NEXT) | instid1(VALU_DEP_1)
	v_mov_b32_dpp v44, v3 row_shr:8 row_mask:0xf bank_mask:0xf
	v_cndmask_b32_e64 v44, 0, v44, s4
	s_delay_alu instid0(VALU_DEP_1) | instskip(SKIP_3) | instid1(VALU_DEP_1)
	v_add_nc_u32_e32 v3, v3, v44
	ds_swizzle_b32 v44, v3 offset:swizzle(BROADCAST,32,15)
	s_waitcnt lgkmcnt(0)
	v_cndmask_b32_e64 v44, v44, 0, s5
	v_add_nc_u32_e32 v3, v3, v44
	s_and_saveexec_b32 s10, s9
	s_cbranch_execz .LBB139_12
; %bb.11:                               ;   in Loop: Header=BB139_4 Depth=2
	ds_store_b32 v33, v3
.LBB139_12:                             ;   in Loop: Header=BB139_4 Depth=2
	s_or_b32 exec_lo, exec_lo, s10
	s_waitcnt lgkmcnt(0)
	s_barrier
	buffer_gl0_inv
	s_and_saveexec_b32 s10, s6
	s_cbranch_execz .LBB139_14
; %bb.13:                               ;   in Loop: Header=BB139_4 Depth=2
	ds_load_b32 v44, v34
	s_waitcnt lgkmcnt(0)
	v_mov_b32_dpp v45, v44 row_shr:1 row_mask:0xf bank_mask:0xf
	s_delay_alu instid0(VALU_DEP_1) | instskip(NEXT) | instid1(VALU_DEP_1)
	v_cndmask_b32_e64 v45, v45, 0, s1
	v_add_nc_u32_e32 v44, v45, v44
	s_delay_alu instid0(VALU_DEP_1) | instskip(NEXT) | instid1(VALU_DEP_1)
	v_mov_b32_dpp v45, v44 row_shr:2 row_mask:0xf bank_mask:0xf
	v_cndmask_b32_e64 v45, 0, v45, s2
	s_delay_alu instid0(VALU_DEP_1) | instskip(NEXT) | instid1(VALU_DEP_1)
	v_add_nc_u32_e32 v44, v44, v45
	v_mov_b32_dpp v45, v44 row_shr:4 row_mask:0xf bank_mask:0xf
	s_delay_alu instid0(VALU_DEP_1) | instskip(NEXT) | instid1(VALU_DEP_1)
	v_cndmask_b32_e64 v45, 0, v45, s3
	v_add_nc_u32_e32 v44, v44, v45
	s_delay_alu instid0(VALU_DEP_1) | instskip(NEXT) | instid1(VALU_DEP_1)
	v_mov_b32_dpp v45, v44 row_shr:8 row_mask:0xf bank_mask:0xf
	v_cndmask_b32_e64 v45, 0, v45, s4
	s_delay_alu instid0(VALU_DEP_1)
	v_add_nc_u32_e32 v44, v44, v45
	ds_store_b32 v34, v44
.LBB139_14:                             ;   in Loop: Header=BB139_4 Depth=2
	s_or_b32 exec_lo, exec_lo, s10
	v_mov_b32_e32 v44, 0
	s_waitcnt lgkmcnt(0)
	s_barrier
	buffer_gl0_inv
	s_and_saveexec_b32 s10, s7
	s_cbranch_execz .LBB139_16
; %bb.15:                               ;   in Loop: Header=BB139_4 Depth=2
	ds_load_b32 v44, v35
.LBB139_16:                             ;   in Loop: Header=BB139_4 Depth=2
	s_or_b32 exec_lo, exec_lo, s10
	s_waitcnt lgkmcnt(0)
	v_add_nc_u32_e32 v3, v44, v3
	s_cmp_gt_u32 s14, 55
	ds_bpermute_b32 v3, v32, v3
	s_waitcnt lgkmcnt(0)
	v_cndmask_b32_e64 v3, v3, v44, s0
	s_delay_alu instid0(VALU_DEP_1) | instskip(NEXT) | instid1(VALU_DEP_1)
	v_cndmask_b32_e64 v3, v3, 0, s8
	v_add_nc_u32_e32 v4, v3, v4
	s_delay_alu instid0(VALU_DEP_1) | instskip(NEXT) | instid1(VALU_DEP_1)
	v_add_nc_u32_e32 v5, v4, v5
	v_add_nc_u32_e32 v6, v5, v6
	s_delay_alu instid0(VALU_DEP_1) | instskip(NEXT) | instid1(VALU_DEP_1)
	v_add_nc_u32_e32 v44, v6, v7
	;; [unrolled: 3-line block ×3, first 2 shown]
	v_add_nc_u32_e32 v1, v0, v2
	ds_store_2addr_b64 v30, v[3:4], v[5:6] offset0:8 offset1:9
	ds_store_2addr_b64 v31, v[44:45], v[0:1] offset0:2 offset1:3
	s_waitcnt lgkmcnt(0)
	s_barrier
	buffer_gl0_inv
	ds_load_b32 v0, v26
	ds_load_b32 v1, v29
	;; [unrolled: 1-line block ×3, first 2 shown]
	s_waitcnt lgkmcnt(2)
	v_add_nc_u32_e32 v44, v0, v8
	s_waitcnt lgkmcnt(1)
	v_add3_u32 v43, v28, v27, v1
	s_waitcnt lgkmcnt(0)
	v_add3_u32 v8, v42, v41, v2
	s_cbranch_scc0 .LBB139_3
; %bb.17:                               ;   in Loop: Header=BB139_2 Depth=1
                                        ; implicit-def: $vgpr26_vgpr27
                                        ; implicit-def: $vgpr2_vgpr3
                                        ; implicit-def: $vgpr28_vgpr29
                                        ; implicit-def: $vgpr6_vgpr7
                                        ; implicit-def: $sgpr14_sgpr15
	s_branch .LBB139_1
.LBB139_18:
	v_lshlrev_b32_e32 v9, 3, v9
	s_add_u32 s0, s18, s12
	s_waitcnt lgkmcnt(1)
	v_add_co_u32 v0, vcc_lo, v1, v5
	s_addc_u32 s1, s19, s13
	v_add_co_u32 v5, s2, s0, v9
	v_add_co_ci_u32_e32 v1, vcc_lo, v2, v6, vcc_lo
	v_add_co_ci_u32_e64 v6, null, s1, 0, s2
	v_add_co_u32 v2, vcc_lo, v3, v7
	v_add_co_ci_u32_e32 v3, vcc_lo, v4, v8, vcc_lo
	v_add_co_u32 v4, vcc_lo, v5, 0x2000
	s_delay_alu instid0(VALU_DEP_4)
	v_add_co_ci_u32_e32 v5, vcc_lo, 0, v6, vcc_lo
	s_waitcnt lgkmcnt(0)
	v_add_co_u32 v6, vcc_lo, v14, v16
	v_add_co_ci_u32_e32 v7, vcc_lo, v15, v17, vcc_lo
	s_clause 0x2
	global_store_b64 v9, v[0:1], s[0:1]
	global_store_b64 v[4:5], v[2:3], off offset:-4096
	global_store_b64 v[4:5], v[6:7], off
	s_nop 0
	s_sendmsg sendmsg(MSG_DEALLOC_VGPRS)
	s_endpgm
	.section	.rodata,"a",@progbits
	.p2align	6, 0x0
	.amdhsa_kernel _Z17sort_pairs_kernelI22helper_blocked_blockedxLj512ELj3ELj10EEvPKT0_PS1_
		.amdhsa_group_segment_fixed_size 16448
		.amdhsa_private_segment_fixed_size 0
		.amdhsa_kernarg_size 272
		.amdhsa_user_sgpr_count 15
		.amdhsa_user_sgpr_dispatch_ptr 0
		.amdhsa_user_sgpr_queue_ptr 0
		.amdhsa_user_sgpr_kernarg_segment_ptr 1
		.amdhsa_user_sgpr_dispatch_id 0
		.amdhsa_user_sgpr_private_segment_size 0
		.amdhsa_wavefront_size32 1
		.amdhsa_uses_dynamic_stack 0
		.amdhsa_enable_private_segment 0
		.amdhsa_system_sgpr_workgroup_id_x 1
		.amdhsa_system_sgpr_workgroup_id_y 0
		.amdhsa_system_sgpr_workgroup_id_z 0
		.amdhsa_system_sgpr_workgroup_info 0
		.amdhsa_system_vgpr_workitem_id 2
		.amdhsa_next_free_vgpr 46
		.amdhsa_next_free_sgpr 20
		.amdhsa_reserve_vcc 1
		.amdhsa_float_round_mode_32 0
		.amdhsa_float_round_mode_16_64 0
		.amdhsa_float_denorm_mode_32 3
		.amdhsa_float_denorm_mode_16_64 3
		.amdhsa_dx10_clamp 1
		.amdhsa_ieee_mode 1
		.amdhsa_fp16_overflow 0
		.amdhsa_workgroup_processor_mode 1
		.amdhsa_memory_ordered 1
		.amdhsa_forward_progress 0
		.amdhsa_shared_vgpr_count 0
		.amdhsa_exception_fp_ieee_invalid_op 0
		.amdhsa_exception_fp_denorm_src 0
		.amdhsa_exception_fp_ieee_div_zero 0
		.amdhsa_exception_fp_ieee_overflow 0
		.amdhsa_exception_fp_ieee_underflow 0
		.amdhsa_exception_fp_ieee_inexact 0
		.amdhsa_exception_int_div_zero 0
	.end_amdhsa_kernel
	.section	.text._Z17sort_pairs_kernelI22helper_blocked_blockedxLj512ELj3ELj10EEvPKT0_PS1_,"axG",@progbits,_Z17sort_pairs_kernelI22helper_blocked_blockedxLj512ELj3ELj10EEvPKT0_PS1_,comdat
.Lfunc_end139:
	.size	_Z17sort_pairs_kernelI22helper_blocked_blockedxLj512ELj3ELj10EEvPKT0_PS1_, .Lfunc_end139-_Z17sort_pairs_kernelI22helper_blocked_blockedxLj512ELj3ELj10EEvPKT0_PS1_
                                        ; -- End function
	.section	.AMDGPU.csdata,"",@progbits
; Kernel info:
; codeLenInByte = 2764
; NumSgprs: 22
; NumVgprs: 46
; ScratchSize: 0
; MemoryBound: 0
; FloatMode: 240
; IeeeMode: 1
; LDSByteSize: 16448 bytes/workgroup (compile time only)
; SGPRBlocks: 2
; VGPRBlocks: 5
; NumSGPRsForWavesPerEU: 22
; NumVGPRsForWavesPerEU: 46
; Occupancy: 16
; WaveLimiterHint : 1
; COMPUTE_PGM_RSRC2:SCRATCH_EN: 0
; COMPUTE_PGM_RSRC2:USER_SGPR: 15
; COMPUTE_PGM_RSRC2:TRAP_HANDLER: 0
; COMPUTE_PGM_RSRC2:TGID_X_EN: 1
; COMPUTE_PGM_RSRC2:TGID_Y_EN: 0
; COMPUTE_PGM_RSRC2:TGID_Z_EN: 0
; COMPUTE_PGM_RSRC2:TIDIG_COMP_CNT: 2
	.section	.text._Z16sort_keys_kernelI22helper_blocked_blockedxLj512ELj4ELj10EEvPKT0_PS1_,"axG",@progbits,_Z16sort_keys_kernelI22helper_blocked_blockedxLj512ELj4ELj10EEvPKT0_PS1_,comdat
	.protected	_Z16sort_keys_kernelI22helper_blocked_blockedxLj512ELj4ELj10EEvPKT0_PS1_ ; -- Begin function _Z16sort_keys_kernelI22helper_blocked_blockedxLj512ELj4ELj10EEvPKT0_PS1_
	.globl	_Z16sort_keys_kernelI22helper_blocked_blockedxLj512ELj4ELj10EEvPKT0_PS1_
	.p2align	8
	.type	_Z16sort_keys_kernelI22helper_blocked_blockedxLj512ELj4ELj10EEvPKT0_PS1_,@function
_Z16sort_keys_kernelI22helper_blocked_blockedxLj512ELj4ELj10EEvPKT0_PS1_: ; @_Z16sort_keys_kernelI22helper_blocked_blockedxLj512ELj4ELj10EEvPKT0_PS1_
; %bb.0:
	s_clause 0x1
	s_load_b128 s[16:19], s[0:1], 0x0
	s_load_b32 s2, s[0:1], 0x1c
	s_mov_b32 s21, 0
	s_lshl_b32 s20, s15, 11
	v_mbcnt_lo_u32_b32 v12, -1, 0
	s_lshl_b64 s[14:15], s[20:21], 3
	s_mov_b32 s20, s21
	v_and_b32_e32 v9, 0x3ff, v0
	s_delay_alu instid0(VALU_DEP_2) | instskip(SKIP_2) | instid1(VALU_DEP_4)
	v_and_b32_e32 v13, 3, v12
	v_and_b32_e32 v22, 28, v12
	v_cmp_eq_u32_e64 s11, 0, v12
	v_lshlrev_b32_e32 v1, 3, v9
	s_waitcnt lgkmcnt(0)
	s_add_u32 s0, s16, s14
	s_addc_u32 s1, s17, s15
	s_delay_alu instid0(VALU_DEP_1) | instskip(NEXT) | instid1(VALU_DEP_1)
	v_add_co_u32 v2, s3, s0, v1
	v_add_co_ci_u32_e64 v5, null, s1, 0, s3
	s_mov_b32 s16, s21
	s_delay_alu instid0(VALU_DEP_2) | instskip(NEXT) | instid1(VALU_DEP_2)
	v_add_co_u32 v3, vcc_lo, v2, 0x2000
	v_add_co_ci_u32_e32 v4, vcc_lo, 0, v5, vcc_lo
	v_add_co_u32 v10, vcc_lo, 0x3000, v2
	v_add_co_ci_u32_e32 v11, vcc_lo, 0, v5, vcc_lo
	s_clause 0x3
	global_load_b64 v[5:6], v1, s[0:1]
	global_load_b64 v[1:2], v[3:4], off
	global_load_b64 v[7:8], v[3:4], off offset:-4096
	global_load_b64 v[3:4], v[10:11], off
	v_bfe_u32 v10, v0, 10, 10
	v_bfe_u32 v0, v0, 20, 10
	s_lshr_b32 s1, s2, 16
	s_and_b32 s2, s2, 0xffff
	v_cmp_eq_u32_e64 s0, 3, v13
	s_mov_b32 s17, s21
	v_mad_u32_u24 v0, v0, s1, v10
	v_cmp_eq_u32_e64 s1, 2, v13
	s_delay_alu instid0(VALU_DEP_2)
	v_mad_u64_u32 v[10:11], null, v0, s2, v[9:10]
	v_cmp_eq_u32_e64 s2, 1, v13
	v_add_nc_u32_e32 v13, -1, v12
	v_and_b32_e32 v0, 15, v12
	v_or_b32_e32 v11, 31, v9
	v_lshrrev_b32_e32 v28, 5, v10
	v_and_b32_e32 v10, 16, v12
	v_cmp_gt_i32_e32 vcc_lo, 0, v13
	v_cmp_eq_u32_e64 s3, 0, v0
	v_cmp_lt_u32_e64 s4, 1, v0
	v_cmp_lt_u32_e64 s5, 3, v0
	;; [unrolled: 1-line block ×3, first 2 shown]
	v_cmp_eq_u32_e64 s7, 0, v10
	v_cmp_eq_u32_e64 s8, v11, v9
	v_cndmask_b32_e32 v0, v13, v12, vcc_lo
	v_lshrrev_b32_e32 v10, 3, v9
	v_lshlrev_b32_e32 v11, 2, v9
	s_delay_alu instid0(VALU_DEP_3) | instskip(NEXT) | instid1(VALU_DEP_3)
	v_lshlrev_b32_e32 v29, 2, v0
	v_and_b32_e32 v30, 60, v10
	s_delay_alu instid0(VALU_DEP_3) | instskip(SKIP_3) | instid1(VALU_DEP_4)
	v_and_or_b32 v0, 0x780, v11, v12
	v_dual_mov_b32 v10, s20 :: v_dual_lshlrev_b32 v23, 5, v9
	v_mov_b32_e32 v12, s16
	v_cmp_gt_u32_e64 s9, 16, v9
	v_lshlrev_b32_e32 v33, 3, v0
	v_mul_u32_u24_e32 v0, 28, v9
	v_mad_i32_i24 v31, 0xffffffe4, v9, v23
	v_add_nc_u32_e32 v27, 64, v23
	v_cmp_lt_u32_e64 s10, 31, v9
	v_cmp_eq_u32_e64 s12, 0, v9
	v_dual_mov_b32 v11, s21 :: v_dual_add_nc_u32 v32, -4, v30
	v_or_b32_e32 v24, 32, v22
	v_or_b32_e32 v25, 64, v22
	;; [unrolled: 1-line block ×3, first 2 shown]
	v_dual_mov_b32 v13, s17 :: v_dual_add_nc_u32 v34, v31, v0
	s_branch .LBB140_2
.LBB140_1:                              ;   in Loop: Header=BB140_2 Depth=1
	v_lshlrev_b32_e32 v0, 3, v38
	v_lshlrev_b32_e32 v1, 3, v36
	v_lshlrev_b32_e32 v2, 3, v35
	v_lshlrev_b32_e32 v3, 3, v8
	s_barrier
	buffer_gl0_inv
	ds_store_b64 v0, v[14:15]
	ds_store_b64 v1, v[20:21]
	;; [unrolled: 1-line block ×4, first 2 shown]
	s_waitcnt lgkmcnt(0)
	s_barrier
	buffer_gl0_inv
	ds_load_2addr_b64 v[5:8], v34 offset1:1
	ds_load_2addr_b64 v[1:4], v34 offset0:2 offset1:3
	s_add_i32 s21, s21, 1
	s_delay_alu instid0(SALU_CYCLE_1)
	s_cmp_eq_u32 s21, 10
	s_waitcnt lgkmcnt(1)
	v_xor_b32_e32 v6, 0x80000000, v6
	v_xor_b32_e32 v8, 0x80000000, v8
	s_waitcnt lgkmcnt(0)
	v_xor_b32_e32 v2, 0x80000000, v2
	v_xor_b32_e32 v4, 0x80000000, v4
	s_cbranch_scc1 .LBB140_20
.LBB140_2:                              ; =>This Loop Header: Depth=1
                                        ;     Child Loop BB140_4 Depth 2
	s_waitcnt vmcnt(3)
	v_xor_b32_e32 v0, 0x80000000, v6
	s_waitcnt vmcnt(1)
	v_xor_b32_e32 v6, 0x80000000, v8
	ds_bpermute_b32 v8, v22, v5
	ds_bpermute_b32 v14, v22, v7
	v_xor_b32_e32 v2, 0x80000000, v2
	ds_bpermute_b32 v15, v22, v0
	ds_bpermute_b32 v16, v22, v6
	;; [unrolled: 1-line block ×14, first 2 shown]
	s_waitcnt vmcnt(0)
	v_xor_b32_e32 v4, 0x80000000, v4
	ds_bpermute_b32 v37, v24, v1
	ds_bpermute_b32 v43, v26, v2
	;; [unrolled: 1-line block ×3, first 2 shown]
	s_waitcnt lgkmcnt(17)
	v_cndmask_b32_e64 v8, v8, v14, s2
	ds_bpermute_b32 v14, v25, v6
	ds_bpermute_b32 v6, v26, v6
	s_waitcnt lgkmcnt(17)
	v_cndmask_b32_e64 v15, v15, v16, s2
	ds_bpermute_b32 v16, v26, v0
	s_waitcnt lgkmcnt(17)
	v_cndmask_b32_e64 v0, v8, v17, s1
	s_waitcnt lgkmcnt(15)
	v_cndmask_b32_e64 v8, v18, v19, s2
	ds_bpermute_b32 v18, v25, v1
	s_waitcnt lgkmcnt(15)
	v_cndmask_b32_e64 v15, v15, v20, s1
	ds_bpermute_b32 v19, v25, v2
	ds_bpermute_b32 v20, v26, v1
	;; [unrolled: 1-line block ×9, first 2 shown]
	s_waitcnt lgkmcnt(22)
	v_cndmask_b32_e64 v2, v35, v36, s2
	s_waitcnt lgkmcnt(17)
	v_cndmask_b32_e64 v3, v8, v41, s1
	v_cndmask_b32_e64 v4, v38, v39, s2
	s_waitcnt lgkmcnt(12)
	v_cndmask_b32_e64 v8, v42, v14, s2
	v_cndmask_b32_e64 v5, v5, v7, s2
	;; [unrolled: 1-line block ×3, first 2 shown]
	s_waitcnt lgkmcnt(10)
	v_cndmask_b32_e64 v6, v16, v6, s2
	v_cndmask_b32_e64 v0, v0, v21, s0
	s_mov_b64 s[16:17], 0
	s_waitcnt lgkmcnt(9)
	v_cndmask_b32_e64 v4, v4, v18, s1
	s_waitcnt lgkmcnt(0)
	v_cndmask_b32_e64 v7, v8, v19, s1
	v_cndmask_b32_e64 v8, v5, v20, s1
	;; [unrolled: 1-line block ×10, first 2 shown]
	s_barrier
	s_branch .LBB140_4
.LBB140_3:                              ;   in Loop: Header=BB140_4 Depth=2
	v_lshlrev_b32_e32 v0, 3, v38
	v_lshlrev_b32_e32 v1, 3, v36
	;; [unrolled: 1-line block ×4, first 2 shown]
	s_barrier
	buffer_gl0_inv
	ds_store_b64 v0, v[14:15]
	ds_store_b64 v1, v[20:21]
	;; [unrolled: 1-line block ×4, first 2 shown]
	s_waitcnt lgkmcnt(0)
	s_barrier
	buffer_gl0_inv
	ds_load_2addr_b64 v[0:3], v33 offset1:32
	ds_load_2addr_b64 v[4:7], v33 offset0:64 offset1:96
	s_add_u32 s16, s16, 8
	s_addc_u32 s17, s17, 0
	s_waitcnt lgkmcnt(0)
	s_barrier
	s_cbranch_execz .LBB140_1
.LBB140_4:                              ;   Parent Loop BB140_2 Depth=1
                                        ; =>  This Inner Loop Header: Depth=2
	v_dual_mov_b32 v15, v1 :: v_dual_mov_b32 v14, v0
	buffer_gl0_inv
	ds_store_2addr_b64 v23, v[10:11], v[12:13] offset0:8 offset1:9
	ds_store_2addr_b64 v27, v[10:11], v[12:13] offset0:2 offset1:3
	s_waitcnt lgkmcnt(0)
	s_barrier
	v_lshrrev_b64 v[35:36], s16, v[14:15]
	buffer_gl0_inv
	; wave barrier
	v_and_b32_e32 v0, 1, v35
	v_lshlrev_b32_e32 v1, 30, v35
	v_lshlrev_b32_e32 v8, 29, v35
	;; [unrolled: 1-line block ×4, first 2 shown]
	v_add_co_u32 v0, s13, v0, -1
	s_delay_alu instid0(VALU_DEP_1)
	v_cndmask_b32_e64 v17, 0, 1, s13
	v_not_b32_e32 v21, v1
	v_cmp_gt_i32_e64 s13, 0, v1
	v_not_b32_e32 v1, v8
	v_lshlrev_b32_e32 v19, 26, v35
	v_cmp_ne_u32_e32 vcc_lo, 0, v17
	v_ashrrev_i32_e32 v21, 31, v21
	v_lshlrev_b32_e32 v20, 25, v35
	v_ashrrev_i32_e32 v1, 31, v1
	v_lshlrev_b32_e32 v17, 24, v35
	v_xor_b32_e32 v0, vcc_lo, v0
	v_cmp_gt_i32_e32 vcc_lo, 0, v8
	v_not_b32_e32 v8, v16
	v_xor_b32_e32 v21, s13, v21
	v_cmp_gt_i32_e64 s13, 0, v16
	v_and_b32_e32 v0, exec_lo, v0
	v_not_b32_e32 v16, v18
	v_ashrrev_i32_e32 v8, 31, v8
	v_xor_b32_e32 v1, vcc_lo, v1
	v_cmp_gt_i32_e32 vcc_lo, 0, v18
	v_and_b32_e32 v0, v0, v21
	v_not_b32_e32 v18, v19
	v_ashrrev_i32_e32 v16, 31, v16
	v_xor_b32_e32 v8, s13, v8
	v_cmp_gt_i32_e64 s13, 0, v19
	v_and_b32_e32 v0, v0, v1
	v_not_b32_e32 v1, v20
	v_ashrrev_i32_e32 v18, 31, v18
	v_xor_b32_e32 v16, vcc_lo, v16
	v_cmp_gt_i32_e32 vcc_lo, 0, v20
	v_dual_mov_b32 v21, v3 :: v_dual_and_b32 v0, v0, v8
	v_mov_b32_e32 v20, v2
	v_not_b32_e32 v8, v17
	v_ashrrev_i32_e32 v1, 31, v1
	v_xor_b32_e32 v18, s13, v18
	v_and_b32_e32 v0, v0, v16
	v_cmp_gt_i32_e64 s13, 0, v17
	v_ashrrev_i32_e32 v8, 31, v8
	v_xor_b32_e32 v1, vcc_lo, v1
	s_delay_alu instid0(VALU_DEP_4) | instskip(SKIP_1) | instid1(VALU_DEP_4)
	v_dual_mov_b32 v17, v7 :: v_dual_and_b32 v0, v0, v18
	v_mov_b32_e32 v19, v5
	v_xor_b32_e32 v8, s13, v8
	v_mov_b32_e32 v16, v6
	v_mov_b32_e32 v18, v4
	v_and_b32_e32 v0, v0, v1
	v_and_b32_e32 v1, 0xff, v35
	s_delay_alu instid0(VALU_DEP_2) | instskip(NEXT) | instid1(VALU_DEP_2)
	v_and_b32_e32 v0, v0, v8
	v_lshl_add_u32 v1, v1, 4, v28
	s_delay_alu instid0(VALU_DEP_2) | instskip(SKIP_1) | instid1(VALU_DEP_3)
	v_mbcnt_lo_u32_b32 v8, v0, 0
	v_cmp_ne_u32_e64 s13, 0, v0
	v_lshl_add_u32 v35, v1, 2, 64
	s_delay_alu instid0(VALU_DEP_3) | instskip(NEXT) | instid1(VALU_DEP_3)
	v_cmp_eq_u32_e32 vcc_lo, 0, v8
	s_and_b32 s20, s13, vcc_lo
	s_delay_alu instid0(SALU_CYCLE_1)
	s_and_saveexec_b32 s13, s20
	s_cbranch_execz .LBB140_6
; %bb.5:                                ;   in Loop: Header=BB140_4 Depth=2
	v_bcnt_u32_b32 v0, v0, 0
	ds_store_b32 v35, v0
.LBB140_6:                              ;   in Loop: Header=BB140_4 Depth=2
	s_or_b32 exec_lo, exec_lo, s13
	v_lshrrev_b64 v[0:1], s16, v[20:21]
	; wave barrier
	s_delay_alu instid0(VALU_DEP_1)
	v_and_b32_e32 v2, 1, v0
	v_lshlrev_b32_e32 v3, 30, v0
	v_lshlrev_b32_e32 v4, 29, v0
	;; [unrolled: 1-line block ×4, first 2 shown]
	v_add_co_u32 v2, s13, v2, -1
	s_delay_alu instid0(VALU_DEP_1)
	v_cndmask_b32_e64 v6, 0, 1, s13
	v_not_b32_e32 v38, v3
	v_cmp_gt_i32_e64 s13, 0, v3
	v_not_b32_e32 v3, v4
	v_lshlrev_b32_e32 v36, 26, v0
	v_cmp_ne_u32_e32 vcc_lo, 0, v6
	v_ashrrev_i32_e32 v6, 31, v38
	v_lshlrev_b32_e32 v37, 25, v0
	v_ashrrev_i32_e32 v3, 31, v3
	v_and_b32_e32 v1, 0xff, v0
	v_xor_b32_e32 v2, vcc_lo, v2
	v_cmp_gt_i32_e32 vcc_lo, 0, v4
	v_not_b32_e32 v4, v5
	v_xor_b32_e32 v6, s13, v6
	v_cmp_gt_i32_e64 s13, 0, v5
	v_and_b32_e32 v2, exec_lo, v2
	v_not_b32_e32 v5, v7
	v_ashrrev_i32_e32 v4, 31, v4
	v_xor_b32_e32 v3, vcc_lo, v3
	v_cmp_gt_i32_e32 vcc_lo, 0, v7
	v_and_b32_e32 v2, v2, v6
	v_not_b32_e32 v6, v36
	v_ashrrev_i32_e32 v5, 31, v5
	v_xor_b32_e32 v4, s13, v4
	v_lshlrev_b32_e32 v0, 24, v0
	v_and_b32_e32 v2, v2, v3
	v_cmp_gt_i32_e64 s13, 0, v36
	v_not_b32_e32 v3, v37
	v_ashrrev_i32_e32 v6, 31, v6
	v_xor_b32_e32 v5, vcc_lo, v5
	v_and_b32_e32 v2, v2, v4
	v_cmp_gt_i32_e32 vcc_lo, 0, v37
	v_not_b32_e32 v4, v0
	v_ashrrev_i32_e32 v3, 31, v3
	v_xor_b32_e32 v6, s13, v6
	v_and_b32_e32 v2, v2, v5
	v_lshlrev_b32_e32 v1, 4, v1
	v_cmp_gt_i32_e64 s13, 0, v0
	v_ashrrev_i32_e32 v0, 31, v4
	v_xor_b32_e32 v3, vcc_lo, v3
	v_and_b32_e32 v2, v2, v6
	v_add_lshl_u32 v1, v1, v28, 2
	s_delay_alu instid0(VALU_DEP_4) | instskip(NEXT) | instid1(VALU_DEP_3)
	v_xor_b32_e32 v0, s13, v0
	v_and_b32_e32 v2, v2, v3
	ds_load_b32 v36, v1 offset:64
	v_add_nc_u32_e32 v38, 64, v1
	; wave barrier
	v_and_b32_e32 v0, v2, v0
	s_delay_alu instid0(VALU_DEP_1) | instskip(SKIP_1) | instid1(VALU_DEP_2)
	v_mbcnt_lo_u32_b32 v37, v0, 0
	v_cmp_ne_u32_e64 s13, 0, v0
	v_cmp_eq_u32_e32 vcc_lo, 0, v37
	s_delay_alu instid0(VALU_DEP_2) | instskip(NEXT) | instid1(SALU_CYCLE_1)
	s_and_b32 s20, s13, vcc_lo
	s_and_saveexec_b32 s13, s20
	s_cbranch_execz .LBB140_8
; %bb.7:                                ;   in Loop: Header=BB140_4 Depth=2
	s_waitcnt lgkmcnt(0)
	v_bcnt_u32_b32 v0, v0, v36
	ds_store_b32 v38, v0
.LBB140_8:                              ;   in Loop: Header=BB140_4 Depth=2
	s_or_b32 exec_lo, exec_lo, s13
	v_lshrrev_b64 v[0:1], s16, v[18:19]
	; wave barrier
	s_delay_alu instid0(VALU_DEP_1)
	v_and_b32_e32 v2, 1, v0
	v_lshlrev_b32_e32 v3, 30, v0
	v_lshlrev_b32_e32 v4, 29, v0
	;; [unrolled: 1-line block ×4, first 2 shown]
	v_add_co_u32 v2, s13, v2, -1
	s_delay_alu instid0(VALU_DEP_1)
	v_cndmask_b32_e64 v6, 0, 1, s13
	v_not_b32_e32 v41, v3
	v_cmp_gt_i32_e64 s13, 0, v3
	v_not_b32_e32 v3, v4
	v_lshlrev_b32_e32 v39, 26, v0
	v_cmp_ne_u32_e32 vcc_lo, 0, v6
	v_ashrrev_i32_e32 v6, 31, v41
	v_lshlrev_b32_e32 v40, 25, v0
	v_ashrrev_i32_e32 v3, 31, v3
	v_and_b32_e32 v1, 0xff, v0
	v_xor_b32_e32 v2, vcc_lo, v2
	v_cmp_gt_i32_e32 vcc_lo, 0, v4
	v_not_b32_e32 v4, v5
	v_xor_b32_e32 v6, s13, v6
	v_cmp_gt_i32_e64 s13, 0, v5
	v_and_b32_e32 v2, exec_lo, v2
	v_not_b32_e32 v5, v7
	v_ashrrev_i32_e32 v4, 31, v4
	v_xor_b32_e32 v3, vcc_lo, v3
	v_cmp_gt_i32_e32 vcc_lo, 0, v7
	v_and_b32_e32 v2, v2, v6
	v_not_b32_e32 v6, v39
	v_ashrrev_i32_e32 v5, 31, v5
	v_xor_b32_e32 v4, s13, v4
	v_lshlrev_b32_e32 v0, 24, v0
	v_and_b32_e32 v2, v2, v3
	v_cmp_gt_i32_e64 s13, 0, v39
	v_not_b32_e32 v3, v40
	v_ashrrev_i32_e32 v6, 31, v6
	v_xor_b32_e32 v5, vcc_lo, v5
	v_and_b32_e32 v2, v2, v4
	v_cmp_gt_i32_e32 vcc_lo, 0, v40
	v_not_b32_e32 v4, v0
	v_ashrrev_i32_e32 v3, 31, v3
	v_xor_b32_e32 v6, s13, v6
	v_and_b32_e32 v2, v2, v5
	v_lshlrev_b32_e32 v1, 4, v1
	v_cmp_gt_i32_e64 s13, 0, v0
	v_ashrrev_i32_e32 v0, 31, v4
	v_xor_b32_e32 v3, vcc_lo, v3
	v_and_b32_e32 v2, v2, v6
	v_add_lshl_u32 v1, v1, v28, 2
	s_delay_alu instid0(VALU_DEP_4) | instskip(NEXT) | instid1(VALU_DEP_3)
	v_xor_b32_e32 v0, s13, v0
	v_and_b32_e32 v2, v2, v3
	ds_load_b32 v39, v1 offset:64
	v_add_nc_u32_e32 v41, 64, v1
	; wave barrier
	v_and_b32_e32 v0, v2, v0
	s_delay_alu instid0(VALU_DEP_1) | instskip(SKIP_1) | instid1(VALU_DEP_2)
	v_mbcnt_lo_u32_b32 v40, v0, 0
	v_cmp_ne_u32_e64 s13, 0, v0
	v_cmp_eq_u32_e32 vcc_lo, 0, v40
	s_delay_alu instid0(VALU_DEP_2) | instskip(NEXT) | instid1(SALU_CYCLE_1)
	s_and_b32 s20, s13, vcc_lo
	s_and_saveexec_b32 s13, s20
	s_cbranch_execz .LBB140_10
; %bb.9:                                ;   in Loop: Header=BB140_4 Depth=2
	s_waitcnt lgkmcnt(0)
	v_bcnt_u32_b32 v0, v0, v39
	ds_store_b32 v41, v0
.LBB140_10:                             ;   in Loop: Header=BB140_4 Depth=2
	s_or_b32 exec_lo, exec_lo, s13
	v_lshrrev_b64 v[0:1], s16, v[16:17]
	; wave barrier
	s_delay_alu instid0(VALU_DEP_1)
	v_and_b32_e32 v2, 1, v0
	v_lshlrev_b32_e32 v3, 30, v0
	v_lshlrev_b32_e32 v4, 29, v0
	;; [unrolled: 1-line block ×4, first 2 shown]
	v_add_co_u32 v2, s13, v2, -1
	s_delay_alu instid0(VALU_DEP_1)
	v_cndmask_b32_e64 v6, 0, 1, s13
	v_not_b32_e32 v44, v3
	v_cmp_gt_i32_e64 s13, 0, v3
	v_not_b32_e32 v3, v4
	v_lshlrev_b32_e32 v42, 26, v0
	v_cmp_ne_u32_e32 vcc_lo, 0, v6
	v_ashrrev_i32_e32 v6, 31, v44
	v_lshlrev_b32_e32 v43, 25, v0
	v_ashrrev_i32_e32 v3, 31, v3
	v_and_b32_e32 v1, 0xff, v0
	v_xor_b32_e32 v2, vcc_lo, v2
	v_cmp_gt_i32_e32 vcc_lo, 0, v4
	v_not_b32_e32 v4, v5
	v_xor_b32_e32 v6, s13, v6
	v_cmp_gt_i32_e64 s13, 0, v5
	v_and_b32_e32 v2, exec_lo, v2
	v_not_b32_e32 v5, v7
	v_ashrrev_i32_e32 v4, 31, v4
	v_xor_b32_e32 v3, vcc_lo, v3
	v_cmp_gt_i32_e32 vcc_lo, 0, v7
	v_and_b32_e32 v2, v2, v6
	v_not_b32_e32 v6, v42
	v_ashrrev_i32_e32 v5, 31, v5
	v_xor_b32_e32 v4, s13, v4
	v_lshlrev_b32_e32 v0, 24, v0
	v_and_b32_e32 v2, v2, v3
	v_cmp_gt_i32_e64 s13, 0, v42
	v_not_b32_e32 v3, v43
	v_ashrrev_i32_e32 v6, 31, v6
	v_xor_b32_e32 v5, vcc_lo, v5
	v_and_b32_e32 v2, v2, v4
	v_cmp_gt_i32_e32 vcc_lo, 0, v43
	v_not_b32_e32 v4, v0
	v_ashrrev_i32_e32 v3, 31, v3
	v_xor_b32_e32 v6, s13, v6
	v_and_b32_e32 v2, v2, v5
	v_lshlrev_b32_e32 v1, 4, v1
	v_cmp_gt_i32_e64 s13, 0, v0
	v_ashrrev_i32_e32 v0, 31, v4
	v_xor_b32_e32 v3, vcc_lo, v3
	v_and_b32_e32 v2, v2, v6
	v_add_lshl_u32 v1, v1, v28, 2
	s_delay_alu instid0(VALU_DEP_4) | instskip(NEXT) | instid1(VALU_DEP_3)
	v_xor_b32_e32 v0, s13, v0
	v_and_b32_e32 v2, v2, v3
	ds_load_b32 v42, v1 offset:64
	v_add_nc_u32_e32 v44, 64, v1
	; wave barrier
	v_and_b32_e32 v0, v2, v0
	s_delay_alu instid0(VALU_DEP_1) | instskip(SKIP_1) | instid1(VALU_DEP_2)
	v_mbcnt_lo_u32_b32 v43, v0, 0
	v_cmp_ne_u32_e64 s13, 0, v0
	v_cmp_eq_u32_e32 vcc_lo, 0, v43
	s_delay_alu instid0(VALU_DEP_2) | instskip(NEXT) | instid1(SALU_CYCLE_1)
	s_and_b32 s20, s13, vcc_lo
	s_and_saveexec_b32 s13, s20
	s_cbranch_execz .LBB140_12
; %bb.11:                               ;   in Loop: Header=BB140_4 Depth=2
	s_waitcnt lgkmcnt(0)
	v_bcnt_u32_b32 v0, v0, v42
	ds_store_b32 v44, v0
.LBB140_12:                             ;   in Loop: Header=BB140_4 Depth=2
	s_or_b32 exec_lo, exec_lo, s13
	; wave barrier
	s_waitcnt lgkmcnt(0)
	s_barrier
	buffer_gl0_inv
	ds_load_2addr_b64 v[4:7], v23 offset0:8 offset1:9
	ds_load_2addr_b64 v[0:3], v27 offset0:2 offset1:3
	s_waitcnt lgkmcnt(1)
	v_add_nc_u32_e32 v45, v5, v4
	s_delay_alu instid0(VALU_DEP_1) | instskip(SKIP_1) | instid1(VALU_DEP_1)
	v_add3_u32 v45, v45, v6, v7
	s_waitcnt lgkmcnt(0)
	v_add3_u32 v45, v45, v0, v1
	s_delay_alu instid0(VALU_DEP_1) | instskip(NEXT) | instid1(VALU_DEP_1)
	v_add3_u32 v3, v45, v2, v3
	v_mov_b32_dpp v45, v3 row_shr:1 row_mask:0xf bank_mask:0xf
	s_delay_alu instid0(VALU_DEP_1) | instskip(NEXT) | instid1(VALU_DEP_1)
	v_cndmask_b32_e64 v45, v45, 0, s3
	v_add_nc_u32_e32 v3, v45, v3
	s_delay_alu instid0(VALU_DEP_1) | instskip(NEXT) | instid1(VALU_DEP_1)
	v_mov_b32_dpp v45, v3 row_shr:2 row_mask:0xf bank_mask:0xf
	v_cndmask_b32_e64 v45, 0, v45, s4
	s_delay_alu instid0(VALU_DEP_1) | instskip(NEXT) | instid1(VALU_DEP_1)
	v_add_nc_u32_e32 v3, v3, v45
	v_mov_b32_dpp v45, v3 row_shr:4 row_mask:0xf bank_mask:0xf
	s_delay_alu instid0(VALU_DEP_1) | instskip(NEXT) | instid1(VALU_DEP_1)
	v_cndmask_b32_e64 v45, 0, v45, s5
	v_add_nc_u32_e32 v3, v3, v45
	s_delay_alu instid0(VALU_DEP_1) | instskip(NEXT) | instid1(VALU_DEP_1)
	v_mov_b32_dpp v45, v3 row_shr:8 row_mask:0xf bank_mask:0xf
	v_cndmask_b32_e64 v45, 0, v45, s6
	s_delay_alu instid0(VALU_DEP_1) | instskip(SKIP_3) | instid1(VALU_DEP_1)
	v_add_nc_u32_e32 v3, v3, v45
	ds_swizzle_b32 v45, v3 offset:swizzle(BROADCAST,32,15)
	s_waitcnt lgkmcnt(0)
	v_cndmask_b32_e64 v45, v45, 0, s7
	v_add_nc_u32_e32 v3, v3, v45
	s_and_saveexec_b32 s13, s8
	s_cbranch_execz .LBB140_14
; %bb.13:                               ;   in Loop: Header=BB140_4 Depth=2
	ds_store_b32 v30, v3
.LBB140_14:                             ;   in Loop: Header=BB140_4 Depth=2
	s_or_b32 exec_lo, exec_lo, s13
	s_waitcnt lgkmcnt(0)
	s_barrier
	buffer_gl0_inv
	s_and_saveexec_b32 s13, s9
	s_cbranch_execz .LBB140_16
; %bb.15:                               ;   in Loop: Header=BB140_4 Depth=2
	ds_load_b32 v45, v31
	s_waitcnt lgkmcnt(0)
	v_mov_b32_dpp v46, v45 row_shr:1 row_mask:0xf bank_mask:0xf
	s_delay_alu instid0(VALU_DEP_1) | instskip(NEXT) | instid1(VALU_DEP_1)
	v_cndmask_b32_e64 v46, v46, 0, s3
	v_add_nc_u32_e32 v45, v46, v45
	s_delay_alu instid0(VALU_DEP_1) | instskip(NEXT) | instid1(VALU_DEP_1)
	v_mov_b32_dpp v46, v45 row_shr:2 row_mask:0xf bank_mask:0xf
	v_cndmask_b32_e64 v46, 0, v46, s4
	s_delay_alu instid0(VALU_DEP_1) | instskip(NEXT) | instid1(VALU_DEP_1)
	v_add_nc_u32_e32 v45, v45, v46
	v_mov_b32_dpp v46, v45 row_shr:4 row_mask:0xf bank_mask:0xf
	s_delay_alu instid0(VALU_DEP_1) | instskip(NEXT) | instid1(VALU_DEP_1)
	v_cndmask_b32_e64 v46, 0, v46, s5
	v_add_nc_u32_e32 v45, v45, v46
	s_delay_alu instid0(VALU_DEP_1) | instskip(NEXT) | instid1(VALU_DEP_1)
	v_mov_b32_dpp v46, v45 row_shr:8 row_mask:0xf bank_mask:0xf
	v_cndmask_b32_e64 v46, 0, v46, s6
	s_delay_alu instid0(VALU_DEP_1)
	v_add_nc_u32_e32 v45, v45, v46
	ds_store_b32 v31, v45
.LBB140_16:                             ;   in Loop: Header=BB140_4 Depth=2
	s_or_b32 exec_lo, exec_lo, s13
	v_mov_b32_e32 v45, 0
	s_waitcnt lgkmcnt(0)
	s_barrier
	buffer_gl0_inv
	s_and_saveexec_b32 s13, s10
	s_cbranch_execz .LBB140_18
; %bb.17:                               ;   in Loop: Header=BB140_4 Depth=2
	ds_load_b32 v45, v32
.LBB140_18:                             ;   in Loop: Header=BB140_4 Depth=2
	s_or_b32 exec_lo, exec_lo, s13
	s_waitcnt lgkmcnt(0)
	v_add_nc_u32_e32 v3, v45, v3
	s_cmp_gt_u32 s16, 55
	ds_bpermute_b32 v3, v29, v3
	s_waitcnt lgkmcnt(0)
	v_cndmask_b32_e64 v3, v3, v45, s11
	s_delay_alu instid0(VALU_DEP_1) | instskip(NEXT) | instid1(VALU_DEP_1)
	v_cndmask_b32_e64 v3, v3, 0, s12
	v_add_nc_u32_e32 v4, v3, v4
	s_delay_alu instid0(VALU_DEP_1) | instskip(NEXT) | instid1(VALU_DEP_1)
	v_add_nc_u32_e32 v5, v4, v5
	v_add_nc_u32_e32 v6, v5, v6
	s_delay_alu instid0(VALU_DEP_1) | instskip(NEXT) | instid1(VALU_DEP_1)
	v_add_nc_u32_e32 v45, v6, v7
	v_add_nc_u32_e32 v46, v45, v0
	s_delay_alu instid0(VALU_DEP_1) | instskip(NEXT) | instid1(VALU_DEP_1)
	v_add_nc_u32_e32 v0, v46, v1
	v_add_nc_u32_e32 v1, v0, v2
	ds_store_2addr_b64 v23, v[3:4], v[5:6] offset0:8 offset1:9
	ds_store_2addr_b64 v27, v[45:46], v[0:1] offset0:2 offset1:3
	s_waitcnt lgkmcnt(0)
	s_barrier
	buffer_gl0_inv
	ds_load_b32 v0, v35
	ds_load_b32 v1, v38
	;; [unrolled: 1-line block ×4, first 2 shown]
	s_waitcnt lgkmcnt(3)
	v_add_nc_u32_e32 v38, v0, v8
	s_waitcnt lgkmcnt(2)
	v_add3_u32 v36, v37, v36, v1
	s_waitcnt lgkmcnt(1)
	v_add3_u32 v35, v40, v39, v2
	;; [unrolled: 2-line block ×3, first 2 shown]
	s_cbranch_scc0 .LBB140_3
; %bb.19:                               ;   in Loop: Header=BB140_2 Depth=1
                                        ; implicit-def: $vgpr6_vgpr7
                                        ; implicit-def: $vgpr2_vgpr3
                                        ; implicit-def: $sgpr16_sgpr17
	s_branch .LBB140_1
.LBB140_20:
	v_lshlrev_b32_e32 v0, 3, v9
	s_add_u32 s0, s18, s14
	s_addc_u32 s1, s19, s15
	s_delay_alu instid0(VALU_DEP_1) | instskip(NEXT) | instid1(VALU_DEP_1)
	v_add_co_u32 v11, s2, s0, v0
	v_add_co_ci_u32_e64 v12, null, s1, 0, s2
	s_delay_alu instid0(VALU_DEP_2) | instskip(NEXT) | instid1(VALU_DEP_2)
	v_add_co_u32 v9, vcc_lo, v11, 0x2000
	v_add_co_ci_u32_e32 v10, vcc_lo, 0, v12, vcc_lo
	v_add_co_u32 v11, vcc_lo, 0x3000, v11
	v_add_co_ci_u32_e32 v12, vcc_lo, 0, v12, vcc_lo
	s_clause 0x3
	global_store_b64 v0, v[5:6], s[0:1]
	global_store_b64 v[9:10], v[1:2], off
	global_store_b64 v[9:10], v[7:8], off offset:-4096
	global_store_b64 v[11:12], v[3:4], off
	s_nop 0
	s_sendmsg sendmsg(MSG_DEALLOC_VGPRS)
	s_endpgm
	.section	.rodata,"a",@progbits
	.p2align	6, 0x0
	.amdhsa_kernel _Z16sort_keys_kernelI22helper_blocked_blockedxLj512ELj4ELj10EEvPKT0_PS1_
		.amdhsa_group_segment_fixed_size 16448
		.amdhsa_private_segment_fixed_size 0
		.amdhsa_kernarg_size 272
		.amdhsa_user_sgpr_count 15
		.amdhsa_user_sgpr_dispatch_ptr 0
		.amdhsa_user_sgpr_queue_ptr 0
		.amdhsa_user_sgpr_kernarg_segment_ptr 1
		.amdhsa_user_sgpr_dispatch_id 0
		.amdhsa_user_sgpr_private_segment_size 0
		.amdhsa_wavefront_size32 1
		.amdhsa_uses_dynamic_stack 0
		.amdhsa_enable_private_segment 0
		.amdhsa_system_sgpr_workgroup_id_x 1
		.amdhsa_system_sgpr_workgroup_id_y 0
		.amdhsa_system_sgpr_workgroup_id_z 0
		.amdhsa_system_sgpr_workgroup_info 0
		.amdhsa_system_vgpr_workitem_id 2
		.amdhsa_next_free_vgpr 49
		.amdhsa_next_free_sgpr 22
		.amdhsa_reserve_vcc 1
		.amdhsa_float_round_mode_32 0
		.amdhsa_float_round_mode_16_64 0
		.amdhsa_float_denorm_mode_32 3
		.amdhsa_float_denorm_mode_16_64 3
		.amdhsa_dx10_clamp 1
		.amdhsa_ieee_mode 1
		.amdhsa_fp16_overflow 0
		.amdhsa_workgroup_processor_mode 1
		.amdhsa_memory_ordered 1
		.amdhsa_forward_progress 0
		.amdhsa_shared_vgpr_count 0
		.amdhsa_exception_fp_ieee_invalid_op 0
		.amdhsa_exception_fp_denorm_src 0
		.amdhsa_exception_fp_ieee_div_zero 0
		.amdhsa_exception_fp_ieee_overflow 0
		.amdhsa_exception_fp_ieee_underflow 0
		.amdhsa_exception_fp_ieee_inexact 0
		.amdhsa_exception_int_div_zero 0
	.end_amdhsa_kernel
	.section	.text._Z16sort_keys_kernelI22helper_blocked_blockedxLj512ELj4ELj10EEvPKT0_PS1_,"axG",@progbits,_Z16sort_keys_kernelI22helper_blocked_blockedxLj512ELj4ELj10EEvPKT0_PS1_,comdat
.Lfunc_end140:
	.size	_Z16sort_keys_kernelI22helper_blocked_blockedxLj512ELj4ELj10EEvPKT0_PS1_, .Lfunc_end140-_Z16sort_keys_kernelI22helper_blocked_blockedxLj512ELj4ELj10EEvPKT0_PS1_
                                        ; -- End function
	.section	.AMDGPU.csdata,"",@progbits
; Kernel info:
; codeLenInByte = 3400
; NumSgprs: 24
; NumVgprs: 49
; ScratchSize: 0
; MemoryBound: 0
; FloatMode: 240
; IeeeMode: 1
; LDSByteSize: 16448 bytes/workgroup (compile time only)
; SGPRBlocks: 2
; VGPRBlocks: 6
; NumSGPRsForWavesPerEU: 24
; NumVGPRsForWavesPerEU: 49
; Occupancy: 16
; WaveLimiterHint : 1
; COMPUTE_PGM_RSRC2:SCRATCH_EN: 0
; COMPUTE_PGM_RSRC2:USER_SGPR: 15
; COMPUTE_PGM_RSRC2:TRAP_HANDLER: 0
; COMPUTE_PGM_RSRC2:TGID_X_EN: 1
; COMPUTE_PGM_RSRC2:TGID_Y_EN: 0
; COMPUTE_PGM_RSRC2:TGID_Z_EN: 0
; COMPUTE_PGM_RSRC2:TIDIG_COMP_CNT: 2
	.section	.text._Z17sort_pairs_kernelI22helper_blocked_blockedxLj512ELj4ELj10EEvPKT0_PS1_,"axG",@progbits,_Z17sort_pairs_kernelI22helper_blocked_blockedxLj512ELj4ELj10EEvPKT0_PS1_,comdat
	.protected	_Z17sort_pairs_kernelI22helper_blocked_blockedxLj512ELj4ELj10EEvPKT0_PS1_ ; -- Begin function _Z17sort_pairs_kernelI22helper_blocked_blockedxLj512ELj4ELj10EEvPKT0_PS1_
	.globl	_Z17sort_pairs_kernelI22helper_blocked_blockedxLj512ELj4ELj10EEvPKT0_PS1_
	.p2align	8
	.type	_Z17sort_pairs_kernelI22helper_blocked_blockedxLj512ELj4ELj10EEvPKT0_PS1_,@function
_Z17sort_pairs_kernelI22helper_blocked_blockedxLj512ELj4ELj10EEvPKT0_PS1_: ; @_Z17sort_pairs_kernelI22helper_blocked_blockedxLj512ELj4ELj10EEvPKT0_PS1_
; %bb.0:
	s_clause 0x1
	s_load_b128 s[16:19], s[0:1], 0x0
	s_load_b32 s12, s[0:1], 0x1c
	v_mbcnt_lo_u32_b32 v10, -1, 0
	s_mov_b32 s21, 0
	s_lshl_b32 s20, s15, 11
	v_bfe_u32 v11, v0, 10, 10
	s_lshl_b64 s[14:15], s[20:21], 3
	v_add_nc_u32_e32 v14, -1, v10
	v_and_b32_e32 v18, 0x3ff, v0
	v_and_b32_e32 v13, 16, v10
	v_bfe_u32 v0, v0, 20, 10
	v_and_b32_e32 v12, 15, v10
	v_and_b32_e32 v33, 28, v10
	v_lshlrev_b32_e32 v3, 3, v18
	v_cmp_eq_u32_e64 s8, 0, v13
	s_mov_b32 s20, s21
	v_cmp_eq_u32_e64 s4, 0, v12
	v_cmp_lt_u32_e64 s5, 1, v12
	v_cmp_lt_u32_e64 s6, 3, v12
	;; [unrolled: 1-line block ×3, first 2 shown]
	s_waitcnt lgkmcnt(0)
	s_add_u32 s0, s16, s14
	s_addc_u32 s1, s17, s15
	v_add_co_u32 v4, s2, s0, v3
	s_delay_alu instid0(VALU_DEP_1) | instskip(SKIP_1) | instid1(VALU_DEP_2)
	v_add_co_ci_u32_e64 v5, null, s1, 0, s2
	s_lshr_b32 s13, s12, 16
	v_add_co_u32 v1, vcc_lo, v4, 0x2000
	s_delay_alu instid0(VALU_DEP_2)
	v_add_co_ci_u32_e32 v2, vcc_lo, 0, v5, vcc_lo
	v_add_co_u32 v4, vcc_lo, 0x3000, v4
	s_clause 0x1
	global_load_b64 v[6:7], v3, s[0:1]
	global_load_b64 v[8:9], v[1:2], off offset:-4096
	v_add_co_ci_u32_e32 v5, vcc_lo, 0, v5, vcc_lo
	s_clause 0x1
	global_load_b64 v[2:3], v[1:2], off
	global_load_b64 v[4:5], v[4:5], off
	v_cmp_gt_i32_e32 vcc_lo, 0, v14
	v_and_b32_e32 v1, 3, v10
	v_mad_u32_u24 v11, v0, s13, v11
	s_and_b32 s12, s12, 0xffff
	v_cmp_eq_u32_e64 s0, 0, v10
	v_cndmask_b32_e32 v13, v14, v10, vcc_lo
	v_lshrrev_b32_e32 v14, 3, v18
	v_mul_u32_u24_e32 v19, 28, v18
	v_lshlrev_b32_e32 v15, 2, v18
	v_cmp_eq_u32_e64 s1, 3, v1
	v_cmp_eq_u32_e64 s2, 2, v1
	v_and_b32_e32 v39, 60, v14
	v_cmp_eq_u32_e64 s3, 1, v1
	v_lshlrev_b32_e32 v37, 5, v18
	v_mad_u64_u32 v[0:1], null, v11, s12, v[18:19]
	v_and_or_b32 v1, 0x780, v15, v10
	v_or_b32_e32 v12, 31, v18
	s_delay_alu instid0(VALU_DEP_4)
	v_mad_i32_i24 v41, 0xffffffe4, v18, v37
	v_or_b32_e32 v34, 32, v33
	v_or_b32_e32 v35, 64, v33
	;; [unrolled: 1-line block ×3, first 2 shown]
	v_cmp_eq_u32_e64 s12, v12, v18
	v_cmp_gt_u32_e64 s9, 16, v18
	v_cmp_lt_u32_e64 s10, 31, v18
	v_cmp_eq_u32_e64 s11, 0, v18
	v_add_nc_u32_e32 v38, 64, v37
	v_lshlrev_b32_e32 v40, 2, v13
	v_add_nc_u32_e32 v42, -4, v39
	v_lshlrev_b32_e32 v43, 3, v1
	v_lshrrev_b32_e32 v44, 5, v0
	v_add_nc_u32_e32 v45, v41, v19
	s_mov_b32 s16, s21
	s_mov_b32 s17, s21
	;; [unrolled: 1-line block ×3, first 2 shown]
	s_waitcnt vmcnt(3)
	v_add_co_u32 v14, vcc_lo, v6, 1
	v_add_co_ci_u32_e32 v15, vcc_lo, 0, v7, vcc_lo
	s_waitcnt vmcnt(2)
	v_add_co_u32 v16, vcc_lo, v8, 1
	v_add_co_ci_u32_e32 v17, vcc_lo, 0, v9, vcc_lo
	;; [unrolled: 3-line block ×4, first 2 shown]
	s_branch .LBB141_2
.LBB141_1:                              ;   in Loop: Header=BB141_2 Depth=1
	v_lshlrev_b32_e32 v0, 3, v50
	v_lshlrev_b32_e32 v1, 3, v49
	;; [unrolled: 1-line block ×4, first 2 shown]
	s_barrier
	buffer_gl0_inv
	ds_store_b64 v0, v[16:17]
	ds_store_b64 v1, v[31:32]
	;; [unrolled: 1-line block ×4, first 2 shown]
	s_waitcnt lgkmcnt(0)
	s_barrier
	buffer_gl0_inv
	ds_load_2addr_b64 v[6:9], v45 offset1:1
	ds_load_2addr_b64 v[2:5], v45 offset0:2 offset1:3
	s_waitcnt lgkmcnt(0)
	s_barrier
	buffer_gl0_inv
	ds_store_b64 v0, v[23:24]
	ds_store_b64 v1, v[21:22]
	;; [unrolled: 1-line block ×4, first 2 shown]
	s_waitcnt lgkmcnt(0)
	s_barrier
	buffer_gl0_inv
	ds_load_2addr_b64 v[14:17], v45 offset1:1
	ds_load_2addr_b64 v[10:13], v45 offset0:2 offset1:3
	s_add_i32 s24, s24, 1
	s_delay_alu instid0(SALU_CYCLE_1)
	s_cmp_lg_u32 s24, 10
	v_xor_b32_e32 v7, 0x80000000, v7
	v_xor_b32_e32 v9, 0x80000000, v9
	;; [unrolled: 1-line block ×4, first 2 shown]
	s_cbranch_scc0 .LBB141_20
.LBB141_2:                              ; =>This Loop Header: Depth=1
                                        ;     Child Loop BB141_4 Depth 2
	v_xor_b32_e32 v7, 0x80000000, v7
	v_xor_b32_e32 v9, 0x80000000, v9
	ds_bpermute_b32 v0, v33, v6
	ds_bpermute_b32 v1, v33, v8
	v_xor_b32_e32 v3, 0x80000000, v3
	ds_bpermute_b32 v19, v33, v7
	ds_bpermute_b32 v20, v33, v9
	;; [unrolled: 1-line block ×6, first 2 shown]
	v_xor_b32_e32 v25, 0x80000000, v5
	ds_bpermute_b32 v5, v34, v6
	ds_bpermute_b32 v26, v34, v8
	;; [unrolled: 1-line block ×11, first 2 shown]
	s_waitcnt lgkmcnt(17)
	v_cndmask_b32_e64 v0, v0, v1, s3
	ds_bpermute_b32 v47, v35, v2
	ds_bpermute_b32 v48, v35, v4
	s_waitcnt lgkmcnt(17)
	v_cndmask_b32_e64 v1, v19, v20, s3
	ds_bpermute_b32 v19, v35, v7
	ds_bpermute_b32 v20, v35, v9
	s_waitcnt lgkmcnt(18)
	v_cndmask_b32_e64 v0, v0, v21, s2
	s_waitcnt lgkmcnt(15)
	v_cndmask_b32_e64 v21, v23, v24, s3
	v_cndmask_b32_e64 v1, v1, v22, s2
	ds_bpermute_b32 v49, v34, v25
	s_waitcnt lgkmcnt(14)
	v_cndmask_b32_e64 v5, v5, v26, s3
	s_waitcnt lgkmcnt(13)
	v_cndmask_b32_e64 v0, v0, v27, s1
	;; [unrolled: 2-line block ×4, first 2 shown]
	ds_bpermute_b32 v7, v36, v7
	ds_bpermute_b32 v9, v36, v9
	;; [unrolled: 1-line block ×7, first 2 shown]
	s_waitcnt lgkmcnt(16)
	v_cndmask_b32_e64 v2, v32, v46, s3
	ds_bpermute_b32 v32, v36, v4
	ds_bpermute_b32 v22, v35, v3
	;; [unrolled: 1-line block ×3, first 2 shown]
	s_waitcnt lgkmcnt(11)
	v_cndmask_b32_e64 v4, v19, v20, s3
	ds_bpermute_b32 v19, v34, v14
	ds_bpermute_b32 v20, v34, v16
	;; [unrolled: 1-line block ×5, first 2 shown]
	v_cndmask_b32_e64 v3, v5, v30, s2
	v_cndmask_b32_e64 v6, v6, v8, s3
	;; [unrolled: 1-line block ×3, first 2 shown]
	ds_bpermute_b32 v30, v35, v17
	s_waitcnt lgkmcnt(14)
	v_cndmask_b32_e64 v7, v7, v9, s3
	v_cndmask_b32_e64 v2, v3, v31, s1
	;; [unrolled: 1-line block ×3, first 2 shown]
	s_waitcnt lgkmcnt(13)
	v_cndmask_b32_e64 v6, v6, v24, s2
	s_waitcnt lgkmcnt(10)
	v_cndmask_b32_e64 v8, v26, v28, s3
	;; [unrolled: 2-line block ×3, first 2 shown]
	ds_bpermute_b32 v21, v36, v25
	ds_bpermute_b32 v24, v34, v15
	;; [unrolled: 1-line block ×6, first 2 shown]
	s_waitcnt lgkmcnt(10)
	v_cndmask_b32_e64 v19, v19, v20, s3
	ds_bpermute_b32 v20, v34, v10
	ds_bpermute_b32 v14, v36, v14
	;; [unrolled: 1-line block ×5, first 2 shown]
	v_cndmask_b32_e64 v22, v4, v22, s2
	v_cndmask_b32_e64 v6, v6, v32, s1
	;; [unrolled: 1-line block ×3, first 2 shown]
	ds_bpermute_b32 v26, v34, v11
	ds_bpermute_b32 v32, v35, v11
	ds_bpermute_b32 v46, v35, v10
	ds_bpermute_b32 v47, v36, v11
	ds_bpermute_b32 v10, v36, v10
	v_cndmask_b32_e64 v4, v5, v48, s1
	s_waitcnt lgkmcnt(19)
	v_cndmask_b32_e64 v5, v22, v23, s1
	s_waitcnt lgkmcnt(18)
	v_cndmask_b32_e64 v7, v7, v50, s2
	s_waitcnt lgkmcnt(17)
	v_cndmask_b32_e64 v9, v9, v51, s2
	ds_bpermute_b32 v22, v33, v12
	ds_bpermute_b32 v23, v33, v13
	;; [unrolled: 1-line block ×8, first 2 shown]
	s_waitcnt lgkmcnt(21)
	v_cndmask_b32_e64 v11, v24, v25, s3
	s_waitcnt lgkmcnt(17)
	v_cndmask_b32_e64 v12, v19, v20, s2
	v_cndmask_b32_e64 v13, v28, v30, s3
	;; [unrolled: 1-line block ×3, first 2 shown]
	s_waitcnt lgkmcnt(14)
	v_cndmask_b32_e64 v15, v15, v17, s3
	s_waitcnt lgkmcnt(13)
	v_cndmask_b32_e64 v14, v14, v16, s3
	;; [unrolled: 2-line block ×7, first 2 shown]
	v_cndmask_b32_e64 v7, v7, v21, s1
	s_waitcnt lgkmcnt(7)
	v_cndmask_b32_e64 v8, v8, v22, s1
	s_waitcnt lgkmcnt(6)
	;; [unrolled: 2-line block ×8, first 2 shown]
	v_cndmask_b32_e64 v14, v14, v52, s1
	s_mov_b64 s[22:23], 0
	s_barrier
	s_branch .LBB141_4
.LBB141_3:                              ;   in Loop: Header=BB141_4 Depth=2
	v_lshlrev_b32_e32 v8, 3, v50
	v_lshlrev_b32_e32 v9, 3, v49
	;; [unrolled: 1-line block ×4, first 2 shown]
	s_barrier
	buffer_gl0_inv
	ds_store_b64 v8, v[16:17]
	ds_store_b64 v9, v[31:32]
	;; [unrolled: 1-line block ×4, first 2 shown]
	s_waitcnt lgkmcnt(0)
	s_barrier
	buffer_gl0_inv
	ds_load_2addr_b64 v[0:3], v43 offset1:32
	ds_load_2addr_b64 v[4:7], v43 offset0:64 offset1:96
	s_waitcnt lgkmcnt(0)
	s_barrier
	buffer_gl0_inv
	ds_store_b64 v8, v[23:24]
	ds_store_b64 v9, v[21:22]
	;; [unrolled: 1-line block ×4, first 2 shown]
	s_waitcnt lgkmcnt(0)
	s_barrier
	buffer_gl0_inv
	ds_load_2addr_b64 v[8:11], v43 offset1:32
	ds_load_2addr_b64 v[12:15], v43 offset0:64 offset1:96
	s_add_u32 s22, s22, 8
	s_addc_u32 s23, s23, 0
	s_waitcnt lgkmcnt(0)
	s_barrier
	s_cbranch_execz .LBB141_1
.LBB141_4:                              ;   Parent Loop BB141_2 Depth=1
                                        ; =>  This Inner Loop Header: Depth=2
	v_dual_mov_b32 v17, v1 :: v_dual_mov_b32 v16, v0
	buffer_gl0_inv
	v_mov_b32_e32 v28, v7
	v_mov_b32_e32 v30, v5
	;; [unrolled: 1-line block ×3, first 2 shown]
	v_lshrrev_b64 v[46:47], s22, v[16:17]
	v_mov_b32_e32 v27, v6
	v_mov_b32_e32 v29, v4
	s_delay_alu instid0(VALU_DEP_3)
	v_dual_mov_b32 v31, v2 :: v_dual_and_b32 v0, 1, v46
	v_lshlrev_b32_e32 v1, 30, v46
	v_lshlrev_b32_e32 v19, 29, v46
	;; [unrolled: 1-line block ×4, first 2 shown]
	v_add_co_u32 v0, s13, v0, -1
	s_delay_alu instid0(VALU_DEP_1)
	v_cndmask_b32_e64 v21, 0, 1, s13
	v_not_b32_e32 v25, v1
	v_cmp_gt_i32_e64 s13, 0, v1
	v_not_b32_e32 v1, v19
	v_lshlrev_b32_e32 v23, 26, v46
	v_cmp_ne_u32_e32 vcc_lo, 0, v21
	v_ashrrev_i32_e32 v25, 31, v25
	v_lshlrev_b32_e32 v24, 25, v46
	v_ashrrev_i32_e32 v1, 31, v1
	v_lshlrev_b32_e32 v21, 24, v46
	v_xor_b32_e32 v0, vcc_lo, v0
	v_cmp_gt_i32_e32 vcc_lo, 0, v19
	v_not_b32_e32 v19, v20
	v_xor_b32_e32 v25, s13, v25
	v_cmp_gt_i32_e64 s13, 0, v20
	v_and_b32_e32 v0, exec_lo, v0
	v_not_b32_e32 v20, v22
	v_ashrrev_i32_e32 v19, 31, v19
	v_xor_b32_e32 v1, vcc_lo, v1
	v_cmp_gt_i32_e32 vcc_lo, 0, v22
	v_and_b32_e32 v0, v0, v25
	v_not_b32_e32 v22, v23
	v_ashrrev_i32_e32 v20, 31, v20
	v_xor_b32_e32 v19, s13, v19
	v_cmp_gt_i32_e64 s13, 0, v23
	v_and_b32_e32 v0, v0, v1
	v_not_b32_e32 v1, v24
	v_ashrrev_i32_e32 v22, 31, v22
	v_xor_b32_e32 v20, vcc_lo, v20
	v_mov_b32_e32 v26, v15
	v_dual_mov_b32 v25, v14 :: v_dual_and_b32 v0, v0, v19
	v_cmp_gt_i32_e32 vcc_lo, 0, v24
	v_ashrrev_i32_e32 v1, 31, v1
	v_xor_b32_e32 v22, s13, v22
	s_delay_alu instid0(VALU_DEP_4)
	v_and_b32_e32 v0, v0, v20
	v_mov_b32_e32 v24, v9
	v_not_b32_e32 v19, v21
	v_cmp_gt_i32_e64 s13, 0, v21
	v_xor_b32_e32 v1, vcc_lo, v1
	v_and_b32_e32 v0, v0, v22
	v_and_b32_e32 v5, 0xff, v46
	v_ashrrev_i32_e32 v19, 31, v19
	v_dual_mov_b32 v23, v8 :: v_dual_mov_b32 v22, v11
	s_delay_alu instid0(VALU_DEP_4) | instskip(NEXT) | instid1(VALU_DEP_3)
	v_dual_mov_b32 v1, s20 :: v_dual_and_b32 v0, v0, v1
	v_xor_b32_e32 v3, s13, v19
	v_mov_b32_e32 v20, v13
	v_dual_mov_b32 v2, s21 :: v_dual_mov_b32 v21, v10
	v_mov_b32_e32 v19, v12
	s_delay_alu instid0(VALU_DEP_4)
	v_dual_mov_b32 v3, s16 :: v_dual_and_b32 v0, v0, v3
	v_mov_b32_e32 v4, s17
	ds_store_2addr_b64 v37, v[1:2], v[3:4] offset0:8 offset1:9
	ds_store_2addr_b64 v38, v[1:2], v[3:4] offset0:2 offset1:3
	v_mbcnt_lo_u32_b32 v8, v0, 0
	v_lshl_add_u32 v1, v5, 4, v44
	v_cmp_ne_u32_e64 s13, 0, v0
	s_waitcnt lgkmcnt(0)
	s_barrier
	v_cmp_eq_u32_e32 vcc_lo, 0, v8
	v_lshl_add_u32 v9, v1, 2, 64
	buffer_gl0_inv
	; wave barrier
	s_and_b32 s25, s13, vcc_lo
	s_delay_alu instid0(SALU_CYCLE_1)
	s_and_saveexec_b32 s13, s25
	s_cbranch_execz .LBB141_6
; %bb.5:                                ;   in Loop: Header=BB141_4 Depth=2
	v_bcnt_u32_b32 v0, v0, 0
	ds_store_b32 v9, v0
.LBB141_6:                              ;   in Loop: Header=BB141_4 Depth=2
	s_or_b32 exec_lo, exec_lo, s13
	v_lshrrev_b64 v[0:1], s22, v[31:32]
	; wave barrier
	s_delay_alu instid0(VALU_DEP_1)
	v_and_b32_e32 v2, 1, v0
	v_lshlrev_b32_e32 v3, 30, v0
	v_lshlrev_b32_e32 v4, 29, v0
	;; [unrolled: 1-line block ×4, first 2 shown]
	v_add_co_u32 v2, s13, v2, -1
	s_delay_alu instid0(VALU_DEP_1)
	v_cndmask_b32_e64 v6, 0, 1, s13
	v_not_b32_e32 v12, v3
	v_cmp_gt_i32_e64 s13, 0, v3
	v_not_b32_e32 v3, v4
	v_lshlrev_b32_e32 v10, 26, v0
	v_cmp_ne_u32_e32 vcc_lo, 0, v6
	v_ashrrev_i32_e32 v6, 31, v12
	v_lshlrev_b32_e32 v11, 25, v0
	v_ashrrev_i32_e32 v3, 31, v3
	v_and_b32_e32 v1, 0xff, v0
	v_xor_b32_e32 v2, vcc_lo, v2
	v_cmp_gt_i32_e32 vcc_lo, 0, v4
	v_not_b32_e32 v4, v5
	v_xor_b32_e32 v6, s13, v6
	v_cmp_gt_i32_e64 s13, 0, v5
	v_and_b32_e32 v2, exec_lo, v2
	v_not_b32_e32 v5, v7
	v_ashrrev_i32_e32 v4, 31, v4
	v_xor_b32_e32 v3, vcc_lo, v3
	v_cmp_gt_i32_e32 vcc_lo, 0, v7
	v_and_b32_e32 v2, v2, v6
	v_not_b32_e32 v6, v10
	v_ashrrev_i32_e32 v5, 31, v5
	v_xor_b32_e32 v4, s13, v4
	v_lshlrev_b32_e32 v0, 24, v0
	v_and_b32_e32 v2, v2, v3
	v_cmp_gt_i32_e64 s13, 0, v10
	v_not_b32_e32 v3, v11
	v_ashrrev_i32_e32 v6, 31, v6
	v_xor_b32_e32 v5, vcc_lo, v5
	v_and_b32_e32 v2, v2, v4
	v_cmp_gt_i32_e32 vcc_lo, 0, v11
	v_not_b32_e32 v4, v0
	v_ashrrev_i32_e32 v3, 31, v3
	v_xor_b32_e32 v6, s13, v6
	v_and_b32_e32 v2, v2, v5
	v_lshlrev_b32_e32 v1, 4, v1
	v_cmp_gt_i32_e64 s13, 0, v0
	v_ashrrev_i32_e32 v0, 31, v4
	v_xor_b32_e32 v3, vcc_lo, v3
	v_and_b32_e32 v2, v2, v6
	v_add_lshl_u32 v1, v1, v44, 2
	s_delay_alu instid0(VALU_DEP_4) | instskip(NEXT) | instid1(VALU_DEP_3)
	v_xor_b32_e32 v0, s13, v0
	v_and_b32_e32 v2, v2, v3
	ds_load_b32 v10, v1 offset:64
	v_add_nc_u32_e32 v12, 64, v1
	; wave barrier
	v_and_b32_e32 v0, v2, v0
	s_delay_alu instid0(VALU_DEP_1) | instskip(SKIP_1) | instid1(VALU_DEP_2)
	v_mbcnt_lo_u32_b32 v11, v0, 0
	v_cmp_ne_u32_e64 s13, 0, v0
	v_cmp_eq_u32_e32 vcc_lo, 0, v11
	s_delay_alu instid0(VALU_DEP_2) | instskip(NEXT) | instid1(SALU_CYCLE_1)
	s_and_b32 s25, s13, vcc_lo
	s_and_saveexec_b32 s13, s25
	s_cbranch_execz .LBB141_8
; %bb.7:                                ;   in Loop: Header=BB141_4 Depth=2
	s_waitcnt lgkmcnt(0)
	v_bcnt_u32_b32 v0, v0, v10
	ds_store_b32 v12, v0
.LBB141_8:                              ;   in Loop: Header=BB141_4 Depth=2
	s_or_b32 exec_lo, exec_lo, s13
	v_lshrrev_b64 v[0:1], s22, v[29:30]
	; wave barrier
	s_delay_alu instid0(VALU_DEP_1)
	v_and_b32_e32 v2, 1, v0
	v_lshlrev_b32_e32 v3, 30, v0
	v_lshlrev_b32_e32 v4, 29, v0
	;; [unrolled: 1-line block ×4, first 2 shown]
	v_add_co_u32 v2, s13, v2, -1
	s_delay_alu instid0(VALU_DEP_1)
	v_cndmask_b32_e64 v6, 0, 1, s13
	v_not_b32_e32 v15, v3
	v_cmp_gt_i32_e64 s13, 0, v3
	v_not_b32_e32 v3, v4
	v_lshlrev_b32_e32 v13, 26, v0
	v_cmp_ne_u32_e32 vcc_lo, 0, v6
	v_ashrrev_i32_e32 v6, 31, v15
	v_lshlrev_b32_e32 v14, 25, v0
	v_ashrrev_i32_e32 v3, 31, v3
	v_and_b32_e32 v1, 0xff, v0
	v_xor_b32_e32 v2, vcc_lo, v2
	v_cmp_gt_i32_e32 vcc_lo, 0, v4
	v_not_b32_e32 v4, v5
	v_xor_b32_e32 v6, s13, v6
	v_cmp_gt_i32_e64 s13, 0, v5
	v_and_b32_e32 v2, exec_lo, v2
	v_not_b32_e32 v5, v7
	v_ashrrev_i32_e32 v4, 31, v4
	v_xor_b32_e32 v3, vcc_lo, v3
	v_cmp_gt_i32_e32 vcc_lo, 0, v7
	v_and_b32_e32 v2, v2, v6
	v_not_b32_e32 v6, v13
	v_ashrrev_i32_e32 v5, 31, v5
	v_xor_b32_e32 v4, s13, v4
	v_lshlrev_b32_e32 v0, 24, v0
	v_and_b32_e32 v2, v2, v3
	v_cmp_gt_i32_e64 s13, 0, v13
	v_not_b32_e32 v3, v14
	v_ashrrev_i32_e32 v6, 31, v6
	v_xor_b32_e32 v5, vcc_lo, v5
	v_and_b32_e32 v2, v2, v4
	v_cmp_gt_i32_e32 vcc_lo, 0, v14
	v_not_b32_e32 v4, v0
	v_ashrrev_i32_e32 v3, 31, v3
	v_xor_b32_e32 v6, s13, v6
	v_and_b32_e32 v2, v2, v5
	v_lshlrev_b32_e32 v1, 4, v1
	v_cmp_gt_i32_e64 s13, 0, v0
	v_ashrrev_i32_e32 v0, 31, v4
	v_xor_b32_e32 v3, vcc_lo, v3
	v_and_b32_e32 v2, v2, v6
	v_add_lshl_u32 v1, v1, v44, 2
	s_delay_alu instid0(VALU_DEP_4) | instskip(NEXT) | instid1(VALU_DEP_3)
	v_xor_b32_e32 v0, s13, v0
	v_and_b32_e32 v2, v2, v3
	ds_load_b32 v13, v1 offset:64
	v_add_nc_u32_e32 v15, 64, v1
	; wave barrier
	v_and_b32_e32 v0, v2, v0
	s_delay_alu instid0(VALU_DEP_1) | instskip(SKIP_1) | instid1(VALU_DEP_2)
	v_mbcnt_lo_u32_b32 v14, v0, 0
	v_cmp_ne_u32_e64 s13, 0, v0
	v_cmp_eq_u32_e32 vcc_lo, 0, v14
	s_delay_alu instid0(VALU_DEP_2) | instskip(NEXT) | instid1(SALU_CYCLE_1)
	s_and_b32 s25, s13, vcc_lo
	s_and_saveexec_b32 s13, s25
	s_cbranch_execz .LBB141_10
; %bb.9:                                ;   in Loop: Header=BB141_4 Depth=2
	s_waitcnt lgkmcnt(0)
	v_bcnt_u32_b32 v0, v0, v13
	ds_store_b32 v15, v0
.LBB141_10:                             ;   in Loop: Header=BB141_4 Depth=2
	s_or_b32 exec_lo, exec_lo, s13
	v_lshrrev_b64 v[0:1], s22, v[27:28]
	; wave barrier
	s_delay_alu instid0(VALU_DEP_1)
	v_and_b32_e32 v2, 1, v0
	v_lshlrev_b32_e32 v3, 30, v0
	v_lshlrev_b32_e32 v4, 29, v0
	;; [unrolled: 1-line block ×4, first 2 shown]
	v_add_co_u32 v2, s13, v2, -1
	s_delay_alu instid0(VALU_DEP_1)
	v_cndmask_b32_e64 v6, 0, 1, s13
	v_not_b32_e32 v48, v3
	v_cmp_gt_i32_e64 s13, 0, v3
	v_not_b32_e32 v3, v4
	v_lshlrev_b32_e32 v46, 26, v0
	v_cmp_ne_u32_e32 vcc_lo, 0, v6
	v_ashrrev_i32_e32 v6, 31, v48
	v_lshlrev_b32_e32 v47, 25, v0
	v_ashrrev_i32_e32 v3, 31, v3
	v_and_b32_e32 v1, 0xff, v0
	v_xor_b32_e32 v2, vcc_lo, v2
	v_cmp_gt_i32_e32 vcc_lo, 0, v4
	v_not_b32_e32 v4, v5
	v_xor_b32_e32 v6, s13, v6
	v_cmp_gt_i32_e64 s13, 0, v5
	v_and_b32_e32 v2, exec_lo, v2
	v_not_b32_e32 v5, v7
	v_ashrrev_i32_e32 v4, 31, v4
	v_xor_b32_e32 v3, vcc_lo, v3
	v_cmp_gt_i32_e32 vcc_lo, 0, v7
	v_and_b32_e32 v2, v2, v6
	v_not_b32_e32 v6, v46
	v_ashrrev_i32_e32 v5, 31, v5
	v_xor_b32_e32 v4, s13, v4
	v_lshlrev_b32_e32 v0, 24, v0
	v_and_b32_e32 v2, v2, v3
	v_cmp_gt_i32_e64 s13, 0, v46
	v_not_b32_e32 v3, v47
	v_ashrrev_i32_e32 v6, 31, v6
	v_xor_b32_e32 v5, vcc_lo, v5
	v_and_b32_e32 v2, v2, v4
	v_cmp_gt_i32_e32 vcc_lo, 0, v47
	v_not_b32_e32 v4, v0
	v_ashrrev_i32_e32 v3, 31, v3
	v_xor_b32_e32 v6, s13, v6
	v_and_b32_e32 v2, v2, v5
	v_lshlrev_b32_e32 v1, 4, v1
	v_cmp_gt_i32_e64 s13, 0, v0
	v_ashrrev_i32_e32 v0, 31, v4
	v_xor_b32_e32 v3, vcc_lo, v3
	v_and_b32_e32 v2, v2, v6
	v_add_lshl_u32 v1, v1, v44, 2
	s_delay_alu instid0(VALU_DEP_4) | instskip(NEXT) | instid1(VALU_DEP_3)
	v_xor_b32_e32 v0, s13, v0
	v_and_b32_e32 v2, v2, v3
	ds_load_b32 v46, v1 offset:64
	v_add_nc_u32_e32 v48, 64, v1
	; wave barrier
	v_and_b32_e32 v0, v2, v0
	s_delay_alu instid0(VALU_DEP_1) | instskip(SKIP_1) | instid1(VALU_DEP_2)
	v_mbcnt_lo_u32_b32 v47, v0, 0
	v_cmp_ne_u32_e64 s13, 0, v0
	v_cmp_eq_u32_e32 vcc_lo, 0, v47
	s_delay_alu instid0(VALU_DEP_2) | instskip(NEXT) | instid1(SALU_CYCLE_1)
	s_and_b32 s25, s13, vcc_lo
	s_and_saveexec_b32 s13, s25
	s_cbranch_execz .LBB141_12
; %bb.11:                               ;   in Loop: Header=BB141_4 Depth=2
	s_waitcnt lgkmcnt(0)
	v_bcnt_u32_b32 v0, v0, v46
	ds_store_b32 v48, v0
.LBB141_12:                             ;   in Loop: Header=BB141_4 Depth=2
	s_or_b32 exec_lo, exec_lo, s13
	; wave barrier
	s_waitcnt lgkmcnt(0)
	s_barrier
	buffer_gl0_inv
	ds_load_2addr_b64 v[4:7], v37 offset0:8 offset1:9
	ds_load_2addr_b64 v[0:3], v38 offset0:2 offset1:3
	s_waitcnt lgkmcnt(1)
	v_add_nc_u32_e32 v49, v5, v4
	s_delay_alu instid0(VALU_DEP_1) | instskip(SKIP_1) | instid1(VALU_DEP_1)
	v_add3_u32 v49, v49, v6, v7
	s_waitcnt lgkmcnt(0)
	v_add3_u32 v49, v49, v0, v1
	s_delay_alu instid0(VALU_DEP_1) | instskip(NEXT) | instid1(VALU_DEP_1)
	v_add3_u32 v3, v49, v2, v3
	v_mov_b32_dpp v49, v3 row_shr:1 row_mask:0xf bank_mask:0xf
	s_delay_alu instid0(VALU_DEP_1) | instskip(NEXT) | instid1(VALU_DEP_1)
	v_cndmask_b32_e64 v49, v49, 0, s4
	v_add_nc_u32_e32 v3, v49, v3
	s_delay_alu instid0(VALU_DEP_1) | instskip(NEXT) | instid1(VALU_DEP_1)
	v_mov_b32_dpp v49, v3 row_shr:2 row_mask:0xf bank_mask:0xf
	v_cndmask_b32_e64 v49, 0, v49, s5
	s_delay_alu instid0(VALU_DEP_1) | instskip(NEXT) | instid1(VALU_DEP_1)
	v_add_nc_u32_e32 v3, v3, v49
	v_mov_b32_dpp v49, v3 row_shr:4 row_mask:0xf bank_mask:0xf
	s_delay_alu instid0(VALU_DEP_1) | instskip(NEXT) | instid1(VALU_DEP_1)
	v_cndmask_b32_e64 v49, 0, v49, s6
	v_add_nc_u32_e32 v3, v3, v49
	s_delay_alu instid0(VALU_DEP_1) | instskip(NEXT) | instid1(VALU_DEP_1)
	v_mov_b32_dpp v49, v3 row_shr:8 row_mask:0xf bank_mask:0xf
	v_cndmask_b32_e64 v49, 0, v49, s7
	s_delay_alu instid0(VALU_DEP_1) | instskip(SKIP_3) | instid1(VALU_DEP_1)
	v_add_nc_u32_e32 v3, v3, v49
	ds_swizzle_b32 v49, v3 offset:swizzle(BROADCAST,32,15)
	s_waitcnt lgkmcnt(0)
	v_cndmask_b32_e64 v49, v49, 0, s8
	v_add_nc_u32_e32 v3, v3, v49
	s_and_saveexec_b32 s13, s12
	s_cbranch_execz .LBB141_14
; %bb.13:                               ;   in Loop: Header=BB141_4 Depth=2
	ds_store_b32 v39, v3
.LBB141_14:                             ;   in Loop: Header=BB141_4 Depth=2
	s_or_b32 exec_lo, exec_lo, s13
	s_waitcnt lgkmcnt(0)
	s_barrier
	buffer_gl0_inv
	s_and_saveexec_b32 s13, s9
	s_cbranch_execz .LBB141_16
; %bb.15:                               ;   in Loop: Header=BB141_4 Depth=2
	ds_load_b32 v49, v41
	s_waitcnt lgkmcnt(0)
	v_mov_b32_dpp v50, v49 row_shr:1 row_mask:0xf bank_mask:0xf
	s_delay_alu instid0(VALU_DEP_1) | instskip(NEXT) | instid1(VALU_DEP_1)
	v_cndmask_b32_e64 v50, v50, 0, s4
	v_add_nc_u32_e32 v49, v50, v49
	s_delay_alu instid0(VALU_DEP_1) | instskip(NEXT) | instid1(VALU_DEP_1)
	v_mov_b32_dpp v50, v49 row_shr:2 row_mask:0xf bank_mask:0xf
	v_cndmask_b32_e64 v50, 0, v50, s5
	s_delay_alu instid0(VALU_DEP_1) | instskip(NEXT) | instid1(VALU_DEP_1)
	v_add_nc_u32_e32 v49, v49, v50
	v_mov_b32_dpp v50, v49 row_shr:4 row_mask:0xf bank_mask:0xf
	s_delay_alu instid0(VALU_DEP_1) | instskip(NEXT) | instid1(VALU_DEP_1)
	v_cndmask_b32_e64 v50, 0, v50, s6
	v_add_nc_u32_e32 v49, v49, v50
	s_delay_alu instid0(VALU_DEP_1) | instskip(NEXT) | instid1(VALU_DEP_1)
	v_mov_b32_dpp v50, v49 row_shr:8 row_mask:0xf bank_mask:0xf
	v_cndmask_b32_e64 v50, 0, v50, s7
	s_delay_alu instid0(VALU_DEP_1)
	v_add_nc_u32_e32 v49, v49, v50
	ds_store_b32 v41, v49
.LBB141_16:                             ;   in Loop: Header=BB141_4 Depth=2
	s_or_b32 exec_lo, exec_lo, s13
	v_mov_b32_e32 v49, 0
	s_waitcnt lgkmcnt(0)
	s_barrier
	buffer_gl0_inv
	s_and_saveexec_b32 s13, s10
	s_cbranch_execz .LBB141_18
; %bb.17:                               ;   in Loop: Header=BB141_4 Depth=2
	ds_load_b32 v49, v42
.LBB141_18:                             ;   in Loop: Header=BB141_4 Depth=2
	s_or_b32 exec_lo, exec_lo, s13
	s_waitcnt lgkmcnt(0)
	v_add_nc_u32_e32 v3, v49, v3
	s_cmp_gt_u32 s22, 55
	ds_bpermute_b32 v3, v40, v3
	s_waitcnt lgkmcnt(0)
	v_cndmask_b32_e64 v3, v3, v49, s0
	s_delay_alu instid0(VALU_DEP_1) | instskip(NEXT) | instid1(VALU_DEP_1)
	v_cndmask_b32_e64 v3, v3, 0, s11
	v_add_nc_u32_e32 v4, v3, v4
	s_delay_alu instid0(VALU_DEP_1) | instskip(NEXT) | instid1(VALU_DEP_1)
	v_add_nc_u32_e32 v5, v4, v5
	v_add_nc_u32_e32 v6, v5, v6
	s_delay_alu instid0(VALU_DEP_1) | instskip(NEXT) | instid1(VALU_DEP_1)
	v_add_nc_u32_e32 v49, v6, v7
	;; [unrolled: 3-line block ×3, first 2 shown]
	v_add_nc_u32_e32 v1, v0, v2
	ds_store_2addr_b64 v37, v[3:4], v[5:6] offset0:8 offset1:9
	ds_store_2addr_b64 v38, v[49:50], v[0:1] offset0:2 offset1:3
	s_waitcnt lgkmcnt(0)
	s_barrier
	buffer_gl0_inv
	ds_load_b32 v0, v9
	ds_load_b32 v1, v12
	;; [unrolled: 1-line block ×4, first 2 shown]
	s_waitcnt lgkmcnt(3)
	v_add_nc_u32_e32 v50, v0, v8
	s_waitcnt lgkmcnt(2)
	v_add3_u32 v49, v11, v10, v1
	s_waitcnt lgkmcnt(1)
	v_add3_u32 v48, v14, v13, v2
	s_waitcnt lgkmcnt(0)
	v_add3_u32 v46, v47, v46, v3
	s_cbranch_scc0 .LBB141_3
; %bb.19:                               ;   in Loop: Header=BB141_2 Depth=1
                                        ; implicit-def: $vgpr6_vgpr7
                                        ; implicit-def: $vgpr2_vgpr3
                                        ; implicit-def: $vgpr8_vgpr9
                                        ; implicit-def: $vgpr12_vgpr13
                                        ; implicit-def: $sgpr22_sgpr23
	s_branch .LBB141_1
.LBB141_20:
	s_waitcnt lgkmcnt(1)
	v_add_co_u32 v0, vcc_lo, v14, v6
	v_add_co_ci_u32_e32 v1, vcc_lo, v15, v7, vcc_lo
	v_lshlrev_b32_e32 v14, 3, v18
	v_add_co_u32 v6, vcc_lo, v16, v8
	v_add_co_ci_u32_e32 v7, vcc_lo, v17, v9, vcc_lo
	s_add_u32 s0, s18, s14
	s_waitcnt lgkmcnt(0)
	v_add_co_u32 v2, vcc_lo, v10, v2
	s_addc_u32 s1, s19, s15
	v_add_co_u32 v10, s2, s0, v14
	v_add_co_ci_u32_e32 v3, vcc_lo, v11, v3, vcc_lo
	v_add_co_ci_u32_e64 v11, null, s1, 0, s2
	v_add_co_u32 v4, vcc_lo, v12, v4
	v_add_co_ci_u32_e32 v5, vcc_lo, v13, v5, vcc_lo
	v_add_co_u32 v8, vcc_lo, v10, 0x2000
	s_delay_alu instid0(VALU_DEP_4)
	v_add_co_ci_u32_e32 v9, vcc_lo, 0, v11, vcc_lo
	v_add_co_u32 v10, vcc_lo, 0x3000, v10
	v_add_co_ci_u32_e32 v11, vcc_lo, 0, v11, vcc_lo
	s_clause 0x3
	global_store_b64 v14, v[0:1], s[0:1]
	global_store_b64 v[8:9], v[2:3], off
	global_store_b64 v[8:9], v[6:7], off offset:-4096
	global_store_b64 v[10:11], v[4:5], off
	s_nop 0
	s_sendmsg sendmsg(MSG_DEALLOC_VGPRS)
	s_endpgm
	.section	.rodata,"a",@progbits
	.p2align	6, 0x0
	.amdhsa_kernel _Z17sort_pairs_kernelI22helper_blocked_blockedxLj512ELj4ELj10EEvPKT0_PS1_
		.amdhsa_group_segment_fixed_size 16448
		.amdhsa_private_segment_fixed_size 0
		.amdhsa_kernarg_size 272
		.amdhsa_user_sgpr_count 15
		.amdhsa_user_sgpr_dispatch_ptr 0
		.amdhsa_user_sgpr_queue_ptr 0
		.amdhsa_user_sgpr_kernarg_segment_ptr 1
		.amdhsa_user_sgpr_dispatch_id 0
		.amdhsa_user_sgpr_private_segment_size 0
		.amdhsa_wavefront_size32 1
		.amdhsa_uses_dynamic_stack 0
		.amdhsa_enable_private_segment 0
		.amdhsa_system_sgpr_workgroup_id_x 1
		.amdhsa_system_sgpr_workgroup_id_y 0
		.amdhsa_system_sgpr_workgroup_id_z 0
		.amdhsa_system_sgpr_workgroup_info 0
		.amdhsa_system_vgpr_workitem_id 2
		.amdhsa_next_free_vgpr 53
		.amdhsa_next_free_sgpr 26
		.amdhsa_reserve_vcc 1
		.amdhsa_float_round_mode_32 0
		.amdhsa_float_round_mode_16_64 0
		.amdhsa_float_denorm_mode_32 3
		.amdhsa_float_denorm_mode_16_64 3
		.amdhsa_dx10_clamp 1
		.amdhsa_ieee_mode 1
		.amdhsa_fp16_overflow 0
		.amdhsa_workgroup_processor_mode 1
		.amdhsa_memory_ordered 1
		.amdhsa_forward_progress 0
		.amdhsa_shared_vgpr_count 0
		.amdhsa_exception_fp_ieee_invalid_op 0
		.amdhsa_exception_fp_denorm_src 0
		.amdhsa_exception_fp_ieee_div_zero 0
		.amdhsa_exception_fp_ieee_overflow 0
		.amdhsa_exception_fp_ieee_underflow 0
		.amdhsa_exception_fp_ieee_inexact 0
		.amdhsa_exception_int_div_zero 0
	.end_amdhsa_kernel
	.section	.text._Z17sort_pairs_kernelI22helper_blocked_blockedxLj512ELj4ELj10EEvPKT0_PS1_,"axG",@progbits,_Z17sort_pairs_kernelI22helper_blocked_blockedxLj512ELj4ELj10EEvPKT0_PS1_,comdat
.Lfunc_end141:
	.size	_Z17sort_pairs_kernelI22helper_blocked_blockedxLj512ELj4ELj10EEvPKT0_PS1_, .Lfunc_end141-_Z17sort_pairs_kernelI22helper_blocked_blockedxLj512ELj4ELj10EEvPKT0_PS1_
                                        ; -- End function
	.section	.AMDGPU.csdata,"",@progbits
; Kernel info:
; codeLenInByte = 4228
; NumSgprs: 28
; NumVgprs: 53
; ScratchSize: 0
; MemoryBound: 0
; FloatMode: 240
; IeeeMode: 1
; LDSByteSize: 16448 bytes/workgroup (compile time only)
; SGPRBlocks: 3
; VGPRBlocks: 6
; NumSGPRsForWavesPerEU: 28
; NumVGPRsForWavesPerEU: 53
; Occupancy: 16
; WaveLimiterHint : 1
; COMPUTE_PGM_RSRC2:SCRATCH_EN: 0
; COMPUTE_PGM_RSRC2:USER_SGPR: 15
; COMPUTE_PGM_RSRC2:TRAP_HANDLER: 0
; COMPUTE_PGM_RSRC2:TGID_X_EN: 1
; COMPUTE_PGM_RSRC2:TGID_Y_EN: 0
; COMPUTE_PGM_RSRC2:TGID_Z_EN: 0
; COMPUTE_PGM_RSRC2:TIDIG_COMP_CNT: 2
	.section	.text._Z16sort_keys_kernelI22helper_blocked_blockedxLj512ELj8ELj10EEvPKT0_PS1_,"axG",@progbits,_Z16sort_keys_kernelI22helper_blocked_blockedxLj512ELj8ELj10EEvPKT0_PS1_,comdat
	.protected	_Z16sort_keys_kernelI22helper_blocked_blockedxLj512ELj8ELj10EEvPKT0_PS1_ ; -- Begin function _Z16sort_keys_kernelI22helper_blocked_blockedxLj512ELj8ELj10EEvPKT0_PS1_
	.globl	_Z16sort_keys_kernelI22helper_blocked_blockedxLj512ELj8ELj10EEvPKT0_PS1_
	.p2align	8
	.type	_Z16sort_keys_kernelI22helper_blocked_blockedxLj512ELj8ELj10EEvPKT0_PS1_,@function
_Z16sort_keys_kernelI22helper_blocked_blockedxLj512ELj8ELj10EEvPKT0_PS1_: ; @_Z16sort_keys_kernelI22helper_blocked_blockedxLj512ELj8ELj10EEvPKT0_PS1_
; %bb.0:
	s_clause 0x1
	s_load_b128 s[16:19], s[0:1], 0x0
	s_load_b32 s2, s[0:1], 0x1c
	v_mbcnt_lo_u32_b32 v21, -1, 0
	v_and_b32_e32 v17, 0x3ff, v0
	s_mov_b32 s21, 0
	s_lshl_b32 s20, s15, 12
	s_mov_b32 s14, s21
	s_lshl_b64 s[12:13], s[20:21], 3
	v_lshlrev_b32_e32 v20, 3, v17
	v_cmp_eq_u32_e64 s8, 0, v21
	s_mov_b32 s20, s21
	s_mov_b32 s15, s21
	;; [unrolled: 1-line block ×3, first 2 shown]
	s_waitcnt lgkmcnt(0)
	s_add_u32 s0, s16, s12
	s_addc_u32 s1, s17, s13
	v_add_co_u32 v9, s3, s0, v20
	s_delay_alu instid0(VALU_DEP_1)
	v_add_co_ci_u32_e64 v10, null, s1, 0, s3
	global_load_b64 v[1:2], v20, s[0:1]
	v_add_co_u32 v3, vcc_lo, v9, 0x2000
	v_add_co_ci_u32_e32 v4, vcc_lo, 0, v10, vcc_lo
	v_add_co_u32 v5, vcc_lo, v9, 0x4000
	v_add_co_ci_u32_e32 v6, vcc_lo, 0, v10, vcc_lo
	;; [unrolled: 2-line block ×4, first 2 shown]
	s_clause 0x6
	global_load_b64 v[13:14], v[3:4], off
	global_load_b64 v[15:16], v[5:6], off offset:-4096
	global_load_b64 v[9:10], v[5:6], off
	global_load_b64 v[11:12], v[7:8], off offset:-4096
	;; [unrolled: 2-line block ×3, first 2 shown]
	global_load_b64 v[7:8], v[18:19], off
	v_bfe_u32 v18, v0, 10, 10
	v_bfe_u32 v0, v0, 20, 10
	s_lshr_b32 s0, s2, 16
	s_delay_alu instid0(VALU_DEP_1) | instid1(SALU_CYCLE_1)
	v_mad_u32_u24 v0, v0, s0, v18
	s_and_b32 s0, s2, 0xffff
	s_delay_alu instid0(VALU_DEP_1) | instid1(SALU_CYCLE_1)
	v_mad_u64_u32 v[18:19], null, v0, s0, v[17:18]
	v_and_or_b32 v0, 0xf00, v20, v21
	v_and_b32_e32 v19, 15, v21
	s_delay_alu instid0(VALU_DEP_2) | instskip(NEXT) | instid1(VALU_DEP_4)
	v_lshlrev_b32_e32 v36, 3, v0
	v_lshrrev_b32_e32 v38, 5, v18
	v_add_nc_u32_e32 v18, -1, v21
	v_and_b32_e32 v0, 16, v21
	v_cmp_eq_u32_e64 s0, 0, v19
	v_cmp_lt_u32_e64 s1, 1, v19
	v_cmp_lt_u32_e64 s2, 3, v19
	v_cmp_gt_i32_e32 vcc_lo, 0, v18
	v_cmp_eq_u32_e64 s4, 0, v0
	v_cmp_lt_u32_e64 s3, 7, v19
	v_cndmask_b32_e32 v0, v18, v21, vcc_lo
	v_and_b32_e32 v22, 0x1e0, v17
	v_lshlrev_b32_e32 v34, 5, v17
	v_lshrrev_b32_e32 v18, 3, v17
	v_cmp_gt_u32_e64 s6, 16, v17
	v_lshlrev_b32_e32 v39, 2, v0
	v_or_b32_e32 v23, v21, v22
	v_or_b32_e32 v19, 31, v22
	v_and_b32_e32 v40, 60, v18
	v_mad_i32_i24 v41, 0xffffffe4, v17, v34
	v_mul_u32_u24_e32 v0, 60, v17
	v_lshlrev_b32_e32 v35, 6, v23
	v_add_nc_u32_e32 v37, 64, v34
	v_cmp_eq_u32_e64 s5, v19, v17
	v_cmp_lt_u32_e64 s7, 31, v17
	v_cmp_eq_u32_e64 s9, 0, v17
	v_add_nc_u32_e32 v42, -4, v40
	v_add_nc_u32_e32 v43, v41, v0
	s_branch .LBB142_2
.LBB142_1:                              ;   in Loop: Header=BB142_2 Depth=1
	v_lshlrev_b32_e32 v0, 3, v57
	v_lshlrev_b32_e32 v1, 3, v54
	;; [unrolled: 1-line block ×3, first 2 shown]
	s_barrier
	buffer_gl0_inv
	ds_store_b64 v0, v[18:19]
	ds_store_b64 v1, v[32:33]
	ds_store_b64 v2, v[30:31]
	v_lshlrev_b32_e32 v0, 3, v48
	v_lshlrev_b32_e32 v1, 3, v46
	v_lshlrev_b32_e32 v2, 3, v45
	v_lshlrev_b32_e32 v3, 3, v44
	v_lshlrev_b32_e32 v4, 3, v16
	ds_store_b64 v0, v[28:29]
	ds_store_b64 v1, v[26:27]
	;; [unrolled: 1-line block ×5, first 2 shown]
	s_waitcnt lgkmcnt(0)
	s_barrier
	buffer_gl0_inv
	ds_load_2addr_b64 v[1:4], v43 offset1:1
	ds_load_2addr_b64 v[13:16], v43 offset0:2 offset1:3
	ds_load_2addr_b64 v[9:12], v43 offset0:4 offset1:5
	ds_load_2addr_b64 v[5:8], v43 offset0:6 offset1:7
	s_add_i32 s11, s11, 1
	s_delay_alu instid0(SALU_CYCLE_1)
	s_cmp_eq_u32 s11, 10
	s_waitcnt lgkmcnt(3)
	v_xor_b32_e32 v2, 0x80000000, v2
	v_xor_b32_e32 v4, 0x80000000, v4
	s_waitcnt lgkmcnt(2)
	v_xor_b32_e32 v14, 0x80000000, v14
	v_xor_b32_e32 v16, 0x80000000, v16
	;; [unrolled: 3-line block ×4, first 2 shown]
	s_cbranch_scc1 .LBB142_28
.LBB142_2:                              ; =>This Loop Header: Depth=1
                                        ;     Child Loop BB142_4 Depth 2
	s_waitcnt vmcnt(7)
	v_xor_b32_e32 v2, 0x80000000, v2
	s_waitcnt vmcnt(1)
	v_xor_b32_e32 v4, 0x80000000, v4
	v_xor_b32_e32 v14, 0x80000000, v14
	;; [unrolled: 1-line block ×6, first 2 shown]
	s_waitcnt vmcnt(0)
	v_xor_b32_e32 v8, 0x80000000, v8
	ds_store_2addr_b64 v35, v[1:2], v[3:4] offset1:1
	ds_store_2addr_b64 v35, v[13:14], v[15:16] offset0:2 offset1:3
	ds_store_2addr_b64 v35, v[9:10], v[11:12] offset0:4 offset1:5
	;; [unrolled: 1-line block ×3, first 2 shown]
	; wave barrier
	ds_load_2addr_b64 v[0:3], v36 offset1:32
	ds_load_2addr_b64 v[4:7], v36 offset0:64 offset1:96
	ds_load_2addr_b64 v[8:11], v36 offset0:128 offset1:160
	;; [unrolled: 1-line block ×3, first 2 shown]
	s_mov_b64 s[16:17], 0
	s_waitcnt lgkmcnt(0)
	s_barrier
	buffer_gl0_inv
	; wave barrier
	s_barrier
	s_branch .LBB142_4
.LBB142_3:                              ;   in Loop: Header=BB142_4 Depth=2
	v_lshlrev_b32_e32 v0, 3, v57
	v_lshlrev_b32_e32 v1, 3, v54
	;; [unrolled: 1-line block ×3, first 2 shown]
	s_barrier
	buffer_gl0_inv
	ds_store_b64 v0, v[18:19]
	ds_store_b64 v1, v[32:33]
	;; [unrolled: 1-line block ×3, first 2 shown]
	v_lshlrev_b32_e32 v0, 3, v48
	v_lshlrev_b32_e32 v1, 3, v46
	;; [unrolled: 1-line block ×5, first 2 shown]
	ds_store_b64 v0, v[28:29]
	ds_store_b64 v1, v[26:27]
	;; [unrolled: 1-line block ×5, first 2 shown]
	s_waitcnt lgkmcnt(0)
	s_barrier
	buffer_gl0_inv
	ds_load_2addr_b64 v[0:3], v36 offset1:32
	ds_load_2addr_b64 v[4:7], v36 offset0:64 offset1:96
	ds_load_2addr_b64 v[8:11], v36 offset0:128 offset1:160
	;; [unrolled: 1-line block ×3, first 2 shown]
	s_add_u32 s16, s16, 8
	s_addc_u32 s17, s17, 0
	s_waitcnt lgkmcnt(0)
	s_barrier
	s_cbranch_execz .LBB142_1
.LBB142_4:                              ;   Parent Loop BB142_2 Depth=1
                                        ; =>  This Inner Loop Header: Depth=2
	v_dual_mov_b32 v19, v1 :: v_dual_mov_b32 v18, v0
	buffer_gl0_inv
	v_mov_b32_e32 v27, v9
	v_dual_mov_b32 v29, v7 :: v_dual_mov_b32 v28, v6
	v_lshrrev_b64 v[44:45], s16, v[18:19]
	v_mov_b32_e32 v6, s14
	v_dual_mov_b32 v26, v8 :: v_dual_mov_b32 v31, v5
	v_mov_b32_e32 v30, v4
	v_mov_b32_e32 v4, s20
	v_and_b32_e32 v0, 1, v44
	v_lshlrev_b32_e32 v1, 30, v44
	v_lshlrev_b32_e32 v16, 29, v44
	;; [unrolled: 1-line block ×4, first 2 shown]
	v_add_co_u32 v0, s10, v0, -1
	s_delay_alu instid0(VALU_DEP_1)
	v_cndmask_b32_e64 v21, 0, 1, s10
	v_not_b32_e32 v25, v1
	v_cmp_gt_i32_e64 s10, 0, v1
	v_not_b32_e32 v1, v16
	v_lshlrev_b32_e32 v23, 26, v44
	v_cmp_ne_u32_e32 vcc_lo, 0, v21
	v_ashrrev_i32_e32 v25, 31, v25
	v_lshlrev_b32_e32 v24, 25, v44
	v_ashrrev_i32_e32 v1, 31, v1
	v_lshlrev_b32_e32 v21, 24, v44
	v_xor_b32_e32 v0, vcc_lo, v0
	v_cmp_gt_i32_e32 vcc_lo, 0, v16
	v_not_b32_e32 v16, v20
	v_xor_b32_e32 v25, s10, v25
	v_cmp_gt_i32_e64 s10, 0, v20
	v_and_b32_e32 v0, exec_lo, v0
	v_not_b32_e32 v20, v22
	v_ashrrev_i32_e32 v16, 31, v16
	v_xor_b32_e32 v1, vcc_lo, v1
	v_cmp_gt_i32_e32 vcc_lo, 0, v22
	v_dual_mov_b32 v5, s21 :: v_dual_and_b32 v0, v0, v25
	v_not_b32_e32 v22, v23
	v_ashrrev_i32_e32 v20, 31, v20
	v_xor_b32_e32 v16, s10, v16
	s_delay_alu instid0(VALU_DEP_4)
	v_dual_mov_b32 v7, s15 :: v_dual_and_b32 v0, v0, v1
	v_cmp_gt_i32_e64 s10, 0, v23
	v_not_b32_e32 v1, v24
	v_ashrrev_i32_e32 v22, 31, v22
	v_xor_b32_e32 v20, vcc_lo, v20
	v_dual_mov_b32 v33, v3 :: v_dual_and_b32 v0, v0, v16
	v_cmp_gt_i32_e32 vcc_lo, 0, v24
	v_mov_b32_e32 v25, v11
	v_ashrrev_i32_e32 v1, 31, v1
	v_xor_b32_e32 v22, s10, v22
	v_and_b32_e32 v0, v0, v20
	v_mov_b32_e32 v24, v10
	v_not_b32_e32 v16, v21
	v_cmp_gt_i32_e64 s10, 0, v21
	v_xor_b32_e32 v1, vcc_lo, v1
	v_dual_mov_b32 v21, v15 :: v_dual_and_b32 v0, v0, v22
	s_delay_alu instid0(VALU_DEP_4) | instskip(SKIP_1) | instid1(VALU_DEP_3)
	v_ashrrev_i32_e32 v16, 31, v16
	v_dual_mov_b32 v23, v13 :: v_dual_mov_b32 v20, v14
	v_and_b32_e32 v0, v0, v1
	v_and_b32_e32 v1, 0xff, v44
	s_delay_alu instid0(VALU_DEP_4)
	v_xor_b32_e32 v10, s10, v16
	v_mov_b32_e32 v22, v12
	v_mov_b32_e32 v32, v2
	ds_store_2addr_b64 v34, v[4:5], v[6:7] offset0:8 offset1:9
	ds_store_2addr_b64 v37, v[4:5], v[6:7] offset0:2 offset1:3
	v_lshl_add_u32 v1, v1, 4, v38
	v_and_b32_e32 v0, v0, v10
	s_waitcnt lgkmcnt(0)
	s_barrier
	buffer_gl0_inv
	v_lshl_add_u32 v9, v1, 2, 64
	v_mbcnt_lo_u32_b32 v8, v0, 0
	v_cmp_ne_u32_e64 s10, 0, v0
	; wave barrier
	s_delay_alu instid0(VALU_DEP_2) | instskip(NEXT) | instid1(VALU_DEP_2)
	v_cmp_eq_u32_e32 vcc_lo, 0, v8
	s_and_b32 s22, s10, vcc_lo
	s_delay_alu instid0(SALU_CYCLE_1)
	s_and_saveexec_b32 s10, s22
	s_cbranch_execz .LBB142_6
; %bb.5:                                ;   in Loop: Header=BB142_4 Depth=2
	v_bcnt_u32_b32 v0, v0, 0
	ds_store_b32 v9, v0
.LBB142_6:                              ;   in Loop: Header=BB142_4 Depth=2
	s_or_b32 exec_lo, exec_lo, s10
	v_lshrrev_b64 v[0:1], s16, v[32:33]
	; wave barrier
	s_delay_alu instid0(VALU_DEP_1)
	v_and_b32_e32 v2, 1, v0
	v_lshlrev_b32_e32 v3, 30, v0
	v_lshlrev_b32_e32 v4, 29, v0
	;; [unrolled: 1-line block ×4, first 2 shown]
	v_add_co_u32 v2, s10, v2, -1
	s_delay_alu instid0(VALU_DEP_1)
	v_cndmask_b32_e64 v6, 0, 1, s10
	v_not_b32_e32 v12, v3
	v_cmp_gt_i32_e64 s10, 0, v3
	v_not_b32_e32 v3, v4
	v_lshlrev_b32_e32 v10, 26, v0
	v_cmp_ne_u32_e32 vcc_lo, 0, v6
	v_ashrrev_i32_e32 v6, 31, v12
	v_lshlrev_b32_e32 v11, 25, v0
	v_ashrrev_i32_e32 v3, 31, v3
	v_and_b32_e32 v1, 0xff, v0
	v_xor_b32_e32 v2, vcc_lo, v2
	v_cmp_gt_i32_e32 vcc_lo, 0, v4
	v_not_b32_e32 v4, v5
	v_xor_b32_e32 v6, s10, v6
	v_cmp_gt_i32_e64 s10, 0, v5
	v_and_b32_e32 v2, exec_lo, v2
	v_not_b32_e32 v5, v7
	v_ashrrev_i32_e32 v4, 31, v4
	v_xor_b32_e32 v3, vcc_lo, v3
	v_cmp_gt_i32_e32 vcc_lo, 0, v7
	v_and_b32_e32 v2, v2, v6
	v_not_b32_e32 v6, v10
	v_ashrrev_i32_e32 v5, 31, v5
	v_xor_b32_e32 v4, s10, v4
	v_lshlrev_b32_e32 v0, 24, v0
	v_and_b32_e32 v2, v2, v3
	v_cmp_gt_i32_e64 s10, 0, v10
	v_not_b32_e32 v3, v11
	v_ashrrev_i32_e32 v6, 31, v6
	v_xor_b32_e32 v5, vcc_lo, v5
	v_and_b32_e32 v2, v2, v4
	v_cmp_gt_i32_e32 vcc_lo, 0, v11
	v_not_b32_e32 v4, v0
	v_ashrrev_i32_e32 v3, 31, v3
	v_xor_b32_e32 v6, s10, v6
	v_and_b32_e32 v2, v2, v5
	v_lshlrev_b32_e32 v1, 4, v1
	v_cmp_gt_i32_e64 s10, 0, v0
	v_ashrrev_i32_e32 v0, 31, v4
	v_xor_b32_e32 v3, vcc_lo, v3
	v_and_b32_e32 v2, v2, v6
	v_add_lshl_u32 v1, v1, v38, 2
	s_delay_alu instid0(VALU_DEP_4) | instskip(NEXT) | instid1(VALU_DEP_3)
	v_xor_b32_e32 v0, s10, v0
	v_and_b32_e32 v2, v2, v3
	ds_load_b32 v10, v1 offset:64
	v_add_nc_u32_e32 v12, 64, v1
	; wave barrier
	v_and_b32_e32 v0, v2, v0
	s_delay_alu instid0(VALU_DEP_1) | instskip(SKIP_1) | instid1(VALU_DEP_2)
	v_mbcnt_lo_u32_b32 v11, v0, 0
	v_cmp_ne_u32_e64 s10, 0, v0
	v_cmp_eq_u32_e32 vcc_lo, 0, v11
	s_delay_alu instid0(VALU_DEP_2) | instskip(NEXT) | instid1(SALU_CYCLE_1)
	s_and_b32 s22, s10, vcc_lo
	s_and_saveexec_b32 s10, s22
	s_cbranch_execz .LBB142_8
; %bb.7:                                ;   in Loop: Header=BB142_4 Depth=2
	s_waitcnt lgkmcnt(0)
	v_bcnt_u32_b32 v0, v0, v10
	ds_store_b32 v12, v0
.LBB142_8:                              ;   in Loop: Header=BB142_4 Depth=2
	s_or_b32 exec_lo, exec_lo, s10
	v_lshrrev_b64 v[0:1], s16, v[30:31]
	; wave barrier
	s_delay_alu instid0(VALU_DEP_1)
	v_and_b32_e32 v2, 1, v0
	v_lshlrev_b32_e32 v3, 30, v0
	v_lshlrev_b32_e32 v4, 29, v0
	;; [unrolled: 1-line block ×4, first 2 shown]
	v_add_co_u32 v2, s10, v2, -1
	s_delay_alu instid0(VALU_DEP_1)
	v_cndmask_b32_e64 v6, 0, 1, s10
	v_not_b32_e32 v15, v3
	v_cmp_gt_i32_e64 s10, 0, v3
	v_not_b32_e32 v3, v4
	v_lshlrev_b32_e32 v13, 26, v0
	v_cmp_ne_u32_e32 vcc_lo, 0, v6
	v_ashrrev_i32_e32 v6, 31, v15
	v_lshlrev_b32_e32 v14, 25, v0
	v_ashrrev_i32_e32 v3, 31, v3
	v_and_b32_e32 v1, 0xff, v0
	v_xor_b32_e32 v2, vcc_lo, v2
	v_cmp_gt_i32_e32 vcc_lo, 0, v4
	v_not_b32_e32 v4, v5
	v_xor_b32_e32 v6, s10, v6
	v_cmp_gt_i32_e64 s10, 0, v5
	v_and_b32_e32 v2, exec_lo, v2
	v_not_b32_e32 v5, v7
	v_ashrrev_i32_e32 v4, 31, v4
	v_xor_b32_e32 v3, vcc_lo, v3
	v_cmp_gt_i32_e32 vcc_lo, 0, v7
	v_and_b32_e32 v2, v2, v6
	v_not_b32_e32 v6, v13
	v_ashrrev_i32_e32 v5, 31, v5
	v_xor_b32_e32 v4, s10, v4
	v_lshlrev_b32_e32 v0, 24, v0
	v_and_b32_e32 v2, v2, v3
	v_cmp_gt_i32_e64 s10, 0, v13
	v_not_b32_e32 v3, v14
	v_ashrrev_i32_e32 v6, 31, v6
	v_xor_b32_e32 v5, vcc_lo, v5
	v_and_b32_e32 v2, v2, v4
	v_cmp_gt_i32_e32 vcc_lo, 0, v14
	v_not_b32_e32 v4, v0
	v_ashrrev_i32_e32 v3, 31, v3
	v_xor_b32_e32 v6, s10, v6
	v_and_b32_e32 v2, v2, v5
	v_lshlrev_b32_e32 v1, 4, v1
	v_cmp_gt_i32_e64 s10, 0, v0
	v_ashrrev_i32_e32 v0, 31, v4
	v_xor_b32_e32 v3, vcc_lo, v3
	v_and_b32_e32 v2, v2, v6
	v_add_lshl_u32 v1, v1, v38, 2
	s_delay_alu instid0(VALU_DEP_4) | instskip(NEXT) | instid1(VALU_DEP_3)
	v_xor_b32_e32 v0, s10, v0
	v_and_b32_e32 v2, v2, v3
	ds_load_b32 v13, v1 offset:64
	v_add_nc_u32_e32 v15, 64, v1
	; wave barrier
	v_and_b32_e32 v0, v2, v0
	s_delay_alu instid0(VALU_DEP_1) | instskip(SKIP_1) | instid1(VALU_DEP_2)
	v_mbcnt_lo_u32_b32 v14, v0, 0
	v_cmp_ne_u32_e64 s10, 0, v0
	v_cmp_eq_u32_e32 vcc_lo, 0, v14
	s_delay_alu instid0(VALU_DEP_2) | instskip(NEXT) | instid1(SALU_CYCLE_1)
	s_and_b32 s22, s10, vcc_lo
	s_and_saveexec_b32 s10, s22
	s_cbranch_execz .LBB142_10
; %bb.9:                                ;   in Loop: Header=BB142_4 Depth=2
	s_waitcnt lgkmcnt(0)
	v_bcnt_u32_b32 v0, v0, v13
	ds_store_b32 v15, v0
.LBB142_10:                             ;   in Loop: Header=BB142_4 Depth=2
	s_or_b32 exec_lo, exec_lo, s10
	v_lshrrev_b64 v[0:1], s16, v[28:29]
	; wave barrier
	s_delay_alu instid0(VALU_DEP_1)
	v_and_b32_e32 v2, 1, v0
	v_lshlrev_b32_e32 v3, 30, v0
	v_lshlrev_b32_e32 v4, 29, v0
	;; [unrolled: 1-line block ×4, first 2 shown]
	v_add_co_u32 v2, s10, v2, -1
	s_delay_alu instid0(VALU_DEP_1)
	v_cndmask_b32_e64 v6, 0, 1, s10
	v_not_b32_e32 v45, v3
	v_cmp_gt_i32_e64 s10, 0, v3
	v_not_b32_e32 v3, v4
	v_lshlrev_b32_e32 v16, 26, v0
	v_cmp_ne_u32_e32 vcc_lo, 0, v6
	v_ashrrev_i32_e32 v6, 31, v45
	v_lshlrev_b32_e32 v44, 25, v0
	v_ashrrev_i32_e32 v3, 31, v3
	v_and_b32_e32 v1, 0xff, v0
	v_xor_b32_e32 v2, vcc_lo, v2
	v_cmp_gt_i32_e32 vcc_lo, 0, v4
	v_not_b32_e32 v4, v5
	v_xor_b32_e32 v6, s10, v6
	v_cmp_gt_i32_e64 s10, 0, v5
	v_and_b32_e32 v2, exec_lo, v2
	v_not_b32_e32 v5, v7
	v_ashrrev_i32_e32 v4, 31, v4
	v_xor_b32_e32 v3, vcc_lo, v3
	v_cmp_gt_i32_e32 vcc_lo, 0, v7
	v_and_b32_e32 v2, v2, v6
	v_not_b32_e32 v6, v16
	v_ashrrev_i32_e32 v5, 31, v5
	v_xor_b32_e32 v4, s10, v4
	v_lshlrev_b32_e32 v0, 24, v0
	v_and_b32_e32 v2, v2, v3
	v_cmp_gt_i32_e64 s10, 0, v16
	v_not_b32_e32 v3, v44
	v_ashrrev_i32_e32 v6, 31, v6
	v_xor_b32_e32 v5, vcc_lo, v5
	v_and_b32_e32 v2, v2, v4
	v_cmp_gt_i32_e32 vcc_lo, 0, v44
	v_not_b32_e32 v4, v0
	v_ashrrev_i32_e32 v3, 31, v3
	v_xor_b32_e32 v6, s10, v6
	v_and_b32_e32 v2, v2, v5
	v_lshlrev_b32_e32 v1, 4, v1
	v_cmp_gt_i32_e64 s10, 0, v0
	v_ashrrev_i32_e32 v0, 31, v4
	v_xor_b32_e32 v3, vcc_lo, v3
	v_and_b32_e32 v2, v2, v6
	v_add_lshl_u32 v1, v1, v38, 2
	s_delay_alu instid0(VALU_DEP_4) | instskip(NEXT) | instid1(VALU_DEP_3)
	v_xor_b32_e32 v0, s10, v0
	v_and_b32_e32 v2, v2, v3
	ds_load_b32 v16, v1 offset:64
	v_add_nc_u32_e32 v45, 64, v1
	; wave barrier
	v_and_b32_e32 v0, v2, v0
	s_delay_alu instid0(VALU_DEP_1) | instskip(SKIP_1) | instid1(VALU_DEP_2)
	v_mbcnt_lo_u32_b32 v44, v0, 0
	v_cmp_ne_u32_e64 s10, 0, v0
	v_cmp_eq_u32_e32 vcc_lo, 0, v44
	s_delay_alu instid0(VALU_DEP_2) | instskip(NEXT) | instid1(SALU_CYCLE_1)
	s_and_b32 s22, s10, vcc_lo
	s_and_saveexec_b32 s10, s22
	s_cbranch_execz .LBB142_12
; %bb.11:                               ;   in Loop: Header=BB142_4 Depth=2
	s_waitcnt lgkmcnt(0)
	v_bcnt_u32_b32 v0, v0, v16
	ds_store_b32 v45, v0
.LBB142_12:                             ;   in Loop: Header=BB142_4 Depth=2
	s_or_b32 exec_lo, exec_lo, s10
	v_lshrrev_b64 v[0:1], s16, v[26:27]
	; wave barrier
	s_delay_alu instid0(VALU_DEP_1)
	v_and_b32_e32 v2, 1, v0
	v_lshlrev_b32_e32 v3, 30, v0
	v_lshlrev_b32_e32 v4, 29, v0
	;; [unrolled: 1-line block ×4, first 2 shown]
	v_add_co_u32 v2, s10, v2, -1
	s_delay_alu instid0(VALU_DEP_1)
	v_cndmask_b32_e64 v6, 0, 1, s10
	v_not_b32_e32 v48, v3
	v_cmp_gt_i32_e64 s10, 0, v3
	v_not_b32_e32 v3, v4
	v_lshlrev_b32_e32 v46, 26, v0
	v_cmp_ne_u32_e32 vcc_lo, 0, v6
	v_ashrrev_i32_e32 v6, 31, v48
	v_lshlrev_b32_e32 v47, 25, v0
	v_ashrrev_i32_e32 v3, 31, v3
	v_and_b32_e32 v1, 0xff, v0
	v_xor_b32_e32 v2, vcc_lo, v2
	v_cmp_gt_i32_e32 vcc_lo, 0, v4
	v_not_b32_e32 v4, v5
	v_xor_b32_e32 v6, s10, v6
	v_cmp_gt_i32_e64 s10, 0, v5
	v_and_b32_e32 v2, exec_lo, v2
	v_not_b32_e32 v5, v7
	v_ashrrev_i32_e32 v4, 31, v4
	v_xor_b32_e32 v3, vcc_lo, v3
	v_cmp_gt_i32_e32 vcc_lo, 0, v7
	v_and_b32_e32 v2, v2, v6
	v_not_b32_e32 v6, v46
	v_ashrrev_i32_e32 v5, 31, v5
	v_xor_b32_e32 v4, s10, v4
	v_lshlrev_b32_e32 v0, 24, v0
	v_and_b32_e32 v2, v2, v3
	v_cmp_gt_i32_e64 s10, 0, v46
	v_not_b32_e32 v3, v47
	v_ashrrev_i32_e32 v6, 31, v6
	v_xor_b32_e32 v5, vcc_lo, v5
	v_and_b32_e32 v2, v2, v4
	v_cmp_gt_i32_e32 vcc_lo, 0, v47
	v_not_b32_e32 v4, v0
	v_ashrrev_i32_e32 v3, 31, v3
	v_xor_b32_e32 v6, s10, v6
	v_and_b32_e32 v2, v2, v5
	v_lshlrev_b32_e32 v1, 4, v1
	v_cmp_gt_i32_e64 s10, 0, v0
	v_ashrrev_i32_e32 v0, 31, v4
	v_xor_b32_e32 v3, vcc_lo, v3
	v_and_b32_e32 v2, v2, v6
	v_add_lshl_u32 v1, v1, v38, 2
	s_delay_alu instid0(VALU_DEP_4) | instskip(NEXT) | instid1(VALU_DEP_3)
	v_xor_b32_e32 v0, s10, v0
	v_and_b32_e32 v2, v2, v3
	ds_load_b32 v46, v1 offset:64
	v_add_nc_u32_e32 v48, 64, v1
	; wave barrier
	v_and_b32_e32 v0, v2, v0
	s_delay_alu instid0(VALU_DEP_1) | instskip(SKIP_1) | instid1(VALU_DEP_2)
	v_mbcnt_lo_u32_b32 v47, v0, 0
	v_cmp_ne_u32_e64 s10, 0, v0
	v_cmp_eq_u32_e32 vcc_lo, 0, v47
	s_delay_alu instid0(VALU_DEP_2) | instskip(NEXT) | instid1(SALU_CYCLE_1)
	s_and_b32 s22, s10, vcc_lo
	s_and_saveexec_b32 s10, s22
	s_cbranch_execz .LBB142_14
; %bb.13:                               ;   in Loop: Header=BB142_4 Depth=2
	s_waitcnt lgkmcnt(0)
	v_bcnt_u32_b32 v0, v0, v46
	ds_store_b32 v48, v0
.LBB142_14:                             ;   in Loop: Header=BB142_4 Depth=2
	s_or_b32 exec_lo, exec_lo, s10
	v_lshrrev_b64 v[0:1], s16, v[24:25]
	; wave barrier
	s_delay_alu instid0(VALU_DEP_1)
	v_and_b32_e32 v2, 1, v0
	v_lshlrev_b32_e32 v3, 30, v0
	v_lshlrev_b32_e32 v4, 29, v0
	;; [unrolled: 1-line block ×4, first 2 shown]
	v_add_co_u32 v2, s10, v2, -1
	s_delay_alu instid0(VALU_DEP_1)
	v_cndmask_b32_e64 v6, 0, 1, s10
	v_not_b32_e32 v51, v3
	v_cmp_gt_i32_e64 s10, 0, v3
	v_not_b32_e32 v3, v4
	v_lshlrev_b32_e32 v49, 26, v0
	v_cmp_ne_u32_e32 vcc_lo, 0, v6
	v_ashrrev_i32_e32 v6, 31, v51
	v_lshlrev_b32_e32 v50, 25, v0
	v_ashrrev_i32_e32 v3, 31, v3
	v_and_b32_e32 v1, 0xff, v0
	v_xor_b32_e32 v2, vcc_lo, v2
	v_cmp_gt_i32_e32 vcc_lo, 0, v4
	v_not_b32_e32 v4, v5
	v_xor_b32_e32 v6, s10, v6
	v_cmp_gt_i32_e64 s10, 0, v5
	v_and_b32_e32 v2, exec_lo, v2
	v_not_b32_e32 v5, v7
	v_ashrrev_i32_e32 v4, 31, v4
	v_xor_b32_e32 v3, vcc_lo, v3
	v_cmp_gt_i32_e32 vcc_lo, 0, v7
	v_and_b32_e32 v2, v2, v6
	v_not_b32_e32 v6, v49
	v_ashrrev_i32_e32 v5, 31, v5
	v_xor_b32_e32 v4, s10, v4
	v_lshlrev_b32_e32 v0, 24, v0
	v_and_b32_e32 v2, v2, v3
	v_cmp_gt_i32_e64 s10, 0, v49
	v_not_b32_e32 v3, v50
	v_ashrrev_i32_e32 v6, 31, v6
	v_xor_b32_e32 v5, vcc_lo, v5
	v_and_b32_e32 v2, v2, v4
	v_cmp_gt_i32_e32 vcc_lo, 0, v50
	v_not_b32_e32 v4, v0
	v_ashrrev_i32_e32 v3, 31, v3
	v_xor_b32_e32 v6, s10, v6
	v_and_b32_e32 v2, v2, v5
	v_lshlrev_b32_e32 v1, 4, v1
	v_cmp_gt_i32_e64 s10, 0, v0
	v_ashrrev_i32_e32 v0, 31, v4
	v_xor_b32_e32 v3, vcc_lo, v3
	v_and_b32_e32 v2, v2, v6
	v_add_lshl_u32 v1, v1, v38, 2
	s_delay_alu instid0(VALU_DEP_4) | instskip(NEXT) | instid1(VALU_DEP_3)
	v_xor_b32_e32 v0, s10, v0
	v_and_b32_e32 v2, v2, v3
	ds_load_b32 v49, v1 offset:64
	v_add_nc_u32_e32 v51, 64, v1
	; wave barrier
	v_and_b32_e32 v0, v2, v0
	s_delay_alu instid0(VALU_DEP_1) | instskip(SKIP_1) | instid1(VALU_DEP_2)
	v_mbcnt_lo_u32_b32 v50, v0, 0
	v_cmp_ne_u32_e64 s10, 0, v0
	v_cmp_eq_u32_e32 vcc_lo, 0, v50
	s_delay_alu instid0(VALU_DEP_2) | instskip(NEXT) | instid1(SALU_CYCLE_1)
	s_and_b32 s22, s10, vcc_lo
	s_and_saveexec_b32 s10, s22
	s_cbranch_execz .LBB142_16
; %bb.15:                               ;   in Loop: Header=BB142_4 Depth=2
	s_waitcnt lgkmcnt(0)
	v_bcnt_u32_b32 v0, v0, v49
	ds_store_b32 v51, v0
.LBB142_16:                             ;   in Loop: Header=BB142_4 Depth=2
	s_or_b32 exec_lo, exec_lo, s10
	v_lshrrev_b64 v[0:1], s16, v[22:23]
	; wave barrier
	s_delay_alu instid0(VALU_DEP_1)
	v_and_b32_e32 v2, 1, v0
	v_lshlrev_b32_e32 v3, 30, v0
	v_lshlrev_b32_e32 v4, 29, v0
	;; [unrolled: 1-line block ×4, first 2 shown]
	v_add_co_u32 v2, s10, v2, -1
	s_delay_alu instid0(VALU_DEP_1)
	v_cndmask_b32_e64 v6, 0, 1, s10
	v_not_b32_e32 v54, v3
	v_cmp_gt_i32_e64 s10, 0, v3
	v_not_b32_e32 v3, v4
	v_lshlrev_b32_e32 v52, 26, v0
	v_cmp_ne_u32_e32 vcc_lo, 0, v6
	v_ashrrev_i32_e32 v6, 31, v54
	v_lshlrev_b32_e32 v53, 25, v0
	v_ashrrev_i32_e32 v3, 31, v3
	v_and_b32_e32 v1, 0xff, v0
	v_xor_b32_e32 v2, vcc_lo, v2
	v_cmp_gt_i32_e32 vcc_lo, 0, v4
	v_not_b32_e32 v4, v5
	v_xor_b32_e32 v6, s10, v6
	v_cmp_gt_i32_e64 s10, 0, v5
	v_and_b32_e32 v2, exec_lo, v2
	v_not_b32_e32 v5, v7
	v_ashrrev_i32_e32 v4, 31, v4
	v_xor_b32_e32 v3, vcc_lo, v3
	v_cmp_gt_i32_e32 vcc_lo, 0, v7
	v_and_b32_e32 v2, v2, v6
	v_not_b32_e32 v6, v52
	v_ashrrev_i32_e32 v5, 31, v5
	v_xor_b32_e32 v4, s10, v4
	v_lshlrev_b32_e32 v0, 24, v0
	v_and_b32_e32 v2, v2, v3
	v_cmp_gt_i32_e64 s10, 0, v52
	v_not_b32_e32 v3, v53
	v_ashrrev_i32_e32 v6, 31, v6
	v_xor_b32_e32 v5, vcc_lo, v5
	v_and_b32_e32 v2, v2, v4
	v_cmp_gt_i32_e32 vcc_lo, 0, v53
	v_not_b32_e32 v4, v0
	v_ashrrev_i32_e32 v3, 31, v3
	v_xor_b32_e32 v6, s10, v6
	v_and_b32_e32 v2, v2, v5
	v_lshlrev_b32_e32 v1, 4, v1
	v_cmp_gt_i32_e64 s10, 0, v0
	v_ashrrev_i32_e32 v0, 31, v4
	v_xor_b32_e32 v3, vcc_lo, v3
	v_and_b32_e32 v2, v2, v6
	v_add_lshl_u32 v1, v1, v38, 2
	s_delay_alu instid0(VALU_DEP_4) | instskip(NEXT) | instid1(VALU_DEP_3)
	v_xor_b32_e32 v0, s10, v0
	v_and_b32_e32 v2, v2, v3
	ds_load_b32 v52, v1 offset:64
	v_add_nc_u32_e32 v54, 64, v1
	; wave barrier
	v_and_b32_e32 v0, v2, v0
	s_delay_alu instid0(VALU_DEP_1) | instskip(SKIP_1) | instid1(VALU_DEP_2)
	v_mbcnt_lo_u32_b32 v53, v0, 0
	v_cmp_ne_u32_e64 s10, 0, v0
	v_cmp_eq_u32_e32 vcc_lo, 0, v53
	s_delay_alu instid0(VALU_DEP_2) | instskip(NEXT) | instid1(SALU_CYCLE_1)
	s_and_b32 s22, s10, vcc_lo
	s_and_saveexec_b32 s10, s22
	s_cbranch_execz .LBB142_18
; %bb.17:                               ;   in Loop: Header=BB142_4 Depth=2
	s_waitcnt lgkmcnt(0)
	v_bcnt_u32_b32 v0, v0, v52
	ds_store_b32 v54, v0
.LBB142_18:                             ;   in Loop: Header=BB142_4 Depth=2
	s_or_b32 exec_lo, exec_lo, s10
	v_lshrrev_b64 v[0:1], s16, v[20:21]
	; wave barrier
	s_delay_alu instid0(VALU_DEP_1)
	v_and_b32_e32 v2, 1, v0
	v_lshlrev_b32_e32 v3, 30, v0
	v_lshlrev_b32_e32 v4, 29, v0
	;; [unrolled: 1-line block ×4, first 2 shown]
	v_add_co_u32 v2, s10, v2, -1
	s_delay_alu instid0(VALU_DEP_1)
	v_cndmask_b32_e64 v6, 0, 1, s10
	v_not_b32_e32 v57, v3
	v_cmp_gt_i32_e64 s10, 0, v3
	v_not_b32_e32 v3, v4
	v_lshlrev_b32_e32 v55, 26, v0
	v_cmp_ne_u32_e32 vcc_lo, 0, v6
	v_ashrrev_i32_e32 v6, 31, v57
	v_lshlrev_b32_e32 v56, 25, v0
	v_ashrrev_i32_e32 v3, 31, v3
	v_and_b32_e32 v1, 0xff, v0
	v_xor_b32_e32 v2, vcc_lo, v2
	v_cmp_gt_i32_e32 vcc_lo, 0, v4
	v_not_b32_e32 v4, v5
	v_xor_b32_e32 v6, s10, v6
	v_cmp_gt_i32_e64 s10, 0, v5
	v_and_b32_e32 v2, exec_lo, v2
	v_not_b32_e32 v5, v7
	v_ashrrev_i32_e32 v4, 31, v4
	v_xor_b32_e32 v3, vcc_lo, v3
	v_cmp_gt_i32_e32 vcc_lo, 0, v7
	v_and_b32_e32 v2, v2, v6
	v_not_b32_e32 v6, v55
	v_ashrrev_i32_e32 v5, 31, v5
	v_xor_b32_e32 v4, s10, v4
	v_lshlrev_b32_e32 v0, 24, v0
	v_and_b32_e32 v2, v2, v3
	v_cmp_gt_i32_e64 s10, 0, v55
	v_not_b32_e32 v3, v56
	v_ashrrev_i32_e32 v6, 31, v6
	v_xor_b32_e32 v5, vcc_lo, v5
	v_and_b32_e32 v2, v2, v4
	v_cmp_gt_i32_e32 vcc_lo, 0, v56
	v_not_b32_e32 v4, v0
	v_ashrrev_i32_e32 v3, 31, v3
	v_xor_b32_e32 v6, s10, v6
	v_and_b32_e32 v2, v2, v5
	v_lshlrev_b32_e32 v1, 4, v1
	v_cmp_gt_i32_e64 s10, 0, v0
	v_ashrrev_i32_e32 v0, 31, v4
	v_xor_b32_e32 v3, vcc_lo, v3
	v_and_b32_e32 v2, v2, v6
	v_add_lshl_u32 v1, v1, v38, 2
	s_delay_alu instid0(VALU_DEP_4) | instskip(NEXT) | instid1(VALU_DEP_3)
	v_xor_b32_e32 v0, s10, v0
	v_and_b32_e32 v2, v2, v3
	ds_load_b32 v55, v1 offset:64
	v_add_nc_u32_e32 v57, 64, v1
	; wave barrier
	v_and_b32_e32 v0, v2, v0
	s_delay_alu instid0(VALU_DEP_1) | instskip(SKIP_1) | instid1(VALU_DEP_2)
	v_mbcnt_lo_u32_b32 v56, v0, 0
	v_cmp_ne_u32_e64 s10, 0, v0
	v_cmp_eq_u32_e32 vcc_lo, 0, v56
	s_delay_alu instid0(VALU_DEP_2) | instskip(NEXT) | instid1(SALU_CYCLE_1)
	s_and_b32 s22, s10, vcc_lo
	s_and_saveexec_b32 s10, s22
	s_cbranch_execz .LBB142_20
; %bb.19:                               ;   in Loop: Header=BB142_4 Depth=2
	s_waitcnt lgkmcnt(0)
	v_bcnt_u32_b32 v0, v0, v55
	ds_store_b32 v57, v0
.LBB142_20:                             ;   in Loop: Header=BB142_4 Depth=2
	s_or_b32 exec_lo, exec_lo, s10
	; wave barrier
	s_waitcnt lgkmcnt(0)
	s_barrier
	buffer_gl0_inv
	ds_load_2addr_b64 v[4:7], v34 offset0:8 offset1:9
	ds_load_2addr_b64 v[0:3], v37 offset0:2 offset1:3
	s_waitcnt lgkmcnt(1)
	v_add_nc_u32_e32 v58, v5, v4
	s_delay_alu instid0(VALU_DEP_1) | instskip(SKIP_1) | instid1(VALU_DEP_1)
	v_add3_u32 v58, v58, v6, v7
	s_waitcnt lgkmcnt(0)
	v_add3_u32 v58, v58, v0, v1
	s_delay_alu instid0(VALU_DEP_1) | instskip(NEXT) | instid1(VALU_DEP_1)
	v_add3_u32 v3, v58, v2, v3
	v_mov_b32_dpp v58, v3 row_shr:1 row_mask:0xf bank_mask:0xf
	s_delay_alu instid0(VALU_DEP_1) | instskip(NEXT) | instid1(VALU_DEP_1)
	v_cndmask_b32_e64 v58, v58, 0, s0
	v_add_nc_u32_e32 v3, v58, v3
	s_delay_alu instid0(VALU_DEP_1) | instskip(NEXT) | instid1(VALU_DEP_1)
	v_mov_b32_dpp v58, v3 row_shr:2 row_mask:0xf bank_mask:0xf
	v_cndmask_b32_e64 v58, 0, v58, s1
	s_delay_alu instid0(VALU_DEP_1) | instskip(NEXT) | instid1(VALU_DEP_1)
	v_add_nc_u32_e32 v3, v3, v58
	v_mov_b32_dpp v58, v3 row_shr:4 row_mask:0xf bank_mask:0xf
	s_delay_alu instid0(VALU_DEP_1) | instskip(NEXT) | instid1(VALU_DEP_1)
	v_cndmask_b32_e64 v58, 0, v58, s2
	v_add_nc_u32_e32 v3, v3, v58
	s_delay_alu instid0(VALU_DEP_1) | instskip(NEXT) | instid1(VALU_DEP_1)
	v_mov_b32_dpp v58, v3 row_shr:8 row_mask:0xf bank_mask:0xf
	v_cndmask_b32_e64 v58, 0, v58, s3
	s_delay_alu instid0(VALU_DEP_1) | instskip(SKIP_3) | instid1(VALU_DEP_1)
	v_add_nc_u32_e32 v3, v3, v58
	ds_swizzle_b32 v58, v3 offset:swizzle(BROADCAST,32,15)
	s_waitcnt lgkmcnt(0)
	v_cndmask_b32_e64 v58, v58, 0, s4
	v_add_nc_u32_e32 v3, v3, v58
	s_and_saveexec_b32 s10, s5
	s_cbranch_execz .LBB142_22
; %bb.21:                               ;   in Loop: Header=BB142_4 Depth=2
	ds_store_b32 v40, v3
.LBB142_22:                             ;   in Loop: Header=BB142_4 Depth=2
	s_or_b32 exec_lo, exec_lo, s10
	s_waitcnt lgkmcnt(0)
	s_barrier
	buffer_gl0_inv
	s_and_saveexec_b32 s10, s6
	s_cbranch_execz .LBB142_24
; %bb.23:                               ;   in Loop: Header=BB142_4 Depth=2
	ds_load_b32 v58, v41
	s_waitcnt lgkmcnt(0)
	v_mov_b32_dpp v59, v58 row_shr:1 row_mask:0xf bank_mask:0xf
	s_delay_alu instid0(VALU_DEP_1) | instskip(NEXT) | instid1(VALU_DEP_1)
	v_cndmask_b32_e64 v59, v59, 0, s0
	v_add_nc_u32_e32 v58, v59, v58
	s_delay_alu instid0(VALU_DEP_1) | instskip(NEXT) | instid1(VALU_DEP_1)
	v_mov_b32_dpp v59, v58 row_shr:2 row_mask:0xf bank_mask:0xf
	v_cndmask_b32_e64 v59, 0, v59, s1
	s_delay_alu instid0(VALU_DEP_1) | instskip(NEXT) | instid1(VALU_DEP_1)
	v_add_nc_u32_e32 v58, v58, v59
	v_mov_b32_dpp v59, v58 row_shr:4 row_mask:0xf bank_mask:0xf
	s_delay_alu instid0(VALU_DEP_1) | instskip(NEXT) | instid1(VALU_DEP_1)
	v_cndmask_b32_e64 v59, 0, v59, s2
	v_add_nc_u32_e32 v58, v58, v59
	s_delay_alu instid0(VALU_DEP_1) | instskip(NEXT) | instid1(VALU_DEP_1)
	v_mov_b32_dpp v59, v58 row_shr:8 row_mask:0xf bank_mask:0xf
	v_cndmask_b32_e64 v59, 0, v59, s3
	s_delay_alu instid0(VALU_DEP_1)
	v_add_nc_u32_e32 v58, v58, v59
	ds_store_b32 v41, v58
.LBB142_24:                             ;   in Loop: Header=BB142_4 Depth=2
	s_or_b32 exec_lo, exec_lo, s10
	v_mov_b32_e32 v58, 0
	s_waitcnt lgkmcnt(0)
	s_barrier
	buffer_gl0_inv
	s_and_saveexec_b32 s10, s7
	s_cbranch_execz .LBB142_26
; %bb.25:                               ;   in Loop: Header=BB142_4 Depth=2
	ds_load_b32 v58, v42
.LBB142_26:                             ;   in Loop: Header=BB142_4 Depth=2
	s_or_b32 exec_lo, exec_lo, s10
	s_waitcnt lgkmcnt(0)
	v_add_nc_u32_e32 v3, v58, v3
	s_cmp_gt_u32 s16, 55
	ds_bpermute_b32 v3, v39, v3
	s_waitcnt lgkmcnt(0)
	v_cndmask_b32_e64 v3, v3, v58, s8
	s_delay_alu instid0(VALU_DEP_1) | instskip(NEXT) | instid1(VALU_DEP_1)
	v_cndmask_b32_e64 v3, v3, 0, s9
	v_add_nc_u32_e32 v4, v3, v4
	s_delay_alu instid0(VALU_DEP_1) | instskip(NEXT) | instid1(VALU_DEP_1)
	v_add_nc_u32_e32 v5, v4, v5
	v_add_nc_u32_e32 v6, v5, v6
	s_delay_alu instid0(VALU_DEP_1) | instskip(NEXT) | instid1(VALU_DEP_1)
	v_add_nc_u32_e32 v58, v6, v7
	v_add_nc_u32_e32 v59, v58, v0
	s_delay_alu instid0(VALU_DEP_1) | instskip(NEXT) | instid1(VALU_DEP_1)
	v_add_nc_u32_e32 v0, v59, v1
	v_add_nc_u32_e32 v1, v0, v2
	ds_store_2addr_b64 v34, v[3:4], v[5:6] offset0:8 offset1:9
	ds_store_2addr_b64 v37, v[58:59], v[0:1] offset0:2 offset1:3
	s_waitcnt lgkmcnt(0)
	s_barrier
	buffer_gl0_inv
	ds_load_b32 v0, v9
	ds_load_b32 v1, v12
	;; [unrolled: 1-line block ×8, first 2 shown]
	s_waitcnt lgkmcnt(7)
	v_add_nc_u32_e32 v57, v0, v8
	s_waitcnt lgkmcnt(6)
	v_add3_u32 v54, v11, v10, v1
	s_waitcnt lgkmcnt(5)
	v_add3_u32 v51, v14, v13, v2
	;; [unrolled: 2-line block ×7, first 2 shown]
	s_cbranch_scc0 .LBB142_3
; %bb.27:                               ;   in Loop: Header=BB142_2 Depth=1
                                        ; implicit-def: $vgpr14_vgpr15
                                        ; implicit-def: $vgpr10_vgpr11
                                        ; implicit-def: $vgpr6_vgpr7
                                        ; implicit-def: $vgpr2_vgpr3
                                        ; implicit-def: $sgpr16_sgpr17
	s_branch .LBB142_1
.LBB142_28:
	v_lshlrev_b32_e32 v0, 3, v17
	s_add_u32 s0, s18, s12
	s_addc_u32 s1, s19, s13
	s_delay_alu instid0(VALU_DEP_1) | instskip(NEXT) | instid1(VALU_DEP_1)
	v_add_co_u32 v23, s2, s0, v0
	v_add_co_ci_u32_e64 v24, null, s1, 0, s2
	s_delay_alu instid0(VALU_DEP_2) | instskip(NEXT) | instid1(VALU_DEP_2)
	v_add_co_u32 v17, vcc_lo, v23, 0x2000
	v_add_co_ci_u32_e32 v18, vcc_lo, 0, v24, vcc_lo
	v_add_co_u32 v19, vcc_lo, v23, 0x4000
	v_add_co_ci_u32_e32 v20, vcc_lo, 0, v24, vcc_lo
	;; [unrolled: 2-line block ×4, first 2 shown]
	s_clause 0x7
	global_store_b64 v0, v[1:2], s[0:1]
	global_store_b64 v[17:18], v[13:14], off
	global_store_b64 v[19:20], v[15:16], off offset:-4096
	global_store_b64 v[19:20], v[9:10], off
	global_store_b64 v[21:22], v[11:12], off offset:-4096
	global_store_b64 v[21:22], v[5:6], off
	global_store_b64 v[17:18], v[3:4], off offset:-4096
	global_store_b64 v[23:24], v[7:8], off
	s_nop 0
	s_sendmsg sendmsg(MSG_DEALLOC_VGPRS)
	s_endpgm
	.section	.rodata,"a",@progbits
	.p2align	6, 0x0
	.amdhsa_kernel _Z16sort_keys_kernelI22helper_blocked_blockedxLj512ELj8ELj10EEvPKT0_PS1_
		.amdhsa_group_segment_fixed_size 32768
		.amdhsa_private_segment_fixed_size 0
		.amdhsa_kernarg_size 272
		.amdhsa_user_sgpr_count 15
		.amdhsa_user_sgpr_dispatch_ptr 0
		.amdhsa_user_sgpr_queue_ptr 0
		.amdhsa_user_sgpr_kernarg_segment_ptr 1
		.amdhsa_user_sgpr_dispatch_id 0
		.amdhsa_user_sgpr_private_segment_size 0
		.amdhsa_wavefront_size32 1
		.amdhsa_uses_dynamic_stack 0
		.amdhsa_enable_private_segment 0
		.amdhsa_system_sgpr_workgroup_id_x 1
		.amdhsa_system_sgpr_workgroup_id_y 0
		.amdhsa_system_sgpr_workgroup_id_z 0
		.amdhsa_system_sgpr_workgroup_info 0
		.amdhsa_system_vgpr_workitem_id 2
		.amdhsa_next_free_vgpr 60
		.amdhsa_next_free_sgpr 23
		.amdhsa_reserve_vcc 1
		.amdhsa_float_round_mode_32 0
		.amdhsa_float_round_mode_16_64 0
		.amdhsa_float_denorm_mode_32 3
		.amdhsa_float_denorm_mode_16_64 3
		.amdhsa_dx10_clamp 1
		.amdhsa_ieee_mode 1
		.amdhsa_fp16_overflow 0
		.amdhsa_workgroup_processor_mode 1
		.amdhsa_memory_ordered 1
		.amdhsa_forward_progress 0
		.amdhsa_shared_vgpr_count 0
		.amdhsa_exception_fp_ieee_invalid_op 0
		.amdhsa_exception_fp_denorm_src 0
		.amdhsa_exception_fp_ieee_div_zero 0
		.amdhsa_exception_fp_ieee_overflow 0
		.amdhsa_exception_fp_ieee_underflow 0
		.amdhsa_exception_fp_ieee_inexact 0
		.amdhsa_exception_int_div_zero 0
	.end_amdhsa_kernel
	.section	.text._Z16sort_keys_kernelI22helper_blocked_blockedxLj512ELj8ELj10EEvPKT0_PS1_,"axG",@progbits,_Z16sort_keys_kernelI22helper_blocked_blockedxLj512ELj8ELj10EEvPKT0_PS1_,comdat
.Lfunc_end142:
	.size	_Z16sort_keys_kernelI22helper_blocked_blockedxLj512ELj8ELj10EEvPKT0_PS1_, .Lfunc_end142-_Z16sort_keys_kernelI22helper_blocked_blockedxLj512ELj8ELj10EEvPKT0_PS1_
                                        ; -- End function
	.section	.AMDGPU.csdata,"",@progbits
; Kernel info:
; codeLenInByte = 4716
; NumSgprs: 25
; NumVgprs: 60
; ScratchSize: 0
; MemoryBound: 0
; FloatMode: 240
; IeeeMode: 1
; LDSByteSize: 32768 bytes/workgroup (compile time only)
; SGPRBlocks: 3
; VGPRBlocks: 7
; NumSGPRsForWavesPerEU: 25
; NumVGPRsForWavesPerEU: 60
; Occupancy: 16
; WaveLimiterHint : 1
; COMPUTE_PGM_RSRC2:SCRATCH_EN: 0
; COMPUTE_PGM_RSRC2:USER_SGPR: 15
; COMPUTE_PGM_RSRC2:TRAP_HANDLER: 0
; COMPUTE_PGM_RSRC2:TGID_X_EN: 1
; COMPUTE_PGM_RSRC2:TGID_Y_EN: 0
; COMPUTE_PGM_RSRC2:TGID_Z_EN: 0
; COMPUTE_PGM_RSRC2:TIDIG_COMP_CNT: 2
	.section	.text._Z17sort_pairs_kernelI22helper_blocked_blockedxLj512ELj8ELj10EEvPKT0_PS1_,"axG",@progbits,_Z17sort_pairs_kernelI22helper_blocked_blockedxLj512ELj8ELj10EEvPKT0_PS1_,comdat
	.protected	_Z17sort_pairs_kernelI22helper_blocked_blockedxLj512ELj8ELj10EEvPKT0_PS1_ ; -- Begin function _Z17sort_pairs_kernelI22helper_blocked_blockedxLj512ELj8ELj10EEvPKT0_PS1_
	.globl	_Z17sort_pairs_kernelI22helper_blocked_blockedxLj512ELj8ELj10EEvPKT0_PS1_
	.p2align	8
	.type	_Z17sort_pairs_kernelI22helper_blocked_blockedxLj512ELj8ELj10EEvPKT0_PS1_,@function
_Z17sort_pairs_kernelI22helper_blocked_blockedxLj512ELj8ELj10EEvPKT0_PS1_: ; @_Z17sort_pairs_kernelI22helper_blocked_blockedxLj512ELj8ELj10EEvPKT0_PS1_
; %bb.0:
	s_clause 0x1
	s_load_b128 s[16:19], s[0:1], 0x0
	s_load_b32 s9, s[0:1], 0x1c
	v_and_b32_e32 v49, 0x3ff, v0
	s_mov_b32 s21, 0
	s_lshl_b32 s20, s15, 12
	s_mov_b32 s14, s21
	s_lshl_b64 s[12:13], s[20:21], 3
	v_lshlrev_b32_e32 v17, 3, v49
	s_mov_b32 s20, s21
	s_mov_b32 s15, s21
	;; [unrolled: 1-line block ×3, first 2 shown]
	s_waitcnt lgkmcnt(0)
	s_add_u32 s0, s16, s12
	s_addc_u32 s1, s17, s13
	v_add_co_u32 v18, s2, s0, v17
	s_delay_alu instid0(VALU_DEP_1) | instskip(SKIP_1) | instid1(VALU_DEP_2)
	v_add_co_ci_u32_e64 v19, null, s1, 0, s2
	s_lshr_b32 s10, s9, 16
	v_add_co_u32 v1, vcc_lo, v18, 0x2000
	s_delay_alu instid0(VALU_DEP_2)
	v_add_co_ci_u32_e32 v2, vcc_lo, 0, v19, vcc_lo
	v_add_co_u32 v3, vcc_lo, v18, 0x4000
	s_clause 0x1
	global_load_b64 v[13:14], v17, s[0:1]
	global_load_b64 v[15:16], v[1:2], off offset:-4096
	v_add_co_ci_u32_e32 v4, vcc_lo, 0, v19, vcc_lo
	s_clause 0x1
	global_load_b64 v[9:10], v[1:2], off
	global_load_b64 v[11:12], v[3:4], off offset:-4096
	v_add_co_u32 v1, vcc_lo, v18, 0x6000
	v_add_co_ci_u32_e32 v2, vcc_lo, 0, v19, vcc_lo
	s_clause 0x1
	global_load_b64 v[5:6], v[3:4], off
	global_load_b64 v[7:8], v[1:2], off offset:-4096
	v_add_co_u32 v3, vcc_lo, 0x7000, v18
	v_add_co_ci_u32_e32 v4, vcc_lo, 0, v19, vcc_lo
	s_clause 0x1
	global_load_b64 v[1:2], v[1:2], off
	global_load_b64 v[3:4], v[3:4], off
	v_mbcnt_lo_u32_b32 v18, -1, 0
	v_bfe_u32 v19, v0, 10, 10
	v_bfe_u32 v0, v0, 20, 10
	s_and_b32 s9, s9, 0xffff
	s_delay_alu instid0(VALU_DEP_3)
	v_add_nc_u32_e32 v22, -1, v18
	v_and_b32_e32 v20, 15, v18
	v_and_b32_e32 v21, 16, v18
	v_and_or_b32 v24, 0xf00, v17, v18
	v_mad_u32_u24 v0, v0, s10, v19
	v_cmp_gt_i32_e32 vcc_lo, 0, v22
	v_cmp_eq_u32_e64 s1, 0, v20
	v_cmp_lt_u32_e64 s2, 1, v20
	v_cmp_lt_u32_e64 s3, 3, v20
	;; [unrolled: 1-line block ×3, first 2 shown]
	v_dual_cndmask_b32 v20, v22, v18 :: v_dual_and_b32 v23, 0x1e0, v49
	v_cmp_eq_u32_e64 s5, 0, v21
	v_lshrrev_b32_e32 v21, 3, v49
	v_lshlrev_b32_e32 v72, 3, v24
	v_cmp_eq_u32_e64 s0, 0, v18
	v_or_b32_e32 v22, v18, v23
	v_or_b32_e32 v19, 31, v23
	v_and_b32_e32 v69, 60, v21
	v_mad_u64_u32 v[17:18], null, v0, s9, v[49:50]
	s_delay_alu instid0(VALU_DEP_4)
	v_lshlrev_b32_e32 v71, 6, v22
	v_lshlrev_b32_e32 v66, 5, v49
	v_mul_u32_u24_e32 v33, 60, v49
	v_cmp_eq_u32_e64 s9, v19, v49
	v_cmp_gt_u32_e64 s6, 16, v49
	v_cmp_lt_u32_e64 s7, 31, v49
	v_mad_i32_i24 v70, 0xffffffe4, v49, v66
	v_lshrrev_b32_e32 v74, 5, v17
	v_cmp_eq_u32_e64 s8, 0, v49
	v_add_nc_u32_e32 v67, 64, v66
	v_lshlrev_b32_e32 v68, 2, v20
	v_add_nc_u32_e32 v73, -4, v69
	v_add_nc_u32_e32 v75, v70, v33
	s_waitcnt vmcnt(7)
	v_add_co_u32 v21, vcc_lo, v13, 1
	v_add_co_ci_u32_e32 v22, vcc_lo, 0, v14, vcc_lo
	s_waitcnt vmcnt(6)
	v_add_co_u32 v23, vcc_lo, v15, 1
	v_add_co_ci_u32_e32 v24, vcc_lo, 0, v16, vcc_lo
	;; [unrolled: 3-line block ×8, first 2 shown]
	s_branch .LBB143_2
.LBB143_1:                              ;   in Loop: Header=BB143_2 Depth=1
	v_lshlrev_b32_e32 v0, 3, v82
	v_lshlrev_b32_e32 v33, 3, v81
	;; [unrolled: 1-line block ×3, first 2 shown]
	s_barrier
	buffer_gl0_inv
	ds_store_b64 v0, v[20:21]
	ds_store_b64 v33, v[30:31]
	;; [unrolled: 1-line block ×3, first 2 shown]
	v_lshlrev_b32_e32 v20, 3, v79
	v_lshlrev_b32_e32 v21, 3, v78
	;; [unrolled: 1-line block ×5, first 2 shown]
	ds_store_b64 v20, v[26:27]
	ds_store_b64 v21, v[24:25]
	ds_store_b64 v28, v[22:23]
	ds_store_b64 v29, v[18:19]
	ds_store_b64 v30, v[16:17]
	s_waitcnt lgkmcnt(0)
	s_barrier
	buffer_gl0_inv
	ds_load_2addr_b64 v[13:16], v75 offset1:1
	ds_load_2addr_b64 v[9:12], v75 offset0:2 offset1:3
	ds_load_2addr_b64 v[5:8], v75 offset0:4 offset1:5
	;; [unrolled: 1-line block ×3, first 2 shown]
	s_waitcnt lgkmcnt(0)
	s_barrier
	buffer_gl0_inv
	ds_store_b64 v0, v[64:65]
	ds_store_b64 v33, v[62:63]
	;; [unrolled: 1-line block ×8, first 2 shown]
	s_waitcnt lgkmcnt(0)
	s_barrier
	buffer_gl0_inv
	ds_load_2addr_b64 v[21:24], v75 offset1:1
	ds_load_2addr_b64 v[25:28], v75 offset0:2 offset1:3
	ds_load_2addr_b64 v[29:32], v75 offset0:4 offset1:5
	;; [unrolled: 1-line block ×3, first 2 shown]
	s_add_i32 s11, s11, 1
	s_delay_alu instid0(SALU_CYCLE_1)
	s_cmp_eq_u32 s11, 10
	v_xor_b32_e32 v14, 0x80000000, v14
	v_xor_b32_e32 v16, 0x80000000, v16
	;; [unrolled: 1-line block ×8, first 2 shown]
	s_cbranch_scc1 .LBB143_28
.LBB143_2:                              ; =>This Loop Header: Depth=1
                                        ;     Child Loop BB143_4 Depth 2
	v_xor_b32_e32 v14, 0x80000000, v14
	v_xor_b32_e32 v16, 0x80000000, v16
	;; [unrolled: 1-line block ×8, first 2 shown]
	ds_store_2addr_b64 v71, v[13:14], v[15:16] offset1:1
	ds_store_2addr_b64 v71, v[9:10], v[11:12] offset0:2 offset1:3
	ds_store_2addr_b64 v71, v[5:6], v[7:8] offset0:4 offset1:5
	;; [unrolled: 1-line block ×3, first 2 shown]
	; wave barrier
	ds_load_2addr_b64 v[33:36], v72 offset1:32
	ds_load_2addr_b64 v[37:40], v72 offset0:64 offset1:96
	ds_load_2addr_b64 v[41:44], v72 offset0:128 offset1:160
	;; [unrolled: 1-line block ×3, first 2 shown]
	; wave barrier
	s_waitcnt lgkmcnt(11)
	ds_store_2addr_b64 v71, v[21:22], v[23:24] offset1:1
	s_waitcnt lgkmcnt(11)
	ds_store_2addr_b64 v71, v[25:26], v[27:28] offset0:2 offset1:3
	s_waitcnt lgkmcnt(11)
	ds_store_2addr_b64 v71, v[29:30], v[31:32] offset0:4 offset1:5
	;; [unrolled: 2-line block ×3, first 2 shown]
	; wave barrier
	ds_load_2addr_b64 v[0:3], v72 offset1:32
	ds_load_2addr_b64 v[4:7], v72 offset0:64 offset1:96
	ds_load_2addr_b64 v[8:11], v72 offset0:128 offset1:160
	;; [unrolled: 1-line block ×3, first 2 shown]
	s_mov_b64 s[16:17], 0
	s_waitcnt lgkmcnt(0)
	s_barrier
	s_branch .LBB143_4
.LBB143_3:                              ;   in Loop: Header=BB143_4 Depth=2
	v_lshlrev_b32_e32 v0, 3, v82
	v_lshlrev_b32_e32 v3, 3, v79
	;; [unrolled: 1-line block ×8, first 2 shown]
	s_barrier
	buffer_gl0_inv
	ds_store_b64 v0, v[20:21]
	ds_store_b64 v1, v[30:31]
	;; [unrolled: 1-line block ×8, first 2 shown]
	s_waitcnt lgkmcnt(0)
	s_barrier
	buffer_gl0_inv
	ds_load_2addr_b64 v[33:36], v72 offset1:32
	ds_load_2addr_b64 v[37:40], v72 offset0:64 offset1:96
	ds_load_2addr_b64 v[41:44], v72 offset0:128 offset1:160
	;; [unrolled: 1-line block ×3, first 2 shown]
	s_waitcnt lgkmcnt(0)
	s_barrier
	buffer_gl0_inv
	ds_store_b64 v0, v[64:65]
	ds_store_b64 v1, v[62:63]
	;; [unrolled: 1-line block ×8, first 2 shown]
	s_waitcnt lgkmcnt(0)
	s_barrier
	buffer_gl0_inv
	ds_load_2addr_b64 v[0:3], v72 offset1:32
	ds_load_2addr_b64 v[4:7], v72 offset0:64 offset1:96
	ds_load_2addr_b64 v[8:11], v72 offset0:128 offset1:160
	;; [unrolled: 1-line block ×3, first 2 shown]
	s_add_u32 s16, s16, 8
	s_addc_u32 s17, s17, 0
	s_waitcnt lgkmcnt(0)
	s_barrier
	s_cbranch_execz .LBB143_1
.LBB143_4:                              ;   Parent Loop BB143_2 Depth=1
                                        ; =>  This Inner Loop Header: Depth=2
	v_dual_mov_b32 v20, v33 :: v_dual_mov_b32 v21, v34
	v_dual_mov_b32 v28, v37 :: v_dual_mov_b32 v29, v38
	;; [unrolled: 1-line block ×3, first 2 shown]
	s_delay_alu instid0(VALU_DEP_3) | instskip(SKIP_3) | instid1(VALU_DEP_4)
	v_lshrrev_b64 v[32:33], s16, v[20:21]
	v_dual_mov_b32 v30, v35 :: v_dual_mov_b32 v31, v36
	v_mov_b32_e32 v59, v7
	v_dual_mov_b32 v26, v39 :: v_dual_mov_b32 v27, v40
	v_and_b32_e32 v33, 1, v32
	v_dual_mov_b32 v51, v15 :: v_dual_lshlrev_b32 v34, 30, v32
	v_dual_mov_b32 v50, v14 :: v_dual_lshlrev_b32 v35, 29, v32
	s_delay_alu instid0(VALU_DEP_3) | instskip(NEXT) | instid1(VALU_DEP_1)
	v_add_co_u32 v33, s10, v33, -1
	v_cndmask_b32_e64 v37, 0, 1, s10
	s_delay_alu instid0(VALU_DEP_4) | instskip(SKIP_2) | instid1(VALU_DEP_4)
	v_not_b32_e32 v41, v34
	v_dual_mov_b32 v53, v13 :: v_dual_lshlrev_b32 v36, 28, v32
	v_cmp_gt_i32_e64 s10, 0, v34
	v_cmp_ne_u32_e32 vcc_lo, 0, v37
	s_delay_alu instid0(VALU_DEP_4)
	v_ashrrev_i32_e32 v41, 31, v41
	v_mov_b32_e32 v52, v12
	v_not_b32_e32 v34, v35
	v_dual_mov_b32 v55, v11 :: v_dual_lshlrev_b32 v38, 27, v32
	v_xor_b32_e32 v33, vcc_lo, v33
	v_cmp_gt_i32_e32 vcc_lo, 0, v35
	v_not_b32_e32 v35, v36
	v_ashrrev_i32_e32 v34, 31, v34
	v_xor_b32_e32 v41, s10, v41
	v_dual_mov_b32 v58, v6 :: v_dual_and_b32 v33, exec_lo, v33
	v_dual_mov_b32 v54, v10 :: v_dual_lshlrev_b32 v39, 26, v32
	v_cmp_gt_i32_e64 s10, 0, v36
	v_not_b32_e32 v36, v38
	v_ashrrev_i32_e32 v35, 31, v35
	v_xor_b32_e32 v34, vcc_lo, v34
	v_and_b32_e32 v33, v33, v41
	v_dual_mov_b32 v61, v5 :: v_dual_lshlrev_b32 v40, 25, v32
	v_mov_b32_e32 v57, v9
	v_cmp_gt_i32_e32 vcc_lo, 0, v38
	v_not_b32_e32 v38, v39
	v_ashrrev_i32_e32 v36, 31, v36
	v_xor_b32_e32 v35, s10, v35
	v_dual_mov_b32 v60, v4 :: v_dual_and_b32 v33, v33, v34
	v_dual_mov_b32 v63, v3 :: v_dual_mov_b32 v62, v2
	v_dual_mov_b32 v56, v8 :: v_dual_lshlrev_b32 v37, 24, v32
	v_cmp_gt_i32_e64 s10, 0, v39
	v_not_b32_e32 v34, v40
	v_ashrrev_i32_e32 v38, 31, v38
	v_xor_b32_e32 v36, vcc_lo, v36
	v_and_b32_e32 v33, v33, v35
	v_dual_mov_b32 v3, s20 :: v_dual_mov_b32 v4, s21
	v_cmp_gt_i32_e32 vcc_lo, 0, v40
	v_not_b32_e32 v35, v37
	v_ashrrev_i32_e32 v34, 31, v34
	v_xor_b32_e32 v38, s10, v38
	v_and_b32_e32 v33, v33, v36
	v_dual_mov_b32 v5, s14 :: v_dual_mov_b32 v6, s15
	v_cmp_gt_i32_e64 s10, 0, v37
	v_ashrrev_i32_e32 v14, 31, v35
	v_xor_b32_e32 v15, vcc_lo, v34
	v_and_b32_e32 v33, v33, v38
	v_dual_mov_b32 v65, v1 :: v_dual_mov_b32 v64, v0
	s_delay_alu instid0(VALU_DEP_4) | instskip(SKIP_1) | instid1(VALU_DEP_4)
	v_xor_b32_e32 v8, s10, v14
	v_and_b32_e32 v0, 0xff, v32
	v_dual_mov_b32 v16, v47 :: v_dual_and_b32 v9, v33, v15
	v_dual_mov_b32 v17, v48 :: v_dual_mov_b32 v18, v45
	s_delay_alu instid0(VALU_DEP_2) | instskip(NEXT) | instid1(VALU_DEP_4)
	v_dual_mov_b32 v19, v46 :: v_dual_and_b32 v2, v9, v8
	v_lshl_add_u32 v0, v0, 4, v74
	v_dual_mov_b32 v22, v43 :: v_dual_mov_b32 v23, v44
	buffer_gl0_inv
	v_mbcnt_lo_u32_b32 v8, v2, 0
	v_cmp_ne_u32_e64 s10, 0, v2
	v_lshl_add_u32 v9, v0, 2, 64
	ds_store_2addr_b64 v66, v[3:4], v[5:6] offset0:8 offset1:9
	ds_store_2addr_b64 v67, v[3:4], v[5:6] offset0:2 offset1:3
	s_waitcnt lgkmcnt(0)
	v_cmp_eq_u32_e32 vcc_lo, 0, v8
	s_barrier
	buffer_gl0_inv
	; wave barrier
	s_and_b32 s22, s10, vcc_lo
	s_delay_alu instid0(SALU_CYCLE_1)
	s_and_saveexec_b32 s10, s22
	s_cbranch_execz .LBB143_6
; %bb.5:                                ;   in Loop: Header=BB143_4 Depth=2
	v_bcnt_u32_b32 v0, v2, 0
	ds_store_b32 v9, v0
.LBB143_6:                              ;   in Loop: Header=BB143_4 Depth=2
	s_or_b32 exec_lo, exec_lo, s10
	v_lshrrev_b64 v[0:1], s16, v[30:31]
	; wave barrier
	s_delay_alu instid0(VALU_DEP_1)
	v_and_b32_e32 v2, 1, v0
	v_lshlrev_b32_e32 v3, 30, v0
	v_lshlrev_b32_e32 v4, 29, v0
	;; [unrolled: 1-line block ×4, first 2 shown]
	v_add_co_u32 v2, s10, v2, -1
	s_delay_alu instid0(VALU_DEP_1)
	v_cndmask_b32_e64 v6, 0, 1, s10
	v_not_b32_e32 v12, v3
	v_cmp_gt_i32_e64 s10, 0, v3
	v_not_b32_e32 v3, v4
	v_lshlrev_b32_e32 v10, 26, v0
	v_cmp_ne_u32_e32 vcc_lo, 0, v6
	v_ashrrev_i32_e32 v6, 31, v12
	v_lshlrev_b32_e32 v11, 25, v0
	v_ashrrev_i32_e32 v3, 31, v3
	v_and_b32_e32 v1, 0xff, v0
	v_xor_b32_e32 v2, vcc_lo, v2
	v_cmp_gt_i32_e32 vcc_lo, 0, v4
	v_not_b32_e32 v4, v5
	v_xor_b32_e32 v6, s10, v6
	v_cmp_gt_i32_e64 s10, 0, v5
	v_and_b32_e32 v2, exec_lo, v2
	v_not_b32_e32 v5, v7
	v_ashrrev_i32_e32 v4, 31, v4
	v_xor_b32_e32 v3, vcc_lo, v3
	v_cmp_gt_i32_e32 vcc_lo, 0, v7
	v_and_b32_e32 v2, v2, v6
	v_not_b32_e32 v6, v10
	v_ashrrev_i32_e32 v5, 31, v5
	v_xor_b32_e32 v4, s10, v4
	v_lshlrev_b32_e32 v0, 24, v0
	v_and_b32_e32 v2, v2, v3
	v_cmp_gt_i32_e64 s10, 0, v10
	v_not_b32_e32 v3, v11
	v_ashrrev_i32_e32 v6, 31, v6
	v_xor_b32_e32 v5, vcc_lo, v5
	v_and_b32_e32 v2, v2, v4
	v_cmp_gt_i32_e32 vcc_lo, 0, v11
	v_not_b32_e32 v4, v0
	v_ashrrev_i32_e32 v3, 31, v3
	v_xor_b32_e32 v6, s10, v6
	v_and_b32_e32 v2, v2, v5
	v_lshlrev_b32_e32 v1, 4, v1
	v_cmp_gt_i32_e64 s10, 0, v0
	v_ashrrev_i32_e32 v0, 31, v4
	v_xor_b32_e32 v3, vcc_lo, v3
	v_and_b32_e32 v2, v2, v6
	v_add_lshl_u32 v1, v1, v74, 2
	s_delay_alu instid0(VALU_DEP_4) | instskip(NEXT) | instid1(VALU_DEP_3)
	v_xor_b32_e32 v0, s10, v0
	v_and_b32_e32 v2, v2, v3
	ds_load_b32 v10, v1 offset:64
	v_add_nc_u32_e32 v12, 64, v1
	; wave barrier
	v_and_b32_e32 v0, v2, v0
	s_delay_alu instid0(VALU_DEP_1) | instskip(SKIP_1) | instid1(VALU_DEP_2)
	v_mbcnt_lo_u32_b32 v11, v0, 0
	v_cmp_ne_u32_e64 s10, 0, v0
	v_cmp_eq_u32_e32 vcc_lo, 0, v11
	s_delay_alu instid0(VALU_DEP_2) | instskip(NEXT) | instid1(SALU_CYCLE_1)
	s_and_b32 s22, s10, vcc_lo
	s_and_saveexec_b32 s10, s22
	s_cbranch_execz .LBB143_8
; %bb.7:                                ;   in Loop: Header=BB143_4 Depth=2
	s_waitcnt lgkmcnt(0)
	v_bcnt_u32_b32 v0, v0, v10
	ds_store_b32 v12, v0
.LBB143_8:                              ;   in Loop: Header=BB143_4 Depth=2
	s_or_b32 exec_lo, exec_lo, s10
	v_lshrrev_b64 v[0:1], s16, v[28:29]
	; wave barrier
	s_delay_alu instid0(VALU_DEP_1)
	v_and_b32_e32 v2, 1, v0
	v_lshlrev_b32_e32 v3, 30, v0
	v_lshlrev_b32_e32 v4, 29, v0
	;; [unrolled: 1-line block ×4, first 2 shown]
	v_add_co_u32 v2, s10, v2, -1
	s_delay_alu instid0(VALU_DEP_1)
	v_cndmask_b32_e64 v6, 0, 1, s10
	v_not_b32_e32 v15, v3
	v_cmp_gt_i32_e64 s10, 0, v3
	v_not_b32_e32 v3, v4
	v_lshlrev_b32_e32 v13, 26, v0
	v_cmp_ne_u32_e32 vcc_lo, 0, v6
	v_ashrrev_i32_e32 v6, 31, v15
	v_lshlrev_b32_e32 v14, 25, v0
	v_ashrrev_i32_e32 v3, 31, v3
	v_and_b32_e32 v1, 0xff, v0
	v_xor_b32_e32 v2, vcc_lo, v2
	v_cmp_gt_i32_e32 vcc_lo, 0, v4
	v_not_b32_e32 v4, v5
	v_xor_b32_e32 v6, s10, v6
	v_cmp_gt_i32_e64 s10, 0, v5
	v_and_b32_e32 v2, exec_lo, v2
	v_not_b32_e32 v5, v7
	v_ashrrev_i32_e32 v4, 31, v4
	v_xor_b32_e32 v3, vcc_lo, v3
	v_cmp_gt_i32_e32 vcc_lo, 0, v7
	v_and_b32_e32 v2, v2, v6
	v_not_b32_e32 v6, v13
	v_ashrrev_i32_e32 v5, 31, v5
	v_xor_b32_e32 v4, s10, v4
	v_lshlrev_b32_e32 v0, 24, v0
	v_and_b32_e32 v2, v2, v3
	v_cmp_gt_i32_e64 s10, 0, v13
	v_not_b32_e32 v3, v14
	v_ashrrev_i32_e32 v6, 31, v6
	v_xor_b32_e32 v5, vcc_lo, v5
	v_and_b32_e32 v2, v2, v4
	v_cmp_gt_i32_e32 vcc_lo, 0, v14
	v_not_b32_e32 v4, v0
	v_ashrrev_i32_e32 v3, 31, v3
	v_xor_b32_e32 v6, s10, v6
	v_and_b32_e32 v2, v2, v5
	v_lshlrev_b32_e32 v1, 4, v1
	v_cmp_gt_i32_e64 s10, 0, v0
	v_ashrrev_i32_e32 v0, 31, v4
	v_xor_b32_e32 v3, vcc_lo, v3
	v_and_b32_e32 v2, v2, v6
	v_add_lshl_u32 v1, v1, v74, 2
	s_delay_alu instid0(VALU_DEP_4) | instskip(NEXT) | instid1(VALU_DEP_3)
	v_xor_b32_e32 v0, s10, v0
	v_and_b32_e32 v2, v2, v3
	ds_load_b32 v13, v1 offset:64
	v_add_nc_u32_e32 v15, 64, v1
	; wave barrier
	v_and_b32_e32 v0, v2, v0
	s_delay_alu instid0(VALU_DEP_1) | instskip(SKIP_1) | instid1(VALU_DEP_2)
	v_mbcnt_lo_u32_b32 v14, v0, 0
	v_cmp_ne_u32_e64 s10, 0, v0
	v_cmp_eq_u32_e32 vcc_lo, 0, v14
	s_delay_alu instid0(VALU_DEP_2) | instskip(NEXT) | instid1(SALU_CYCLE_1)
	s_and_b32 s22, s10, vcc_lo
	s_and_saveexec_b32 s10, s22
	s_cbranch_execz .LBB143_10
; %bb.9:                                ;   in Loop: Header=BB143_4 Depth=2
	s_waitcnt lgkmcnt(0)
	v_bcnt_u32_b32 v0, v0, v13
	ds_store_b32 v15, v0
.LBB143_10:                             ;   in Loop: Header=BB143_4 Depth=2
	s_or_b32 exec_lo, exec_lo, s10
	v_lshrrev_b64 v[0:1], s16, v[26:27]
	; wave barrier
	s_delay_alu instid0(VALU_DEP_1)
	v_and_b32_e32 v2, 1, v0
	v_lshlrev_b32_e32 v3, 30, v0
	v_lshlrev_b32_e32 v4, 29, v0
	;; [unrolled: 1-line block ×4, first 2 shown]
	v_add_co_u32 v2, s10, v2, -1
	s_delay_alu instid0(VALU_DEP_1)
	v_cndmask_b32_e64 v6, 0, 1, s10
	v_not_b32_e32 v34, v3
	v_cmp_gt_i32_e64 s10, 0, v3
	v_not_b32_e32 v3, v4
	v_lshlrev_b32_e32 v32, 26, v0
	v_cmp_ne_u32_e32 vcc_lo, 0, v6
	v_ashrrev_i32_e32 v6, 31, v34
	v_lshlrev_b32_e32 v33, 25, v0
	v_ashrrev_i32_e32 v3, 31, v3
	v_and_b32_e32 v1, 0xff, v0
	v_xor_b32_e32 v2, vcc_lo, v2
	v_cmp_gt_i32_e32 vcc_lo, 0, v4
	v_not_b32_e32 v4, v5
	v_xor_b32_e32 v6, s10, v6
	v_cmp_gt_i32_e64 s10, 0, v5
	v_and_b32_e32 v2, exec_lo, v2
	v_not_b32_e32 v5, v7
	v_ashrrev_i32_e32 v4, 31, v4
	v_xor_b32_e32 v3, vcc_lo, v3
	v_cmp_gt_i32_e32 vcc_lo, 0, v7
	v_and_b32_e32 v2, v2, v6
	v_not_b32_e32 v6, v32
	v_ashrrev_i32_e32 v5, 31, v5
	v_xor_b32_e32 v4, s10, v4
	v_lshlrev_b32_e32 v0, 24, v0
	v_and_b32_e32 v2, v2, v3
	v_cmp_gt_i32_e64 s10, 0, v32
	v_not_b32_e32 v3, v33
	v_ashrrev_i32_e32 v6, 31, v6
	v_xor_b32_e32 v5, vcc_lo, v5
	v_and_b32_e32 v2, v2, v4
	v_cmp_gt_i32_e32 vcc_lo, 0, v33
	v_not_b32_e32 v4, v0
	v_ashrrev_i32_e32 v3, 31, v3
	v_xor_b32_e32 v6, s10, v6
	v_and_b32_e32 v2, v2, v5
	v_lshlrev_b32_e32 v1, 4, v1
	v_cmp_gt_i32_e64 s10, 0, v0
	v_ashrrev_i32_e32 v0, 31, v4
	v_xor_b32_e32 v3, vcc_lo, v3
	v_and_b32_e32 v2, v2, v6
	v_add_lshl_u32 v1, v1, v74, 2
	s_delay_alu instid0(VALU_DEP_4) | instskip(NEXT) | instid1(VALU_DEP_3)
	v_xor_b32_e32 v0, s10, v0
	v_and_b32_e32 v2, v2, v3
	ds_load_b32 v32, v1 offset:64
	v_add_nc_u32_e32 v34, 64, v1
	; wave barrier
	v_and_b32_e32 v0, v2, v0
	s_delay_alu instid0(VALU_DEP_1) | instskip(SKIP_1) | instid1(VALU_DEP_2)
	v_mbcnt_lo_u32_b32 v33, v0, 0
	v_cmp_ne_u32_e64 s10, 0, v0
	v_cmp_eq_u32_e32 vcc_lo, 0, v33
	s_delay_alu instid0(VALU_DEP_2) | instskip(NEXT) | instid1(SALU_CYCLE_1)
	s_and_b32 s22, s10, vcc_lo
	s_and_saveexec_b32 s10, s22
	s_cbranch_execz .LBB143_12
; %bb.11:                               ;   in Loop: Header=BB143_4 Depth=2
	s_waitcnt lgkmcnt(0)
	v_bcnt_u32_b32 v0, v0, v32
	ds_store_b32 v34, v0
.LBB143_12:                             ;   in Loop: Header=BB143_4 Depth=2
	s_or_b32 exec_lo, exec_lo, s10
	v_lshrrev_b64 v[0:1], s16, v[24:25]
	; wave barrier
	s_delay_alu instid0(VALU_DEP_1)
	v_and_b32_e32 v2, 1, v0
	v_lshlrev_b32_e32 v3, 30, v0
	v_lshlrev_b32_e32 v4, 29, v0
	;; [unrolled: 1-line block ×4, first 2 shown]
	v_add_co_u32 v2, s10, v2, -1
	s_delay_alu instid0(VALU_DEP_1)
	v_cndmask_b32_e64 v6, 0, 1, s10
	v_not_b32_e32 v37, v3
	v_cmp_gt_i32_e64 s10, 0, v3
	v_not_b32_e32 v3, v4
	v_lshlrev_b32_e32 v35, 26, v0
	v_cmp_ne_u32_e32 vcc_lo, 0, v6
	v_ashrrev_i32_e32 v6, 31, v37
	v_lshlrev_b32_e32 v36, 25, v0
	v_ashrrev_i32_e32 v3, 31, v3
	v_and_b32_e32 v1, 0xff, v0
	v_xor_b32_e32 v2, vcc_lo, v2
	v_cmp_gt_i32_e32 vcc_lo, 0, v4
	v_not_b32_e32 v4, v5
	v_xor_b32_e32 v6, s10, v6
	v_cmp_gt_i32_e64 s10, 0, v5
	v_and_b32_e32 v2, exec_lo, v2
	v_not_b32_e32 v5, v7
	v_ashrrev_i32_e32 v4, 31, v4
	v_xor_b32_e32 v3, vcc_lo, v3
	v_cmp_gt_i32_e32 vcc_lo, 0, v7
	v_and_b32_e32 v2, v2, v6
	v_not_b32_e32 v6, v35
	v_ashrrev_i32_e32 v5, 31, v5
	v_xor_b32_e32 v4, s10, v4
	v_lshlrev_b32_e32 v0, 24, v0
	v_and_b32_e32 v2, v2, v3
	v_cmp_gt_i32_e64 s10, 0, v35
	v_not_b32_e32 v3, v36
	v_ashrrev_i32_e32 v6, 31, v6
	v_xor_b32_e32 v5, vcc_lo, v5
	v_and_b32_e32 v2, v2, v4
	v_cmp_gt_i32_e32 vcc_lo, 0, v36
	v_not_b32_e32 v4, v0
	v_ashrrev_i32_e32 v3, 31, v3
	v_xor_b32_e32 v6, s10, v6
	v_and_b32_e32 v2, v2, v5
	v_lshlrev_b32_e32 v1, 4, v1
	v_cmp_gt_i32_e64 s10, 0, v0
	v_ashrrev_i32_e32 v0, 31, v4
	v_xor_b32_e32 v3, vcc_lo, v3
	v_and_b32_e32 v2, v2, v6
	v_add_lshl_u32 v1, v1, v74, 2
	s_delay_alu instid0(VALU_DEP_4) | instskip(NEXT) | instid1(VALU_DEP_3)
	v_xor_b32_e32 v0, s10, v0
	v_and_b32_e32 v2, v2, v3
	ds_load_b32 v35, v1 offset:64
	v_add_nc_u32_e32 v37, 64, v1
	; wave barrier
	v_and_b32_e32 v0, v2, v0
	s_delay_alu instid0(VALU_DEP_1) | instskip(SKIP_1) | instid1(VALU_DEP_2)
	v_mbcnt_lo_u32_b32 v36, v0, 0
	v_cmp_ne_u32_e64 s10, 0, v0
	v_cmp_eq_u32_e32 vcc_lo, 0, v36
	s_delay_alu instid0(VALU_DEP_2) | instskip(NEXT) | instid1(SALU_CYCLE_1)
	s_and_b32 s22, s10, vcc_lo
	s_and_saveexec_b32 s10, s22
	s_cbranch_execz .LBB143_14
; %bb.13:                               ;   in Loop: Header=BB143_4 Depth=2
	s_waitcnt lgkmcnt(0)
	v_bcnt_u32_b32 v0, v0, v35
	ds_store_b32 v37, v0
.LBB143_14:                             ;   in Loop: Header=BB143_4 Depth=2
	s_or_b32 exec_lo, exec_lo, s10
	v_lshrrev_b64 v[0:1], s16, v[22:23]
	; wave barrier
	s_delay_alu instid0(VALU_DEP_1)
	v_and_b32_e32 v2, 1, v0
	v_lshlrev_b32_e32 v3, 30, v0
	v_lshlrev_b32_e32 v4, 29, v0
	v_lshlrev_b32_e32 v5, 28, v0
	v_lshlrev_b32_e32 v7, 27, v0
	v_add_co_u32 v2, s10, v2, -1
	s_delay_alu instid0(VALU_DEP_1)
	v_cndmask_b32_e64 v6, 0, 1, s10
	v_not_b32_e32 v40, v3
	v_cmp_gt_i32_e64 s10, 0, v3
	v_not_b32_e32 v3, v4
	v_lshlrev_b32_e32 v38, 26, v0
	v_cmp_ne_u32_e32 vcc_lo, 0, v6
	v_ashrrev_i32_e32 v6, 31, v40
	v_lshlrev_b32_e32 v39, 25, v0
	v_ashrrev_i32_e32 v3, 31, v3
	v_and_b32_e32 v1, 0xff, v0
	v_xor_b32_e32 v2, vcc_lo, v2
	v_cmp_gt_i32_e32 vcc_lo, 0, v4
	v_not_b32_e32 v4, v5
	v_xor_b32_e32 v6, s10, v6
	v_cmp_gt_i32_e64 s10, 0, v5
	v_and_b32_e32 v2, exec_lo, v2
	v_not_b32_e32 v5, v7
	v_ashrrev_i32_e32 v4, 31, v4
	v_xor_b32_e32 v3, vcc_lo, v3
	v_cmp_gt_i32_e32 vcc_lo, 0, v7
	v_and_b32_e32 v2, v2, v6
	v_not_b32_e32 v6, v38
	v_ashrrev_i32_e32 v5, 31, v5
	v_xor_b32_e32 v4, s10, v4
	v_lshlrev_b32_e32 v0, 24, v0
	v_and_b32_e32 v2, v2, v3
	v_cmp_gt_i32_e64 s10, 0, v38
	v_not_b32_e32 v3, v39
	v_ashrrev_i32_e32 v6, 31, v6
	v_xor_b32_e32 v5, vcc_lo, v5
	v_and_b32_e32 v2, v2, v4
	v_cmp_gt_i32_e32 vcc_lo, 0, v39
	v_not_b32_e32 v4, v0
	v_ashrrev_i32_e32 v3, 31, v3
	v_xor_b32_e32 v6, s10, v6
	v_and_b32_e32 v2, v2, v5
	v_lshlrev_b32_e32 v1, 4, v1
	v_cmp_gt_i32_e64 s10, 0, v0
	v_ashrrev_i32_e32 v0, 31, v4
	v_xor_b32_e32 v3, vcc_lo, v3
	v_and_b32_e32 v2, v2, v6
	v_add_lshl_u32 v1, v1, v74, 2
	s_delay_alu instid0(VALU_DEP_4) | instskip(NEXT) | instid1(VALU_DEP_3)
	v_xor_b32_e32 v0, s10, v0
	v_and_b32_e32 v2, v2, v3
	ds_load_b32 v38, v1 offset:64
	v_add_nc_u32_e32 v40, 64, v1
	; wave barrier
	v_and_b32_e32 v0, v2, v0
	s_delay_alu instid0(VALU_DEP_1) | instskip(SKIP_1) | instid1(VALU_DEP_2)
	v_mbcnt_lo_u32_b32 v39, v0, 0
	v_cmp_ne_u32_e64 s10, 0, v0
	v_cmp_eq_u32_e32 vcc_lo, 0, v39
	s_delay_alu instid0(VALU_DEP_2) | instskip(NEXT) | instid1(SALU_CYCLE_1)
	s_and_b32 s22, s10, vcc_lo
	s_and_saveexec_b32 s10, s22
	s_cbranch_execz .LBB143_16
; %bb.15:                               ;   in Loop: Header=BB143_4 Depth=2
	s_waitcnt lgkmcnt(0)
	v_bcnt_u32_b32 v0, v0, v38
	ds_store_b32 v40, v0
.LBB143_16:                             ;   in Loop: Header=BB143_4 Depth=2
	s_or_b32 exec_lo, exec_lo, s10
	v_lshrrev_b64 v[0:1], s16, v[18:19]
	; wave barrier
	s_delay_alu instid0(VALU_DEP_1)
	v_and_b32_e32 v2, 1, v0
	v_lshlrev_b32_e32 v3, 30, v0
	v_lshlrev_b32_e32 v4, 29, v0
	;; [unrolled: 1-line block ×4, first 2 shown]
	v_add_co_u32 v2, s10, v2, -1
	s_delay_alu instid0(VALU_DEP_1)
	v_cndmask_b32_e64 v6, 0, 1, s10
	v_not_b32_e32 v43, v3
	v_cmp_gt_i32_e64 s10, 0, v3
	v_not_b32_e32 v3, v4
	v_lshlrev_b32_e32 v41, 26, v0
	v_cmp_ne_u32_e32 vcc_lo, 0, v6
	v_ashrrev_i32_e32 v6, 31, v43
	v_lshlrev_b32_e32 v42, 25, v0
	v_ashrrev_i32_e32 v3, 31, v3
	v_and_b32_e32 v1, 0xff, v0
	v_xor_b32_e32 v2, vcc_lo, v2
	v_cmp_gt_i32_e32 vcc_lo, 0, v4
	v_not_b32_e32 v4, v5
	v_xor_b32_e32 v6, s10, v6
	v_cmp_gt_i32_e64 s10, 0, v5
	v_and_b32_e32 v2, exec_lo, v2
	v_not_b32_e32 v5, v7
	v_ashrrev_i32_e32 v4, 31, v4
	v_xor_b32_e32 v3, vcc_lo, v3
	v_cmp_gt_i32_e32 vcc_lo, 0, v7
	v_and_b32_e32 v2, v2, v6
	v_not_b32_e32 v6, v41
	v_ashrrev_i32_e32 v5, 31, v5
	v_xor_b32_e32 v4, s10, v4
	v_lshlrev_b32_e32 v0, 24, v0
	v_and_b32_e32 v2, v2, v3
	v_cmp_gt_i32_e64 s10, 0, v41
	v_not_b32_e32 v3, v42
	v_ashrrev_i32_e32 v6, 31, v6
	v_xor_b32_e32 v5, vcc_lo, v5
	v_and_b32_e32 v2, v2, v4
	v_cmp_gt_i32_e32 vcc_lo, 0, v42
	v_not_b32_e32 v4, v0
	v_ashrrev_i32_e32 v3, 31, v3
	v_xor_b32_e32 v6, s10, v6
	v_and_b32_e32 v2, v2, v5
	v_lshlrev_b32_e32 v1, 4, v1
	v_cmp_gt_i32_e64 s10, 0, v0
	v_ashrrev_i32_e32 v0, 31, v4
	v_xor_b32_e32 v3, vcc_lo, v3
	v_and_b32_e32 v2, v2, v6
	v_add_lshl_u32 v1, v1, v74, 2
	s_delay_alu instid0(VALU_DEP_4) | instskip(NEXT) | instid1(VALU_DEP_3)
	v_xor_b32_e32 v0, s10, v0
	v_and_b32_e32 v2, v2, v3
	ds_load_b32 v41, v1 offset:64
	v_add_nc_u32_e32 v43, 64, v1
	; wave barrier
	v_and_b32_e32 v0, v2, v0
	s_delay_alu instid0(VALU_DEP_1) | instskip(SKIP_1) | instid1(VALU_DEP_2)
	v_mbcnt_lo_u32_b32 v42, v0, 0
	v_cmp_ne_u32_e64 s10, 0, v0
	v_cmp_eq_u32_e32 vcc_lo, 0, v42
	s_delay_alu instid0(VALU_DEP_2) | instskip(NEXT) | instid1(SALU_CYCLE_1)
	s_and_b32 s22, s10, vcc_lo
	s_and_saveexec_b32 s10, s22
	s_cbranch_execz .LBB143_18
; %bb.17:                               ;   in Loop: Header=BB143_4 Depth=2
	s_waitcnt lgkmcnt(0)
	v_bcnt_u32_b32 v0, v0, v41
	ds_store_b32 v43, v0
.LBB143_18:                             ;   in Loop: Header=BB143_4 Depth=2
	s_or_b32 exec_lo, exec_lo, s10
	v_lshrrev_b64 v[0:1], s16, v[16:17]
	; wave barrier
	s_delay_alu instid0(VALU_DEP_1)
	v_and_b32_e32 v2, 1, v0
	v_lshlrev_b32_e32 v3, 30, v0
	v_lshlrev_b32_e32 v4, 29, v0
	;; [unrolled: 1-line block ×4, first 2 shown]
	v_add_co_u32 v2, s10, v2, -1
	s_delay_alu instid0(VALU_DEP_1)
	v_cndmask_b32_e64 v6, 0, 1, s10
	v_not_b32_e32 v46, v3
	v_cmp_gt_i32_e64 s10, 0, v3
	v_not_b32_e32 v3, v4
	v_lshlrev_b32_e32 v44, 26, v0
	v_cmp_ne_u32_e32 vcc_lo, 0, v6
	v_ashrrev_i32_e32 v6, 31, v46
	v_lshlrev_b32_e32 v45, 25, v0
	v_ashrrev_i32_e32 v3, 31, v3
	v_and_b32_e32 v1, 0xff, v0
	v_xor_b32_e32 v2, vcc_lo, v2
	v_cmp_gt_i32_e32 vcc_lo, 0, v4
	v_not_b32_e32 v4, v5
	v_xor_b32_e32 v6, s10, v6
	v_cmp_gt_i32_e64 s10, 0, v5
	v_and_b32_e32 v2, exec_lo, v2
	v_not_b32_e32 v5, v7
	v_ashrrev_i32_e32 v4, 31, v4
	v_xor_b32_e32 v3, vcc_lo, v3
	v_cmp_gt_i32_e32 vcc_lo, 0, v7
	v_and_b32_e32 v2, v2, v6
	v_not_b32_e32 v6, v44
	v_ashrrev_i32_e32 v5, 31, v5
	v_xor_b32_e32 v4, s10, v4
	v_lshlrev_b32_e32 v0, 24, v0
	v_and_b32_e32 v2, v2, v3
	v_cmp_gt_i32_e64 s10, 0, v44
	v_not_b32_e32 v3, v45
	v_ashrrev_i32_e32 v6, 31, v6
	v_xor_b32_e32 v5, vcc_lo, v5
	v_and_b32_e32 v2, v2, v4
	v_cmp_gt_i32_e32 vcc_lo, 0, v45
	v_not_b32_e32 v4, v0
	v_ashrrev_i32_e32 v3, 31, v3
	v_xor_b32_e32 v6, s10, v6
	v_and_b32_e32 v2, v2, v5
	v_lshlrev_b32_e32 v1, 4, v1
	v_cmp_gt_i32_e64 s10, 0, v0
	v_ashrrev_i32_e32 v0, 31, v4
	v_xor_b32_e32 v3, vcc_lo, v3
	v_and_b32_e32 v2, v2, v6
	v_add_lshl_u32 v1, v1, v74, 2
	s_delay_alu instid0(VALU_DEP_4) | instskip(NEXT) | instid1(VALU_DEP_3)
	v_xor_b32_e32 v0, s10, v0
	v_and_b32_e32 v2, v2, v3
	ds_load_b32 v44, v1 offset:64
	v_add_nc_u32_e32 v46, 64, v1
	; wave barrier
	v_and_b32_e32 v0, v2, v0
	s_delay_alu instid0(VALU_DEP_1) | instskip(SKIP_1) | instid1(VALU_DEP_2)
	v_mbcnt_lo_u32_b32 v45, v0, 0
	v_cmp_ne_u32_e64 s10, 0, v0
	v_cmp_eq_u32_e32 vcc_lo, 0, v45
	s_delay_alu instid0(VALU_DEP_2) | instskip(NEXT) | instid1(SALU_CYCLE_1)
	s_and_b32 s22, s10, vcc_lo
	s_and_saveexec_b32 s10, s22
	s_cbranch_execz .LBB143_20
; %bb.19:                               ;   in Loop: Header=BB143_4 Depth=2
	s_waitcnt lgkmcnt(0)
	v_bcnt_u32_b32 v0, v0, v44
	ds_store_b32 v46, v0
.LBB143_20:                             ;   in Loop: Header=BB143_4 Depth=2
	s_or_b32 exec_lo, exec_lo, s10
	; wave barrier
	s_waitcnt lgkmcnt(0)
	s_barrier
	buffer_gl0_inv
	ds_load_2addr_b64 v[4:7], v66 offset0:8 offset1:9
	ds_load_2addr_b64 v[0:3], v67 offset0:2 offset1:3
	s_waitcnt lgkmcnt(1)
	v_add_nc_u32_e32 v47, v5, v4
	s_delay_alu instid0(VALU_DEP_1) | instskip(SKIP_1) | instid1(VALU_DEP_1)
	v_add3_u32 v47, v47, v6, v7
	s_waitcnt lgkmcnt(0)
	v_add3_u32 v47, v47, v0, v1
	s_delay_alu instid0(VALU_DEP_1) | instskip(NEXT) | instid1(VALU_DEP_1)
	v_add3_u32 v3, v47, v2, v3
	v_mov_b32_dpp v47, v3 row_shr:1 row_mask:0xf bank_mask:0xf
	s_delay_alu instid0(VALU_DEP_1) | instskip(NEXT) | instid1(VALU_DEP_1)
	v_cndmask_b32_e64 v47, v47, 0, s1
	v_add_nc_u32_e32 v3, v47, v3
	s_delay_alu instid0(VALU_DEP_1) | instskip(NEXT) | instid1(VALU_DEP_1)
	v_mov_b32_dpp v47, v3 row_shr:2 row_mask:0xf bank_mask:0xf
	v_cndmask_b32_e64 v47, 0, v47, s2
	s_delay_alu instid0(VALU_DEP_1) | instskip(NEXT) | instid1(VALU_DEP_1)
	v_add_nc_u32_e32 v3, v3, v47
	v_mov_b32_dpp v47, v3 row_shr:4 row_mask:0xf bank_mask:0xf
	s_delay_alu instid0(VALU_DEP_1) | instskip(NEXT) | instid1(VALU_DEP_1)
	v_cndmask_b32_e64 v47, 0, v47, s3
	v_add_nc_u32_e32 v3, v3, v47
	s_delay_alu instid0(VALU_DEP_1) | instskip(NEXT) | instid1(VALU_DEP_1)
	v_mov_b32_dpp v47, v3 row_shr:8 row_mask:0xf bank_mask:0xf
	v_cndmask_b32_e64 v47, 0, v47, s4
	s_delay_alu instid0(VALU_DEP_1) | instskip(SKIP_3) | instid1(VALU_DEP_1)
	v_add_nc_u32_e32 v3, v3, v47
	ds_swizzle_b32 v47, v3 offset:swizzle(BROADCAST,32,15)
	s_waitcnt lgkmcnt(0)
	v_cndmask_b32_e64 v47, v47, 0, s5
	v_add_nc_u32_e32 v3, v3, v47
	s_and_saveexec_b32 s10, s9
	s_cbranch_execz .LBB143_22
; %bb.21:                               ;   in Loop: Header=BB143_4 Depth=2
	ds_store_b32 v69, v3
.LBB143_22:                             ;   in Loop: Header=BB143_4 Depth=2
	s_or_b32 exec_lo, exec_lo, s10
	s_waitcnt lgkmcnt(0)
	s_barrier
	buffer_gl0_inv
	s_and_saveexec_b32 s10, s6
	s_cbranch_execz .LBB143_24
; %bb.23:                               ;   in Loop: Header=BB143_4 Depth=2
	ds_load_b32 v47, v70
	s_waitcnt lgkmcnt(0)
	v_mov_b32_dpp v48, v47 row_shr:1 row_mask:0xf bank_mask:0xf
	s_delay_alu instid0(VALU_DEP_1) | instskip(NEXT) | instid1(VALU_DEP_1)
	v_cndmask_b32_e64 v48, v48, 0, s1
	v_add_nc_u32_e32 v47, v48, v47
	s_delay_alu instid0(VALU_DEP_1) | instskip(NEXT) | instid1(VALU_DEP_1)
	v_mov_b32_dpp v48, v47 row_shr:2 row_mask:0xf bank_mask:0xf
	v_cndmask_b32_e64 v48, 0, v48, s2
	s_delay_alu instid0(VALU_DEP_1) | instskip(NEXT) | instid1(VALU_DEP_1)
	v_add_nc_u32_e32 v47, v47, v48
	v_mov_b32_dpp v48, v47 row_shr:4 row_mask:0xf bank_mask:0xf
	s_delay_alu instid0(VALU_DEP_1) | instskip(NEXT) | instid1(VALU_DEP_1)
	v_cndmask_b32_e64 v48, 0, v48, s3
	v_add_nc_u32_e32 v47, v47, v48
	s_delay_alu instid0(VALU_DEP_1) | instskip(NEXT) | instid1(VALU_DEP_1)
	v_mov_b32_dpp v48, v47 row_shr:8 row_mask:0xf bank_mask:0xf
	v_cndmask_b32_e64 v48, 0, v48, s4
	s_delay_alu instid0(VALU_DEP_1)
	v_add_nc_u32_e32 v47, v47, v48
	ds_store_b32 v70, v47
.LBB143_24:                             ;   in Loop: Header=BB143_4 Depth=2
	s_or_b32 exec_lo, exec_lo, s10
	v_mov_b32_e32 v47, 0
	s_waitcnt lgkmcnt(0)
	s_barrier
	buffer_gl0_inv
	s_and_saveexec_b32 s10, s7
	s_cbranch_execz .LBB143_26
; %bb.25:                               ;   in Loop: Header=BB143_4 Depth=2
	ds_load_b32 v47, v73
.LBB143_26:                             ;   in Loop: Header=BB143_4 Depth=2
	s_or_b32 exec_lo, exec_lo, s10
	s_waitcnt lgkmcnt(0)
	v_add_nc_u32_e32 v3, v47, v3
	s_cmp_gt_u32 s16, 55
	ds_bpermute_b32 v3, v68, v3
	s_waitcnt lgkmcnt(0)
	v_cndmask_b32_e64 v3, v3, v47, s0
	s_delay_alu instid0(VALU_DEP_1) | instskip(NEXT) | instid1(VALU_DEP_1)
	v_cndmask_b32_e64 v3, v3, 0, s8
	v_add_nc_u32_e32 v4, v3, v4
	s_delay_alu instid0(VALU_DEP_1) | instskip(NEXT) | instid1(VALU_DEP_1)
	v_add_nc_u32_e32 v5, v4, v5
	v_add_nc_u32_e32 v6, v5, v6
	s_delay_alu instid0(VALU_DEP_1) | instskip(NEXT) | instid1(VALU_DEP_1)
	v_add_nc_u32_e32 v47, v6, v7
	;; [unrolled: 3-line block ×3, first 2 shown]
	v_add_nc_u32_e32 v1, v0, v2
	ds_store_2addr_b64 v66, v[3:4], v[5:6] offset0:8 offset1:9
	ds_store_2addr_b64 v67, v[47:48], v[0:1] offset0:2 offset1:3
	s_waitcnt lgkmcnt(0)
	s_barrier
	buffer_gl0_inv
	ds_load_b32 v0, v9
	ds_load_b32 v1, v12
	;; [unrolled: 1-line block ×8, first 2 shown]
	s_waitcnt lgkmcnt(7)
	v_add_nc_u32_e32 v82, v0, v8
	s_waitcnt lgkmcnt(6)
	v_add3_u32 v81, v11, v10, v1
	s_waitcnt lgkmcnt(5)
	v_add3_u32 v80, v14, v13, v2
	;; [unrolled: 2-line block ×7, first 2 shown]
	s_cbranch_scc0 .LBB143_3
; %bb.27:                               ;   in Loop: Header=BB143_2 Depth=1
                                        ; implicit-def: $vgpr47_vgpr48
                                        ; implicit-def: $vgpr43_vgpr44
                                        ; implicit-def: $vgpr39_vgpr40
                                        ; implicit-def: $vgpr35_vgpr36
                                        ; implicit-def: $vgpr14_vgpr15
                                        ; implicit-def: $vgpr10_vgpr11
                                        ; implicit-def: $vgpr6_vgpr7
                                        ; implicit-def: $vgpr2_vgpr3
                                        ; implicit-def: $sgpr16_sgpr17
	s_branch .LBB143_1
.LBB143_28:
	s_waitcnt lgkmcnt(3)
	v_add_co_u32 v13, vcc_lo, v13, v21
	v_add_co_ci_u32_e32 v14, vcc_lo, v14, v22, vcc_lo
	v_add_co_u32 v15, vcc_lo, v15, v23
	v_add_co_ci_u32_e32 v16, vcc_lo, v16, v24, vcc_lo
	s_waitcnt lgkmcnt(2)
	v_add_co_u32 v9, vcc_lo, v9, v25
	v_add_co_ci_u32_e32 v10, vcc_lo, v10, v26, vcc_lo
	v_add_co_u32 v11, vcc_lo, v11, v27
	v_add_co_ci_u32_e32 v12, vcc_lo, v12, v28, vcc_lo
	s_waitcnt lgkmcnt(1)
	v_add_co_u32 v5, vcc_lo, v5, v29
	v_add_co_ci_u32_e32 v6, vcc_lo, v6, v30, vcc_lo
	v_lshlrev_b32_e32 v25, 3, v49
	v_add_co_u32 v7, vcc_lo, v7, v31
	v_add_co_ci_u32_e32 v8, vcc_lo, v8, v32, vcc_lo
	s_add_u32 s0, s18, s12
	s_waitcnt lgkmcnt(0)
	v_add_co_u32 v0, vcc_lo, v1, v17
	s_addc_u32 s1, s19, s13
	v_add_co_u32 v23, s2, s0, v25
	v_add_co_ci_u32_e32 v1, vcc_lo, v2, v18, vcc_lo
	v_add_co_ci_u32_e64 v24, null, s1, 0, s2
	v_add_co_u32 v2, vcc_lo, v3, v19
	v_add_co_ci_u32_e32 v3, vcc_lo, v4, v20, vcc_lo
	v_add_co_u32 v17, vcc_lo, v23, 0x2000
	s_delay_alu instid0(VALU_DEP_4)
	v_add_co_ci_u32_e32 v18, vcc_lo, 0, v24, vcc_lo
	v_add_co_u32 v19, vcc_lo, v23, 0x4000
	v_add_co_ci_u32_e32 v20, vcc_lo, 0, v24, vcc_lo
	v_add_co_u32 v21, vcc_lo, v23, 0x6000
	;; [unrolled: 2-line block ×3, first 2 shown]
	v_add_co_ci_u32_e32 v24, vcc_lo, 0, v24, vcc_lo
	s_clause 0x7
	global_store_b64 v25, v[13:14], s[0:1]
	global_store_b64 v[17:18], v[9:10], off
	global_store_b64 v[19:20], v[11:12], off offset:-4096
	global_store_b64 v[19:20], v[5:6], off
	global_store_b64 v[21:22], v[7:8], off offset:-4096
	;; [unrolled: 2-line block ×3, first 2 shown]
	global_store_b64 v[23:24], v[2:3], off
	s_nop 0
	s_sendmsg sendmsg(MSG_DEALLOC_VGPRS)
	s_endpgm
	.section	.rodata,"a",@progbits
	.p2align	6, 0x0
	.amdhsa_kernel _Z17sort_pairs_kernelI22helper_blocked_blockedxLj512ELj8ELj10EEvPKT0_PS1_
		.amdhsa_group_segment_fixed_size 32768
		.amdhsa_private_segment_fixed_size 0
		.amdhsa_kernarg_size 272
		.amdhsa_user_sgpr_count 15
		.amdhsa_user_sgpr_dispatch_ptr 0
		.amdhsa_user_sgpr_queue_ptr 0
		.amdhsa_user_sgpr_kernarg_segment_ptr 1
		.amdhsa_user_sgpr_dispatch_id 0
		.amdhsa_user_sgpr_private_segment_size 0
		.amdhsa_wavefront_size32 1
		.amdhsa_uses_dynamic_stack 0
		.amdhsa_enable_private_segment 0
		.amdhsa_system_sgpr_workgroup_id_x 1
		.amdhsa_system_sgpr_workgroup_id_y 0
		.amdhsa_system_sgpr_workgroup_id_z 0
		.amdhsa_system_sgpr_workgroup_info 0
		.amdhsa_system_vgpr_workitem_id 2
		.amdhsa_next_free_vgpr 83
		.amdhsa_next_free_sgpr 23
		.amdhsa_reserve_vcc 1
		.amdhsa_float_round_mode_32 0
		.amdhsa_float_round_mode_16_64 0
		.amdhsa_float_denorm_mode_32 3
		.amdhsa_float_denorm_mode_16_64 3
		.amdhsa_dx10_clamp 1
		.amdhsa_ieee_mode 1
		.amdhsa_fp16_overflow 0
		.amdhsa_workgroup_processor_mode 1
		.amdhsa_memory_ordered 1
		.amdhsa_forward_progress 0
		.amdhsa_shared_vgpr_count 0
		.amdhsa_exception_fp_ieee_invalid_op 0
		.amdhsa_exception_fp_denorm_src 0
		.amdhsa_exception_fp_ieee_div_zero 0
		.amdhsa_exception_fp_ieee_overflow 0
		.amdhsa_exception_fp_ieee_underflow 0
		.amdhsa_exception_fp_ieee_inexact 0
		.amdhsa_exception_int_div_zero 0
	.end_amdhsa_kernel
	.section	.text._Z17sort_pairs_kernelI22helper_blocked_blockedxLj512ELj8ELj10EEvPKT0_PS1_,"axG",@progbits,_Z17sort_pairs_kernelI22helper_blocked_blockedxLj512ELj8ELj10EEvPKT0_PS1_,comdat
.Lfunc_end143:
	.size	_Z17sort_pairs_kernelI22helper_blocked_blockedxLj512ELj8ELj10EEvPKT0_PS1_, .Lfunc_end143-_Z17sort_pairs_kernelI22helper_blocked_blockedxLj512ELj8ELj10EEvPKT0_PS1_
                                        ; -- End function
	.section	.AMDGPU.csdata,"",@progbits
; Kernel info:
; codeLenInByte = 5328
; NumSgprs: 25
; NumVgprs: 83
; ScratchSize: 0
; MemoryBound: 0
; FloatMode: 240
; IeeeMode: 1
; LDSByteSize: 32768 bytes/workgroup (compile time only)
; SGPRBlocks: 3
; VGPRBlocks: 10
; NumSGPRsForWavesPerEU: 25
; NumVGPRsForWavesPerEU: 83
; Occupancy: 16
; WaveLimiterHint : 1
; COMPUTE_PGM_RSRC2:SCRATCH_EN: 0
; COMPUTE_PGM_RSRC2:USER_SGPR: 15
; COMPUTE_PGM_RSRC2:TRAP_HANDLER: 0
; COMPUTE_PGM_RSRC2:TGID_X_EN: 1
; COMPUTE_PGM_RSRC2:TGID_Y_EN: 0
; COMPUTE_PGM_RSRC2:TGID_Z_EN: 0
; COMPUTE_PGM_RSRC2:TIDIG_COMP_CNT: 2
	.section	.text._Z16sort_keys_kernelI22helper_blocked_blockedN15benchmark_utils11custom_typeIiiEELj64ELj1ELj10EEvPKT0_PS4_,"axG",@progbits,_Z16sort_keys_kernelI22helper_blocked_blockedN15benchmark_utils11custom_typeIiiEELj64ELj1ELj10EEvPKT0_PS4_,comdat
	.protected	_Z16sort_keys_kernelI22helper_blocked_blockedN15benchmark_utils11custom_typeIiiEELj64ELj1ELj10EEvPKT0_PS4_ ; -- Begin function _Z16sort_keys_kernelI22helper_blocked_blockedN15benchmark_utils11custom_typeIiiEELj64ELj1ELj10EEvPKT0_PS4_
	.globl	_Z16sort_keys_kernelI22helper_blocked_blockedN15benchmark_utils11custom_typeIiiEELj64ELj1ELj10EEvPKT0_PS4_
	.p2align	8
	.type	_Z16sort_keys_kernelI22helper_blocked_blockedN15benchmark_utils11custom_typeIiiEELj64ELj1ELj10EEvPKT0_PS4_,@function
_Z16sort_keys_kernelI22helper_blocked_blockedN15benchmark_utils11custom_typeIiiEELj64ELj1ELj10EEvPKT0_PS4_: ; @_Z16sort_keys_kernelI22helper_blocked_blockedN15benchmark_utils11custom_typeIiiEELj64ELj1ELj10EEvPKT0_PS4_
; %bb.0:
	s_clause 0x1
	s_load_b128 s[16:19], s[0:1], 0x0
	s_load_b32 s9, s[0:1], 0x1c
	s_mov_b32 s21, 0
	s_lshl_b32 s20, s15, 6
	v_mbcnt_lo_u32_b32 v5, -1, 0
	s_lshl_b64 s[14:15], s[20:21], 3
	v_bfe_u32 v3, v0, 10, 10
	s_mov_b32 s20, s21
	s_mov_b32 s13, 10
	v_and_b32_e32 v6, 16, v5
	v_add_nc_u32_e32 v7, -1, v5
	v_dual_mov_b32 v11, s20 :: v_dual_and_b32 v4, 15, v5
	v_dual_mov_b32 v12, s21 :: v_dual_and_b32 v13, 1, v5
	s_delay_alu instid0(VALU_DEP_4) | instskip(NEXT) | instid1(VALU_DEP_4)
	v_cmp_eq_u32_e64 s4, 0, v6
	v_cmp_gt_i32_e64 s7, 0, v7
	s_delay_alu instid0(VALU_DEP_4)
	v_cmp_lt_u32_e64 s2, 3, v4
	v_cmp_lt_u32_e64 s3, 7, v4
	v_cmp_eq_u32_e64 s8, 0, v13
	s_waitcnt lgkmcnt(0)
	s_add_u32 s0, s16, s14
	s_addc_u32 s1, s17, s15
	s_mov_b32 s16, s21
	s_mov_b32 s17, s21
	v_dual_mov_b32 v9, s16 :: v_dual_and_b32 v8, 0x3ff, v0
	v_mov_b32_e32 v10, s17
	v_bfe_u32 v0, v0, 20, 10
	s_lshr_b32 s10, s9, 16
	s_delay_alu instid0(VALU_DEP_3)
	v_lshlrev_b32_e32 v1, 3, v8
	v_lshlrev_b32_e32 v15, 5, v8
	v_and_b32_e32 v6, 32, v8
	v_mad_u32_u24 v0, v0, s10, v3
	v_lshrrev_b32_e32 v14, 3, v8
	global_load_b64 v[1:2], v1, s[0:1]
	s_and_b32 s9, s9, 0xffff
	v_cmp_eq_u32_e64 s0, 0, v4
	v_cmp_lt_u32_e64 s1, 1, v4
	v_mad_u64_u32 v[3:4], null, v0, s9, v[8:9]
	v_cndmask_b32_e64 v7, v7, v5, s7
	v_lshlrev_b32_e32 v23, 2, v8
	v_or_b32_e32 v13, 31, v6
	v_and_b32_e32 v17, 4, v14
	v_or_b32_e32 v0, v5, v6
	v_mad_i32_i24 v19, 0xffffffe4, v8, v15
	v_cmp_eq_u32_e32 vcc_lo, 0, v5
	v_cmp_gt_u32_e64 s5, 2, v8
	v_cmp_lt_u32_e64 s6, 31, v8
	v_cmp_eq_u32_e64 s7, 0, v8
	v_or_b32_e32 v16, 8, v15
	v_lshlrev_b32_e32 v18, 2, v7
	v_cmp_eq_u32_e64 s9, v13, v8
	v_add_nc_u32_e32 v20, -4, v17
	v_lshlrev_b32_e32 v21, 3, v0
	v_lshrrev_b32_e32 v22, 5, v3
	v_add_nc_u32_e32 v23, v19, v23
	s_waitcnt vmcnt(0)
	v_xor_b32_e32 v13, 0x80000000, v1
	v_xor_b32_e32 v14, 0x80000000, v2
	s_branch .LBB144_2
.LBB144_1:                              ;   in Loop: Header=BB144_2 Depth=1
	s_or_b32 exec_lo, exec_lo, s10
	s_waitcnt lgkmcnt(0)
	v_add_nc_u32_e32 v3, v26, v3
	s_add_i32 s13, s13, -1
	s_delay_alu instid0(SALU_CYCLE_1) | instskip(SKIP_3) | instid1(VALU_DEP_1)
	s_cmp_eq_u32 s13, 0
	ds_bpermute_b32 v3, v18, v3
	s_waitcnt lgkmcnt(0)
	v_cndmask_b32_e32 v3, v3, v26, vcc_lo
	v_cndmask_b32_e64 v3, v3, 0, s7
	s_delay_alu instid0(VALU_DEP_1) | instskip(NEXT) | instid1(VALU_DEP_1)
	v_add_nc_u32_e32 v4, v3, v4
	v_add_nc_u32_e32 v5, v4, v5
	s_delay_alu instid0(VALU_DEP_1) | instskip(NEXT) | instid1(VALU_DEP_1)
	v_add_nc_u32_e32 v6, v5, v6
	v_add_nc_u32_e32 v26, v6, v7
	;; [unrolled: 3-line block ×3, first 2 shown]
	s_delay_alu instid0(VALU_DEP_1)
	v_add_nc_u32_e32 v1, v0, v2
	ds_store_2addr_b64 v15, v[3:4], v[5:6] offset0:1 offset1:2
	ds_store_2addr_b64 v16, v[26:27], v[0:1] offset0:2 offset1:3
	s_waitcnt lgkmcnt(0)
	s_barrier
	buffer_gl0_inv
	ds_load_b32 v0, v25
	v_lshlrev_b32_e32 v1, 3, v24
	s_waitcnt lgkmcnt(0)
	s_barrier
	buffer_gl0_inv
	v_lshl_add_u32 v0, v0, 3, v1
	ds_store_b64 v0, v[13:14]
	s_waitcnt lgkmcnt(0)
	s_barrier
	buffer_gl0_inv
	ds_load_b64 v[13:14], v23
	s_cbranch_scc1 .LBB144_66
.LBB144_2:                              ; =>This Inner Loop Header: Depth=1
	s_waitcnt lgkmcnt(0)
	s_delay_alu instid0(VALU_DEP_1)
	v_and_b32_e32 v0, 1, v14
	v_lshlrev_b32_e32 v1, 30, v14
	v_lshlrev_b32_e32 v2, 29, v14
	v_lshlrev_b32_e32 v4, 28, v14
	v_lshlrev_b32_e32 v5, 27, v14
	v_add_co_u32 v0, s10, v0, -1
	s_delay_alu instid0(VALU_DEP_1)
	v_cndmask_b32_e64 v3, 0, 1, s10
	v_not_b32_e32 v7, v1
	v_cmp_gt_i32_e64 s11, 0, v1
	v_not_b32_e32 v1, v2
	v_lshlrev_b32_e32 v6, 26, v14
	v_cmp_ne_u32_e64 s10, 0, v3
	v_ashrrev_i32_e32 v7, 31, v7
	v_lshlrev_b32_e32 v3, 25, v14
	v_ashrrev_i32_e32 v1, 31, v1
	v_cmp_gt_i32_e64 s12, 0, v5
	v_xor_b32_e32 v0, s10, v0
	v_cmp_gt_i32_e64 s10, 0, v2
	v_not_b32_e32 v2, v4
	v_xor_b32_e32 v7, s11, v7
	v_cmp_gt_i32_e64 s11, 0, v4
	v_and_b32_e32 v0, exec_lo, v0
	v_xor_b32_e32 v1, s10, v1
	v_ashrrev_i32_e32 v2, 31, v2
	v_not_b32_e32 v4, v5
	v_not_b32_e32 v5, v6
	v_and_b32_e32 v0, v0, v7
	v_cmp_gt_i32_e64 s10, 0, v6
	v_xor_b32_e32 v2, s11, v2
	v_not_b32_e32 v6, v3
	ds_store_2addr_b64 v15, v[11:12], v[9:10] offset0:1 offset1:2
	ds_store_2addr_b64 v16, v[11:12], v[9:10] offset0:2 offset1:3
	v_and_b32_e32 v0, v0, v1
	v_ashrrev_i32_e32 v1, 31, v4
	v_ashrrev_i32_e32 v4, 31, v5
	v_lshlrev_b32_e32 v5, 24, v14
	s_waitcnt lgkmcnt(0)
	v_and_b32_e32 v0, v0, v2
	v_xor_b32_e32 v1, s12, v1
	v_xor_b32_e32 v2, s10, v4
	v_cmp_gt_i32_e64 s10, 0, v3
	v_not_b32_e32 v3, v5
	v_ashrrev_i32_e32 v4, 31, v6
	v_and_b32_e32 v0, v0, v1
	v_cmp_gt_i32_e64 s11, 0, v5
	s_barrier
	v_ashrrev_i32_e32 v1, 31, v3
	v_xor_b32_e32 v3, s10, v4
	v_and_b32_e32 v0, v0, v2
	buffer_gl0_inv
	v_xor_b32_e32 v1, s11, v1
	; wave barrier
	v_and_b32_e32 v0, v0, v3
	s_delay_alu instid0(VALU_DEP_1) | instskip(SKIP_1) | instid1(VALU_DEP_2)
	v_and_b32_e32 v0, v0, v1
	v_and_b32_e32 v1, 0xff, v14
	v_mbcnt_lo_u32_b32 v24, v0, 0
	s_delay_alu instid0(VALU_DEP_2) | instskip(SKIP_1) | instid1(VALU_DEP_3)
	v_lshl_add_u32 v1, v1, 1, v22
	v_cmp_ne_u32_e64 s11, 0, v0
	v_cmp_eq_u32_e64 s10, 0, v24
	s_delay_alu instid0(VALU_DEP_3) | instskip(NEXT) | instid1(VALU_DEP_2)
	v_lshl_add_u32 v25, v1, 2, 8
	s_and_b32 s11, s11, s10
	s_delay_alu instid0(SALU_CYCLE_1)
	s_and_saveexec_b32 s10, s11
	s_cbranch_execz .LBB144_4
; %bb.3:                                ;   in Loop: Header=BB144_2 Depth=1
	v_bcnt_u32_b32 v0, v0, 0
	ds_store_b32 v25, v0
.LBB144_4:                              ;   in Loop: Header=BB144_2 Depth=1
	s_or_b32 exec_lo, exec_lo, s10
	; wave barrier
	s_waitcnt lgkmcnt(0)
	s_barrier
	buffer_gl0_inv
	ds_load_2addr_b64 v[4:7], v15 offset0:1 offset1:2
	ds_load_2addr_b64 v[0:3], v16 offset0:2 offset1:3
	s_waitcnt lgkmcnt(1)
	v_add_nc_u32_e32 v26, v5, v4
	s_delay_alu instid0(VALU_DEP_1) | instskip(SKIP_1) | instid1(VALU_DEP_1)
	v_add3_u32 v26, v26, v6, v7
	s_waitcnt lgkmcnt(0)
	v_add3_u32 v26, v26, v0, v1
	s_delay_alu instid0(VALU_DEP_1) | instskip(NEXT) | instid1(VALU_DEP_1)
	v_add3_u32 v3, v26, v2, v3
	v_mov_b32_dpp v26, v3 row_shr:1 row_mask:0xf bank_mask:0xf
	s_delay_alu instid0(VALU_DEP_1) | instskip(NEXT) | instid1(VALU_DEP_1)
	v_cndmask_b32_e64 v26, v26, 0, s0
	v_add_nc_u32_e32 v3, v26, v3
	s_delay_alu instid0(VALU_DEP_1) | instskip(NEXT) | instid1(VALU_DEP_1)
	v_mov_b32_dpp v26, v3 row_shr:2 row_mask:0xf bank_mask:0xf
	v_cndmask_b32_e64 v26, 0, v26, s1
	s_delay_alu instid0(VALU_DEP_1) | instskip(NEXT) | instid1(VALU_DEP_1)
	v_add_nc_u32_e32 v3, v3, v26
	v_mov_b32_dpp v26, v3 row_shr:4 row_mask:0xf bank_mask:0xf
	s_delay_alu instid0(VALU_DEP_1) | instskip(NEXT) | instid1(VALU_DEP_1)
	v_cndmask_b32_e64 v26, 0, v26, s2
	v_add_nc_u32_e32 v3, v3, v26
	s_delay_alu instid0(VALU_DEP_1) | instskip(NEXT) | instid1(VALU_DEP_1)
	v_mov_b32_dpp v26, v3 row_shr:8 row_mask:0xf bank_mask:0xf
	v_cndmask_b32_e64 v26, 0, v26, s3
	s_delay_alu instid0(VALU_DEP_1) | instskip(SKIP_3) | instid1(VALU_DEP_1)
	v_add_nc_u32_e32 v3, v3, v26
	ds_swizzle_b32 v26, v3 offset:swizzle(BROADCAST,32,15)
	s_waitcnt lgkmcnt(0)
	v_cndmask_b32_e64 v26, v26, 0, s4
	v_add_nc_u32_e32 v3, v3, v26
	s_and_saveexec_b32 s10, s9
	s_cbranch_execz .LBB144_6
; %bb.5:                                ;   in Loop: Header=BB144_2 Depth=1
	ds_store_b32 v17, v3
.LBB144_6:                              ;   in Loop: Header=BB144_2 Depth=1
	s_or_b32 exec_lo, exec_lo, s10
	s_waitcnt lgkmcnt(0)
	s_barrier
	buffer_gl0_inv
	s_and_saveexec_b32 s10, s5
	s_cbranch_execz .LBB144_8
; %bb.7:                                ;   in Loop: Header=BB144_2 Depth=1
	ds_load_b32 v26, v19
	s_waitcnt lgkmcnt(0)
	v_mov_b32_dpp v27, v26 row_shr:1 row_mask:0xf bank_mask:0xf
	s_delay_alu instid0(VALU_DEP_1) | instskip(NEXT) | instid1(VALU_DEP_1)
	v_cndmask_b32_e64 v27, v27, 0, s8
	v_add_nc_u32_e32 v26, v27, v26
	ds_store_b32 v19, v26
.LBB144_8:                              ;   in Loop: Header=BB144_2 Depth=1
	s_or_b32 exec_lo, exec_lo, s10
	v_mov_b32_e32 v26, 0
	s_waitcnt lgkmcnt(0)
	s_barrier
	buffer_gl0_inv
	s_and_saveexec_b32 s10, s6
	s_cbranch_execz .LBB144_10
; %bb.9:                                ;   in Loop: Header=BB144_2 Depth=1
	ds_load_b32 v26, v20
.LBB144_10:                             ;   in Loop: Header=BB144_2 Depth=1
	s_or_b32 exec_lo, exec_lo, s10
	s_waitcnt lgkmcnt(0)
	v_add_nc_u32_e32 v3, v26, v3
	ds_bpermute_b32 v3, v18, v3
	s_waitcnt lgkmcnt(0)
	v_cndmask_b32_e32 v3, v3, v26, vcc_lo
	s_delay_alu instid0(VALU_DEP_1) | instskip(NEXT) | instid1(VALU_DEP_1)
	v_cndmask_b32_e64 v3, v3, 0, s7
	v_add_nc_u32_e32 v4, v3, v4
	s_delay_alu instid0(VALU_DEP_1) | instskip(NEXT) | instid1(VALU_DEP_1)
	v_add_nc_u32_e32 v5, v4, v5
	v_add_nc_u32_e32 v6, v5, v6
	s_delay_alu instid0(VALU_DEP_1) | instskip(NEXT) | instid1(VALU_DEP_1)
	v_add_nc_u32_e32 v26, v6, v7
	;; [unrolled: 3-line block ×3, first 2 shown]
	v_add_nc_u32_e32 v1, v0, v2
	ds_store_2addr_b64 v15, v[3:4], v[5:6] offset0:1 offset1:2
	ds_store_2addr_b64 v16, v[26:27], v[0:1] offset0:2 offset1:3
	s_waitcnt lgkmcnt(0)
	s_barrier
	buffer_gl0_inv
	ds_load_b32 v0, v25
	v_lshlrev_b32_e32 v1, 3, v24
	s_waitcnt lgkmcnt(0)
	s_barrier
	buffer_gl0_inv
	v_lshl_add_u32 v0, v0, 3, v1
	ds_store_b64 v0, v[13:14]
	s_waitcnt lgkmcnt(0)
	s_barrier
	buffer_gl0_inv
	ds_load_b64 v[13:14], v21
	s_waitcnt lgkmcnt(0)
	s_barrier
	buffer_gl0_inv
	ds_store_2addr_b64 v15, v[11:12], v[9:10] offset0:1 offset1:2
	ds_store_2addr_b64 v16, v[11:12], v[9:10] offset0:2 offset1:3
	s_waitcnt lgkmcnt(0)
	s_barrier
	buffer_gl0_inv
	; wave barrier
	v_bfe_u32 v0, v14, 8, 1
	v_lshrrev_b32_e32 v1, 8, v14
	s_delay_alu instid0(VALU_DEP_2) | instskip(NEXT) | instid1(VALU_DEP_1)
	v_add_co_u32 v0, s10, v0, -1
	v_cndmask_b32_e64 v2, 0, 1, s10
	s_delay_alu instid0(VALU_DEP_3)
	v_lshlrev_b32_e32 v3, 30, v1
	v_lshlrev_b32_e32 v4, 29, v1
	;; [unrolled: 1-line block ×4, first 2 shown]
	v_cmp_ne_u32_e64 s10, 0, v2
	v_not_b32_e32 v2, v3
	v_cmp_gt_i32_e64 s11, 0, v3
	v_not_b32_e32 v3, v4
	v_lshlrev_b32_e32 v7, 26, v1
	v_xor_b32_e32 v0, s10, v0
	v_ashrrev_i32_e32 v2, 31, v2
	v_cmp_gt_i32_e64 s10, 0, v4
	v_not_b32_e32 v4, v5
	v_ashrrev_i32_e32 v3, 31, v3
	v_and_b32_e32 v0, exec_lo, v0
	v_xor_b32_e32 v2, s11, v2
	v_cmp_gt_i32_e64 s11, 0, v5
	v_not_b32_e32 v5, v6
	v_ashrrev_i32_e32 v4, 31, v4
	v_xor_b32_e32 v3, s10, v3
	v_and_b32_e32 v0, v0, v2
	v_lshlrev_b32_e32 v24, 25, v1
	v_cmp_gt_i32_e64 s10, 0, v6
	v_not_b32_e32 v2, v7
	v_ashrrev_i32_e32 v5, 31, v5
	v_xor_b32_e32 v4, s11, v4
	v_and_b32_e32 v0, v0, v3
	v_lshlrev_b32_e32 v1, 24, v1
	v_cmp_gt_i32_e64 s11, 0, v7
	v_not_b32_e32 v3, v24
	v_ashrrev_i32_e32 v2, 31, v2
	v_xor_b32_e32 v5, s10, v5
	v_and_b32_e32 v0, v0, v4
	v_cmp_gt_i32_e64 s10, 0, v24
	v_not_b32_e32 v4, v1
	v_ashrrev_i32_e32 v3, 31, v3
	v_xor_b32_e32 v2, s11, v2
	v_and_b32_e32 v0, v0, v5
	v_cmp_gt_i32_e64 s11, 0, v1
	v_ashrrev_i32_e32 v1, 31, v4
	v_xor_b32_e32 v3, s10, v3
	s_delay_alu instid0(VALU_DEP_4) | instskip(SKIP_1) | instid1(VALU_DEP_4)
	v_and_b32_e32 v0, v0, v2
	v_lshrrev_b32_e32 v2, 7, v14
	v_xor_b32_e32 v1, s11, v1
	s_delay_alu instid0(VALU_DEP_3) | instskip(NEXT) | instid1(VALU_DEP_1)
	v_and_b32_e32 v0, v0, v3
	v_and_b32_e32 v0, v0, v1
	s_delay_alu instid0(VALU_DEP_4) | instskip(NEXT) | instid1(VALU_DEP_2)
	v_and_b32_e32 v1, 0x1fe, v2
	v_mbcnt_lo_u32_b32 v24, v0, 0
	s_delay_alu instid0(VALU_DEP_2) | instskip(SKIP_1) | instid1(VALU_DEP_3)
	v_add_nc_u32_e32 v1, v1, v22
	v_cmp_ne_u32_e64 s11, 0, v0
	v_cmp_eq_u32_e64 s10, 0, v24
	s_delay_alu instid0(VALU_DEP_3) | instskip(NEXT) | instid1(VALU_DEP_2)
	v_lshl_add_u32 v25, v1, 2, 8
	s_and_b32 s11, s11, s10
	s_delay_alu instid0(SALU_CYCLE_1)
	s_and_saveexec_b32 s10, s11
	s_cbranch_execz .LBB144_12
; %bb.11:                               ;   in Loop: Header=BB144_2 Depth=1
	v_bcnt_u32_b32 v0, v0, 0
	ds_store_b32 v25, v0
.LBB144_12:                             ;   in Loop: Header=BB144_2 Depth=1
	s_or_b32 exec_lo, exec_lo, s10
	; wave barrier
	s_waitcnt lgkmcnt(0)
	s_barrier
	buffer_gl0_inv
	ds_load_2addr_b64 v[4:7], v15 offset0:1 offset1:2
	ds_load_2addr_b64 v[0:3], v16 offset0:2 offset1:3
	s_waitcnt lgkmcnt(1)
	v_add_nc_u32_e32 v26, v5, v4
	s_delay_alu instid0(VALU_DEP_1) | instskip(SKIP_1) | instid1(VALU_DEP_1)
	v_add3_u32 v26, v26, v6, v7
	s_waitcnt lgkmcnt(0)
	v_add3_u32 v26, v26, v0, v1
	s_delay_alu instid0(VALU_DEP_1) | instskip(NEXT) | instid1(VALU_DEP_1)
	v_add3_u32 v3, v26, v2, v3
	v_mov_b32_dpp v26, v3 row_shr:1 row_mask:0xf bank_mask:0xf
	s_delay_alu instid0(VALU_DEP_1) | instskip(NEXT) | instid1(VALU_DEP_1)
	v_cndmask_b32_e64 v26, v26, 0, s0
	v_add_nc_u32_e32 v3, v26, v3
	s_delay_alu instid0(VALU_DEP_1) | instskip(NEXT) | instid1(VALU_DEP_1)
	v_mov_b32_dpp v26, v3 row_shr:2 row_mask:0xf bank_mask:0xf
	v_cndmask_b32_e64 v26, 0, v26, s1
	s_delay_alu instid0(VALU_DEP_1) | instskip(NEXT) | instid1(VALU_DEP_1)
	v_add_nc_u32_e32 v3, v3, v26
	v_mov_b32_dpp v26, v3 row_shr:4 row_mask:0xf bank_mask:0xf
	s_delay_alu instid0(VALU_DEP_1) | instskip(NEXT) | instid1(VALU_DEP_1)
	v_cndmask_b32_e64 v26, 0, v26, s2
	v_add_nc_u32_e32 v3, v3, v26
	s_delay_alu instid0(VALU_DEP_1) | instskip(NEXT) | instid1(VALU_DEP_1)
	v_mov_b32_dpp v26, v3 row_shr:8 row_mask:0xf bank_mask:0xf
	v_cndmask_b32_e64 v26, 0, v26, s3
	s_delay_alu instid0(VALU_DEP_1) | instskip(SKIP_3) | instid1(VALU_DEP_1)
	v_add_nc_u32_e32 v3, v3, v26
	ds_swizzle_b32 v26, v3 offset:swizzle(BROADCAST,32,15)
	s_waitcnt lgkmcnt(0)
	v_cndmask_b32_e64 v26, v26, 0, s4
	v_add_nc_u32_e32 v3, v3, v26
	s_and_saveexec_b32 s10, s9
	s_cbranch_execz .LBB144_14
; %bb.13:                               ;   in Loop: Header=BB144_2 Depth=1
	ds_store_b32 v17, v3
.LBB144_14:                             ;   in Loop: Header=BB144_2 Depth=1
	s_or_b32 exec_lo, exec_lo, s10
	s_waitcnt lgkmcnt(0)
	s_barrier
	buffer_gl0_inv
	s_and_saveexec_b32 s10, s5
	s_cbranch_execz .LBB144_16
; %bb.15:                               ;   in Loop: Header=BB144_2 Depth=1
	ds_load_b32 v26, v19
	s_waitcnt lgkmcnt(0)
	v_mov_b32_dpp v27, v26 row_shr:1 row_mask:0xf bank_mask:0xf
	s_delay_alu instid0(VALU_DEP_1) | instskip(NEXT) | instid1(VALU_DEP_1)
	v_cndmask_b32_e64 v27, v27, 0, s8
	v_add_nc_u32_e32 v26, v27, v26
	ds_store_b32 v19, v26
.LBB144_16:                             ;   in Loop: Header=BB144_2 Depth=1
	s_or_b32 exec_lo, exec_lo, s10
	v_mov_b32_e32 v26, 0
	s_waitcnt lgkmcnt(0)
	s_barrier
	buffer_gl0_inv
	s_and_saveexec_b32 s10, s6
	s_cbranch_execz .LBB144_18
; %bb.17:                               ;   in Loop: Header=BB144_2 Depth=1
	ds_load_b32 v26, v20
.LBB144_18:                             ;   in Loop: Header=BB144_2 Depth=1
	s_or_b32 exec_lo, exec_lo, s10
	s_waitcnt lgkmcnt(0)
	v_add_nc_u32_e32 v3, v26, v3
	ds_bpermute_b32 v3, v18, v3
	s_waitcnt lgkmcnt(0)
	v_cndmask_b32_e32 v3, v3, v26, vcc_lo
	s_delay_alu instid0(VALU_DEP_1) | instskip(NEXT) | instid1(VALU_DEP_1)
	v_cndmask_b32_e64 v3, v3, 0, s7
	v_add_nc_u32_e32 v4, v3, v4
	s_delay_alu instid0(VALU_DEP_1) | instskip(NEXT) | instid1(VALU_DEP_1)
	v_add_nc_u32_e32 v5, v4, v5
	v_add_nc_u32_e32 v6, v5, v6
	s_delay_alu instid0(VALU_DEP_1) | instskip(NEXT) | instid1(VALU_DEP_1)
	v_add_nc_u32_e32 v26, v6, v7
	;; [unrolled: 3-line block ×3, first 2 shown]
	v_add_nc_u32_e32 v1, v0, v2
	ds_store_2addr_b64 v15, v[3:4], v[5:6] offset0:1 offset1:2
	ds_store_2addr_b64 v16, v[26:27], v[0:1] offset0:2 offset1:3
	s_waitcnt lgkmcnt(0)
	s_barrier
	buffer_gl0_inv
	ds_load_b32 v0, v25
	v_lshlrev_b32_e32 v1, 3, v24
	s_waitcnt lgkmcnt(0)
	s_barrier
	buffer_gl0_inv
	v_lshl_add_u32 v0, v0, 3, v1
	ds_store_b64 v0, v[13:14]
	s_waitcnt lgkmcnt(0)
	s_barrier
	buffer_gl0_inv
	ds_load_b64 v[13:14], v21
	s_waitcnt lgkmcnt(0)
	s_barrier
	buffer_gl0_inv
	v_bfe_u32 v0, v14, 16, 1
	v_lshrrev_b32_e32 v1, 16, v14
	s_delay_alu instid0(VALU_DEP_2) | instskip(NEXT) | instid1(VALU_DEP_1)
	v_add_co_u32 v0, s10, v0, -1
	v_cndmask_b32_e64 v2, 0, 1, s10
	s_delay_alu instid0(VALU_DEP_3)
	v_lshlrev_b32_e32 v3, 30, v1
	v_lshlrev_b32_e32 v4, 29, v1
	;; [unrolled: 1-line block ×4, first 2 shown]
	v_cmp_ne_u32_e64 s10, 0, v2
	v_not_b32_e32 v2, v3
	v_cmp_gt_i32_e64 s11, 0, v3
	v_not_b32_e32 v3, v4
	v_lshlrev_b32_e32 v7, 26, v1
	v_xor_b32_e32 v0, s10, v0
	v_ashrrev_i32_e32 v2, 31, v2
	v_cmp_gt_i32_e64 s10, 0, v4
	v_not_b32_e32 v4, v5
	v_ashrrev_i32_e32 v3, 31, v3
	v_and_b32_e32 v0, exec_lo, v0
	v_xor_b32_e32 v2, s11, v2
	v_cmp_gt_i32_e64 s11, 0, v5
	v_not_b32_e32 v5, v6
	v_ashrrev_i32_e32 v4, 31, v4
	v_xor_b32_e32 v3, s10, v3
	v_and_b32_e32 v0, v0, v2
	v_lshlrev_b32_e32 v24, 25, v1
	v_cmp_gt_i32_e64 s10, 0, v6
	v_not_b32_e32 v2, v7
	v_ashrrev_i32_e32 v5, 31, v5
	v_xor_b32_e32 v4, s11, v4
	v_and_b32_e32 v0, v0, v3
	v_lshlrev_b32_e32 v1, 24, v1
	v_cmp_gt_i32_e64 s11, 0, v7
	v_not_b32_e32 v3, v24
	v_ashrrev_i32_e32 v2, 31, v2
	v_xor_b32_e32 v5, s10, v5
	v_and_b32_e32 v0, v0, v4
	v_cmp_gt_i32_e64 s10, 0, v24
	v_not_b32_e32 v4, v1
	v_ashrrev_i32_e32 v3, 31, v3
	v_xor_b32_e32 v2, s11, v2
	v_and_b32_e32 v0, v0, v5
	v_cmp_gt_i32_e64 s11, 0, v1
	v_ashrrev_i32_e32 v1, 31, v4
	v_xor_b32_e32 v3, s10, v3
	v_lshrrev_b32_e32 v6, 15, v14
	v_and_b32_e32 v0, v0, v2
	s_delay_alu instid0(VALU_DEP_4) | instskip(SKIP_1) | instid1(VALU_DEP_3)
	v_xor_b32_e32 v5, s11, v1
	v_dual_mov_b32 v1, s20 :: v_dual_mov_b32 v2, s21
	v_dual_mov_b32 v3, s16 :: v_dual_and_b32 v0, v0, v3
	v_mov_b32_e32 v4, s17
	ds_store_2addr_b64 v15, v[1:2], v[3:4] offset0:1 offset1:2
	ds_store_2addr_b64 v16, v[1:2], v[3:4] offset0:2 offset1:3
	v_and_b32_e32 v0, v0, v5
	v_and_b32_e32 v5, 0x1fe, v6
	s_waitcnt lgkmcnt(0)
	s_barrier
	buffer_gl0_inv
	v_mbcnt_lo_u32_b32 v24, v0, 0
	v_add_nc_u32_e32 v1, v5, v22
	v_cmp_ne_u32_e64 s11, 0, v0
	; wave barrier
	s_delay_alu instid0(VALU_DEP_3) | instskip(NEXT) | instid1(VALU_DEP_3)
	v_cmp_eq_u32_e64 s10, 0, v24
	v_lshl_add_u32 v25, v1, 2, 8
	s_delay_alu instid0(VALU_DEP_2) | instskip(NEXT) | instid1(SALU_CYCLE_1)
	s_and_b32 s11, s11, s10
	s_and_saveexec_b32 s10, s11
	s_cbranch_execz .LBB144_20
; %bb.19:                               ;   in Loop: Header=BB144_2 Depth=1
	v_bcnt_u32_b32 v0, v0, 0
	ds_store_b32 v25, v0
.LBB144_20:                             ;   in Loop: Header=BB144_2 Depth=1
	s_or_b32 exec_lo, exec_lo, s10
	; wave barrier
	s_waitcnt lgkmcnt(0)
	s_barrier
	buffer_gl0_inv
	ds_load_2addr_b64 v[4:7], v15 offset0:1 offset1:2
	ds_load_2addr_b64 v[0:3], v16 offset0:2 offset1:3
	s_waitcnt lgkmcnt(1)
	v_add_nc_u32_e32 v26, v5, v4
	s_delay_alu instid0(VALU_DEP_1) | instskip(SKIP_1) | instid1(VALU_DEP_1)
	v_add3_u32 v26, v26, v6, v7
	s_waitcnt lgkmcnt(0)
	v_add3_u32 v26, v26, v0, v1
	s_delay_alu instid0(VALU_DEP_1) | instskip(NEXT) | instid1(VALU_DEP_1)
	v_add3_u32 v3, v26, v2, v3
	v_mov_b32_dpp v26, v3 row_shr:1 row_mask:0xf bank_mask:0xf
	s_delay_alu instid0(VALU_DEP_1) | instskip(NEXT) | instid1(VALU_DEP_1)
	v_cndmask_b32_e64 v26, v26, 0, s0
	v_add_nc_u32_e32 v3, v26, v3
	s_delay_alu instid0(VALU_DEP_1) | instskip(NEXT) | instid1(VALU_DEP_1)
	v_mov_b32_dpp v26, v3 row_shr:2 row_mask:0xf bank_mask:0xf
	v_cndmask_b32_e64 v26, 0, v26, s1
	s_delay_alu instid0(VALU_DEP_1) | instskip(NEXT) | instid1(VALU_DEP_1)
	v_add_nc_u32_e32 v3, v3, v26
	v_mov_b32_dpp v26, v3 row_shr:4 row_mask:0xf bank_mask:0xf
	s_delay_alu instid0(VALU_DEP_1) | instskip(NEXT) | instid1(VALU_DEP_1)
	v_cndmask_b32_e64 v26, 0, v26, s2
	v_add_nc_u32_e32 v3, v3, v26
	s_delay_alu instid0(VALU_DEP_1) | instskip(NEXT) | instid1(VALU_DEP_1)
	v_mov_b32_dpp v26, v3 row_shr:8 row_mask:0xf bank_mask:0xf
	v_cndmask_b32_e64 v26, 0, v26, s3
	s_delay_alu instid0(VALU_DEP_1) | instskip(SKIP_3) | instid1(VALU_DEP_1)
	v_add_nc_u32_e32 v3, v3, v26
	ds_swizzle_b32 v26, v3 offset:swizzle(BROADCAST,32,15)
	s_waitcnt lgkmcnt(0)
	v_cndmask_b32_e64 v26, v26, 0, s4
	v_add_nc_u32_e32 v3, v3, v26
	s_and_saveexec_b32 s10, s9
	s_cbranch_execz .LBB144_22
; %bb.21:                               ;   in Loop: Header=BB144_2 Depth=1
	ds_store_b32 v17, v3
.LBB144_22:                             ;   in Loop: Header=BB144_2 Depth=1
	s_or_b32 exec_lo, exec_lo, s10
	s_waitcnt lgkmcnt(0)
	s_barrier
	buffer_gl0_inv
	s_and_saveexec_b32 s10, s5
	s_cbranch_execz .LBB144_24
; %bb.23:                               ;   in Loop: Header=BB144_2 Depth=1
	ds_load_b32 v26, v19
	s_waitcnt lgkmcnt(0)
	v_mov_b32_dpp v27, v26 row_shr:1 row_mask:0xf bank_mask:0xf
	s_delay_alu instid0(VALU_DEP_1) | instskip(NEXT) | instid1(VALU_DEP_1)
	v_cndmask_b32_e64 v27, v27, 0, s8
	v_add_nc_u32_e32 v26, v27, v26
	ds_store_b32 v19, v26
.LBB144_24:                             ;   in Loop: Header=BB144_2 Depth=1
	s_or_b32 exec_lo, exec_lo, s10
	v_mov_b32_e32 v26, 0
	s_waitcnt lgkmcnt(0)
	s_barrier
	buffer_gl0_inv
	s_and_saveexec_b32 s10, s6
	s_cbranch_execz .LBB144_26
; %bb.25:                               ;   in Loop: Header=BB144_2 Depth=1
	ds_load_b32 v26, v20
.LBB144_26:                             ;   in Loop: Header=BB144_2 Depth=1
	s_or_b32 exec_lo, exec_lo, s10
	s_waitcnt lgkmcnt(0)
	v_add_nc_u32_e32 v3, v26, v3
	ds_bpermute_b32 v3, v18, v3
	s_waitcnt lgkmcnt(0)
	v_cndmask_b32_e32 v3, v3, v26, vcc_lo
	s_delay_alu instid0(VALU_DEP_1) | instskip(NEXT) | instid1(VALU_DEP_1)
	v_cndmask_b32_e64 v3, v3, 0, s7
	v_add_nc_u32_e32 v4, v3, v4
	s_delay_alu instid0(VALU_DEP_1) | instskip(NEXT) | instid1(VALU_DEP_1)
	v_add_nc_u32_e32 v5, v4, v5
	v_add_nc_u32_e32 v6, v5, v6
	s_delay_alu instid0(VALU_DEP_1) | instskip(NEXT) | instid1(VALU_DEP_1)
	v_add_nc_u32_e32 v26, v6, v7
	;; [unrolled: 3-line block ×3, first 2 shown]
	v_add_nc_u32_e32 v1, v0, v2
	ds_store_2addr_b64 v15, v[3:4], v[5:6] offset0:1 offset1:2
	ds_store_2addr_b64 v16, v[26:27], v[0:1] offset0:2 offset1:3
	s_waitcnt lgkmcnt(0)
	s_barrier
	buffer_gl0_inv
	ds_load_b32 v0, v25
	v_lshlrev_b32_e32 v1, 3, v24
	s_waitcnt lgkmcnt(0)
	s_barrier
	buffer_gl0_inv
	v_lshl_add_u32 v0, v0, 3, v1
	ds_store_b64 v0, v[13:14]
	s_waitcnt lgkmcnt(0)
	s_barrier
	buffer_gl0_inv
	ds_load_b64 v[13:14], v21
	s_waitcnt lgkmcnt(0)
	s_barrier
	buffer_gl0_inv
	v_bfe_u32 v0, v14, 24, 1
	v_lshrrev_b32_e32 v5, 24, v14
	s_delay_alu instid0(VALU_DEP_2) | instskip(NEXT) | instid1(VALU_DEP_1)
	v_add_co_u32 v0, s10, v0, -1
	v_cndmask_b32_e64 v1, 0, 1, s10
	s_delay_alu instid0(VALU_DEP_3)
	v_lshlrev_b32_e32 v2, 30, v5
	v_lshlrev_b32_e32 v3, 29, v5
	;; [unrolled: 1-line block ×4, first 2 shown]
	v_cmp_ne_u32_e64 s10, 0, v1
	v_not_b32_e32 v1, v2
	v_cmp_gt_i32_e64 s11, 0, v2
	v_not_b32_e32 v2, v3
	v_lshlrev_b32_e32 v7, 26, v5
	v_xor_b32_e32 v0, s10, v0
	v_ashrrev_i32_e32 v1, 31, v1
	v_cmp_gt_i32_e64 s10, 0, v3
	v_not_b32_e32 v3, v4
	v_ashrrev_i32_e32 v2, 31, v2
	v_and_b32_e32 v0, exec_lo, v0
	v_xor_b32_e32 v1, s11, v1
	v_cmp_gt_i32_e64 s11, 0, v4
	v_not_b32_e32 v4, v6
	v_ashrrev_i32_e32 v3, 31, v3
	v_xor_b32_e32 v2, s10, v2
	v_and_b32_e32 v0, v0, v1
	v_lshlrev_b32_e32 v24, 25, v5
	v_cmp_gt_i32_e64 s10, 0, v6
	v_not_b32_e32 v1, v7
	v_ashrrev_i32_e32 v4, 31, v4
	v_xor_b32_e32 v3, s11, v3
	v_and_b32_e32 v0, v0, v2
	v_cmp_gt_i32_e64 s11, 0, v7
	v_not_b32_e32 v2, v24
	v_ashrrev_i32_e32 v1, 31, v1
	v_xor_b32_e32 v4, s10, v4
	v_and_b32_e32 v0, v0, v3
	v_not_b32_e32 v3, v14
	v_cmp_gt_i32_e64 s10, 0, v24
	v_ashrrev_i32_e32 v2, 31, v2
	v_xor_b32_e32 v1, s11, v1
	v_and_b32_e32 v0, v0, v4
	v_cmp_gt_i32_e64 s11, 0, v14
	v_ashrrev_i32_e32 v3, 31, v3
	v_xor_b32_e32 v2, s10, v2
	s_delay_alu instid0(VALU_DEP_4) | instskip(NEXT) | instid1(VALU_DEP_3)
	v_and_b32_e32 v0, v0, v1
	v_xor_b32_e32 v3, s11, v3
	s_delay_alu instid0(VALU_DEP_2) | instskip(SKIP_1) | instid1(VALU_DEP_2)
	v_dual_mov_b32 v1, s20 :: v_dual_and_b32 v0, v0, v2
	v_mov_b32_e32 v2, s21
	v_dual_mov_b32 v3, s16 :: v_dual_and_b32 v0, v0, v3
	v_mov_b32_e32 v4, s17
	ds_store_2addr_b64 v15, v[1:2], v[3:4] offset0:1 offset1:2
	ds_store_2addr_b64 v16, v[1:2], v[3:4] offset0:2 offset1:3
	v_mbcnt_lo_u32_b32 v24, v0, 0
	v_lshl_add_u32 v1, v5, 1, v22
	v_cmp_ne_u32_e64 s11, 0, v0
	s_waitcnt lgkmcnt(0)
	s_barrier
	v_cmp_eq_u32_e64 s10, 0, v24
	v_lshl_add_u32 v25, v1, 2, 8
	buffer_gl0_inv
	; wave barrier
	s_and_b32 s11, s11, s10
	s_delay_alu instid0(SALU_CYCLE_1)
	s_and_saveexec_b32 s10, s11
	s_cbranch_execz .LBB144_28
; %bb.27:                               ;   in Loop: Header=BB144_2 Depth=1
	v_bcnt_u32_b32 v0, v0, 0
	ds_store_b32 v25, v0
.LBB144_28:                             ;   in Loop: Header=BB144_2 Depth=1
	s_or_b32 exec_lo, exec_lo, s10
	; wave barrier
	s_waitcnt lgkmcnt(0)
	s_barrier
	buffer_gl0_inv
	ds_load_2addr_b64 v[4:7], v15 offset0:1 offset1:2
	ds_load_2addr_b64 v[0:3], v16 offset0:2 offset1:3
	s_waitcnt lgkmcnt(1)
	v_add_nc_u32_e32 v26, v5, v4
	s_delay_alu instid0(VALU_DEP_1) | instskip(SKIP_1) | instid1(VALU_DEP_1)
	v_add3_u32 v26, v26, v6, v7
	s_waitcnt lgkmcnt(0)
	v_add3_u32 v26, v26, v0, v1
	s_delay_alu instid0(VALU_DEP_1) | instskip(NEXT) | instid1(VALU_DEP_1)
	v_add3_u32 v3, v26, v2, v3
	v_mov_b32_dpp v26, v3 row_shr:1 row_mask:0xf bank_mask:0xf
	s_delay_alu instid0(VALU_DEP_1) | instskip(NEXT) | instid1(VALU_DEP_1)
	v_cndmask_b32_e64 v26, v26, 0, s0
	v_add_nc_u32_e32 v3, v26, v3
	s_delay_alu instid0(VALU_DEP_1) | instskip(NEXT) | instid1(VALU_DEP_1)
	v_mov_b32_dpp v26, v3 row_shr:2 row_mask:0xf bank_mask:0xf
	v_cndmask_b32_e64 v26, 0, v26, s1
	s_delay_alu instid0(VALU_DEP_1) | instskip(NEXT) | instid1(VALU_DEP_1)
	v_add_nc_u32_e32 v3, v3, v26
	v_mov_b32_dpp v26, v3 row_shr:4 row_mask:0xf bank_mask:0xf
	s_delay_alu instid0(VALU_DEP_1) | instskip(NEXT) | instid1(VALU_DEP_1)
	v_cndmask_b32_e64 v26, 0, v26, s2
	v_add_nc_u32_e32 v3, v3, v26
	s_delay_alu instid0(VALU_DEP_1) | instskip(NEXT) | instid1(VALU_DEP_1)
	v_mov_b32_dpp v26, v3 row_shr:8 row_mask:0xf bank_mask:0xf
	v_cndmask_b32_e64 v26, 0, v26, s3
	s_delay_alu instid0(VALU_DEP_1) | instskip(SKIP_3) | instid1(VALU_DEP_1)
	v_add_nc_u32_e32 v3, v3, v26
	ds_swizzle_b32 v26, v3 offset:swizzle(BROADCAST,32,15)
	s_waitcnt lgkmcnt(0)
	v_cndmask_b32_e64 v26, v26, 0, s4
	v_add_nc_u32_e32 v3, v3, v26
	s_and_saveexec_b32 s10, s9
	s_cbranch_execz .LBB144_30
; %bb.29:                               ;   in Loop: Header=BB144_2 Depth=1
	ds_store_b32 v17, v3
.LBB144_30:                             ;   in Loop: Header=BB144_2 Depth=1
	s_or_b32 exec_lo, exec_lo, s10
	s_waitcnt lgkmcnt(0)
	s_barrier
	buffer_gl0_inv
	s_and_saveexec_b32 s10, s5
	s_cbranch_execz .LBB144_32
; %bb.31:                               ;   in Loop: Header=BB144_2 Depth=1
	ds_load_b32 v26, v19
	s_waitcnt lgkmcnt(0)
	v_mov_b32_dpp v27, v26 row_shr:1 row_mask:0xf bank_mask:0xf
	s_delay_alu instid0(VALU_DEP_1) | instskip(NEXT) | instid1(VALU_DEP_1)
	v_cndmask_b32_e64 v27, v27, 0, s8
	v_add_nc_u32_e32 v26, v27, v26
	ds_store_b32 v19, v26
.LBB144_32:                             ;   in Loop: Header=BB144_2 Depth=1
	s_or_b32 exec_lo, exec_lo, s10
	v_mov_b32_e32 v26, 0
	s_waitcnt lgkmcnt(0)
	s_barrier
	buffer_gl0_inv
	s_and_saveexec_b32 s10, s6
	s_cbranch_execz .LBB144_34
; %bb.33:                               ;   in Loop: Header=BB144_2 Depth=1
	ds_load_b32 v26, v20
.LBB144_34:                             ;   in Loop: Header=BB144_2 Depth=1
	s_or_b32 exec_lo, exec_lo, s10
	s_waitcnt lgkmcnt(0)
	v_add_nc_u32_e32 v3, v26, v3
	ds_bpermute_b32 v3, v18, v3
	s_waitcnt lgkmcnt(0)
	v_cndmask_b32_e32 v3, v3, v26, vcc_lo
	s_delay_alu instid0(VALU_DEP_1) | instskip(NEXT) | instid1(VALU_DEP_1)
	v_cndmask_b32_e64 v3, v3, 0, s7
	v_add_nc_u32_e32 v4, v3, v4
	s_delay_alu instid0(VALU_DEP_1) | instskip(NEXT) | instid1(VALU_DEP_1)
	v_add_nc_u32_e32 v5, v4, v5
	v_add_nc_u32_e32 v6, v5, v6
	s_delay_alu instid0(VALU_DEP_1) | instskip(NEXT) | instid1(VALU_DEP_1)
	v_add_nc_u32_e32 v26, v6, v7
	;; [unrolled: 3-line block ×3, first 2 shown]
	v_add_nc_u32_e32 v1, v0, v2
	ds_store_2addr_b64 v15, v[3:4], v[5:6] offset0:1 offset1:2
	ds_store_2addr_b64 v16, v[26:27], v[0:1] offset0:2 offset1:3
	s_waitcnt lgkmcnt(0)
	s_barrier
	buffer_gl0_inv
	ds_load_b32 v0, v25
	v_lshlrev_b32_e32 v1, 3, v24
	s_waitcnt lgkmcnt(0)
	s_barrier
	buffer_gl0_inv
	v_lshl_add_u32 v0, v0, 3, v1
	ds_store_b64 v0, v[13:14]
	s_waitcnt lgkmcnt(0)
	s_barrier
	buffer_gl0_inv
	ds_load_b64 v[13:14], v21
	s_waitcnt lgkmcnt(0)
	s_barrier
	buffer_gl0_inv
	v_and_b32_e32 v0, 1, v13
	v_lshlrev_b32_e32 v1, 30, v13
	v_lshlrev_b32_e32 v2, 29, v13
	;; [unrolled: 1-line block ×4, first 2 shown]
	v_add_co_u32 v0, s10, v0, -1
	s_delay_alu instid0(VALU_DEP_1)
	v_cndmask_b32_e64 v4, 0, 1, s10
	v_not_b32_e32 v24, v1
	v_cmp_gt_i32_e64 s11, 0, v1
	v_not_b32_e32 v1, v2
	v_lshlrev_b32_e32 v6, 26, v13
	v_cmp_ne_u32_e64 s10, 0, v4
	v_ashrrev_i32_e32 v24, 31, v24
	v_lshlrev_b32_e32 v7, 25, v13
	v_ashrrev_i32_e32 v1, 31, v1
	v_lshlrev_b32_e32 v4, 24, v13
	v_xor_b32_e32 v0, s10, v0
	v_cmp_gt_i32_e64 s10, 0, v2
	v_not_b32_e32 v2, v3
	v_xor_b32_e32 v24, s11, v24
	v_cmp_gt_i32_e64 s11, 0, v3
	v_and_b32_e32 v0, exec_lo, v0
	v_not_b32_e32 v3, v5
	v_ashrrev_i32_e32 v2, 31, v2
	v_xor_b32_e32 v1, s10, v1
	v_cmp_gt_i32_e64 s10, 0, v5
	v_and_b32_e32 v0, v0, v24
	v_not_b32_e32 v5, v6
	v_ashrrev_i32_e32 v3, 31, v3
	v_xor_b32_e32 v2, s11, v2
	v_cmp_gt_i32_e64 s11, 0, v6
	v_and_b32_e32 v0, v0, v1
	;; [unrolled: 5-line block ×3, first 2 shown]
	v_not_b32_e32 v2, v4
	v_ashrrev_i32_e32 v1, 31, v1
	v_xor_b32_e32 v5, s11, v5
	v_cmp_gt_i32_e64 s11, 0, v4
	v_dual_mov_b32 v3, s16 :: v_dual_and_b32 v0, v0, v3
	v_ashrrev_i32_e32 v2, 31, v2
	v_xor_b32_e32 v1, s10, v1
	v_mov_b32_e32 v4, s17
	s_delay_alu instid0(VALU_DEP_4) | instskip(NEXT) | instid1(VALU_DEP_4)
	v_and_b32_e32 v0, v0, v5
	v_xor_b32_e32 v5, s11, v2
	s_delay_alu instid0(VALU_DEP_2)
	v_dual_mov_b32 v1, s20 :: v_dual_and_b32 v0, v0, v1
	v_mov_b32_e32 v2, s21
	ds_store_2addr_b64 v15, v[1:2], v[3:4] offset0:1 offset1:2
	ds_store_2addr_b64 v16, v[1:2], v[3:4] offset0:2 offset1:3
	v_and_b32_e32 v0, v0, v5
	v_and_b32_e32 v5, 0xff, v13
	s_waitcnt lgkmcnt(0)
	s_barrier
	buffer_gl0_inv
	v_mbcnt_lo_u32_b32 v24, v0, 0
	v_lshl_add_u32 v1, v5, 1, v22
	v_cmp_ne_u32_e64 s11, 0, v0
	; wave barrier
	s_delay_alu instid0(VALU_DEP_3) | instskip(NEXT) | instid1(VALU_DEP_3)
	v_cmp_eq_u32_e64 s10, 0, v24
	v_lshl_add_u32 v25, v1, 2, 8
	s_delay_alu instid0(VALU_DEP_2) | instskip(NEXT) | instid1(SALU_CYCLE_1)
	s_and_b32 s11, s11, s10
	s_and_saveexec_b32 s10, s11
	s_cbranch_execz .LBB144_36
; %bb.35:                               ;   in Loop: Header=BB144_2 Depth=1
	v_bcnt_u32_b32 v0, v0, 0
	ds_store_b32 v25, v0
.LBB144_36:                             ;   in Loop: Header=BB144_2 Depth=1
	s_or_b32 exec_lo, exec_lo, s10
	; wave barrier
	s_waitcnt lgkmcnt(0)
	s_barrier
	buffer_gl0_inv
	ds_load_2addr_b64 v[4:7], v15 offset0:1 offset1:2
	ds_load_2addr_b64 v[0:3], v16 offset0:2 offset1:3
	s_waitcnt lgkmcnt(1)
	v_add_nc_u32_e32 v26, v5, v4
	s_delay_alu instid0(VALU_DEP_1) | instskip(SKIP_1) | instid1(VALU_DEP_1)
	v_add3_u32 v26, v26, v6, v7
	s_waitcnt lgkmcnt(0)
	v_add3_u32 v26, v26, v0, v1
	s_delay_alu instid0(VALU_DEP_1) | instskip(NEXT) | instid1(VALU_DEP_1)
	v_add3_u32 v3, v26, v2, v3
	v_mov_b32_dpp v26, v3 row_shr:1 row_mask:0xf bank_mask:0xf
	s_delay_alu instid0(VALU_DEP_1) | instskip(NEXT) | instid1(VALU_DEP_1)
	v_cndmask_b32_e64 v26, v26, 0, s0
	v_add_nc_u32_e32 v3, v26, v3
	s_delay_alu instid0(VALU_DEP_1) | instskip(NEXT) | instid1(VALU_DEP_1)
	v_mov_b32_dpp v26, v3 row_shr:2 row_mask:0xf bank_mask:0xf
	v_cndmask_b32_e64 v26, 0, v26, s1
	s_delay_alu instid0(VALU_DEP_1) | instskip(NEXT) | instid1(VALU_DEP_1)
	v_add_nc_u32_e32 v3, v3, v26
	v_mov_b32_dpp v26, v3 row_shr:4 row_mask:0xf bank_mask:0xf
	s_delay_alu instid0(VALU_DEP_1) | instskip(NEXT) | instid1(VALU_DEP_1)
	v_cndmask_b32_e64 v26, 0, v26, s2
	v_add_nc_u32_e32 v3, v3, v26
	s_delay_alu instid0(VALU_DEP_1) | instskip(NEXT) | instid1(VALU_DEP_1)
	v_mov_b32_dpp v26, v3 row_shr:8 row_mask:0xf bank_mask:0xf
	v_cndmask_b32_e64 v26, 0, v26, s3
	s_delay_alu instid0(VALU_DEP_1) | instskip(SKIP_3) | instid1(VALU_DEP_1)
	v_add_nc_u32_e32 v3, v3, v26
	ds_swizzle_b32 v26, v3 offset:swizzle(BROADCAST,32,15)
	s_waitcnt lgkmcnt(0)
	v_cndmask_b32_e64 v26, v26, 0, s4
	v_add_nc_u32_e32 v3, v3, v26
	s_and_saveexec_b32 s10, s9
	s_cbranch_execz .LBB144_38
; %bb.37:                               ;   in Loop: Header=BB144_2 Depth=1
	ds_store_b32 v17, v3
.LBB144_38:                             ;   in Loop: Header=BB144_2 Depth=1
	s_or_b32 exec_lo, exec_lo, s10
	s_waitcnt lgkmcnt(0)
	s_barrier
	buffer_gl0_inv
	s_and_saveexec_b32 s10, s5
	s_cbranch_execz .LBB144_40
; %bb.39:                               ;   in Loop: Header=BB144_2 Depth=1
	ds_load_b32 v26, v19
	s_waitcnt lgkmcnt(0)
	v_mov_b32_dpp v27, v26 row_shr:1 row_mask:0xf bank_mask:0xf
	s_delay_alu instid0(VALU_DEP_1) | instskip(NEXT) | instid1(VALU_DEP_1)
	v_cndmask_b32_e64 v27, v27, 0, s8
	v_add_nc_u32_e32 v26, v27, v26
	ds_store_b32 v19, v26
.LBB144_40:                             ;   in Loop: Header=BB144_2 Depth=1
	s_or_b32 exec_lo, exec_lo, s10
	v_mov_b32_e32 v26, 0
	s_waitcnt lgkmcnt(0)
	s_barrier
	buffer_gl0_inv
	s_and_saveexec_b32 s10, s6
	s_cbranch_execz .LBB144_42
; %bb.41:                               ;   in Loop: Header=BB144_2 Depth=1
	ds_load_b32 v26, v20
.LBB144_42:                             ;   in Loop: Header=BB144_2 Depth=1
	s_or_b32 exec_lo, exec_lo, s10
	s_waitcnt lgkmcnt(0)
	v_add_nc_u32_e32 v3, v26, v3
	ds_bpermute_b32 v3, v18, v3
	s_waitcnt lgkmcnt(0)
	v_cndmask_b32_e32 v3, v3, v26, vcc_lo
	s_delay_alu instid0(VALU_DEP_1) | instskip(NEXT) | instid1(VALU_DEP_1)
	v_cndmask_b32_e64 v3, v3, 0, s7
	v_add_nc_u32_e32 v4, v3, v4
	s_delay_alu instid0(VALU_DEP_1) | instskip(NEXT) | instid1(VALU_DEP_1)
	v_add_nc_u32_e32 v5, v4, v5
	v_add_nc_u32_e32 v6, v5, v6
	s_delay_alu instid0(VALU_DEP_1) | instskip(NEXT) | instid1(VALU_DEP_1)
	v_add_nc_u32_e32 v26, v6, v7
	;; [unrolled: 3-line block ×3, first 2 shown]
	v_add_nc_u32_e32 v1, v0, v2
	ds_store_2addr_b64 v15, v[3:4], v[5:6] offset0:1 offset1:2
	ds_store_2addr_b64 v16, v[26:27], v[0:1] offset0:2 offset1:3
	s_waitcnt lgkmcnt(0)
	s_barrier
	buffer_gl0_inv
	ds_load_b32 v0, v25
	v_lshlrev_b32_e32 v1, 3, v24
	s_waitcnt lgkmcnt(0)
	s_barrier
	buffer_gl0_inv
	v_lshl_add_u32 v0, v0, 3, v1
	ds_store_b64 v0, v[13:14]
	s_waitcnt lgkmcnt(0)
	s_barrier
	buffer_gl0_inv
	ds_load_b64 v[13:14], v21
	s_waitcnt lgkmcnt(0)
	s_barrier
	buffer_gl0_inv
	v_bfe_u32 v0, v13, 8, 1
	v_lshrrev_b32_e32 v1, 8, v13
	s_delay_alu instid0(VALU_DEP_2) | instskip(NEXT) | instid1(VALU_DEP_1)
	v_add_co_u32 v0, s10, v0, -1
	v_cndmask_b32_e64 v2, 0, 1, s10
	s_delay_alu instid0(VALU_DEP_3)
	v_lshlrev_b32_e32 v3, 30, v1
	v_lshlrev_b32_e32 v4, 29, v1
	;; [unrolled: 1-line block ×4, first 2 shown]
	v_cmp_ne_u32_e64 s10, 0, v2
	v_not_b32_e32 v2, v3
	v_cmp_gt_i32_e64 s11, 0, v3
	v_not_b32_e32 v3, v4
	v_lshlrev_b32_e32 v7, 26, v1
	v_xor_b32_e32 v0, s10, v0
	v_ashrrev_i32_e32 v2, 31, v2
	v_cmp_gt_i32_e64 s10, 0, v4
	v_not_b32_e32 v4, v5
	v_ashrrev_i32_e32 v3, 31, v3
	v_and_b32_e32 v0, exec_lo, v0
	v_xor_b32_e32 v2, s11, v2
	v_cmp_gt_i32_e64 s11, 0, v5
	v_not_b32_e32 v5, v6
	v_ashrrev_i32_e32 v4, 31, v4
	v_xor_b32_e32 v3, s10, v3
	v_and_b32_e32 v0, v0, v2
	v_lshlrev_b32_e32 v24, 25, v1
	v_cmp_gt_i32_e64 s10, 0, v6
	v_not_b32_e32 v2, v7
	v_ashrrev_i32_e32 v5, 31, v5
	v_xor_b32_e32 v4, s11, v4
	v_and_b32_e32 v0, v0, v3
	v_lshlrev_b32_e32 v1, 24, v1
	v_cmp_gt_i32_e64 s11, 0, v7
	v_not_b32_e32 v3, v24
	v_ashrrev_i32_e32 v2, 31, v2
	v_xor_b32_e32 v5, s10, v5
	v_and_b32_e32 v0, v0, v4
	v_cmp_gt_i32_e64 s10, 0, v24
	v_not_b32_e32 v4, v1
	v_ashrrev_i32_e32 v3, 31, v3
	v_xor_b32_e32 v2, s11, v2
	v_and_b32_e32 v0, v0, v5
	v_cmp_gt_i32_e64 s11, 0, v1
	v_ashrrev_i32_e32 v1, 31, v4
	v_xor_b32_e32 v3, s10, v3
	v_lshrrev_b32_e32 v6, 7, v13
	v_and_b32_e32 v0, v0, v2
	s_delay_alu instid0(VALU_DEP_4) | instskip(SKIP_1) | instid1(VALU_DEP_3)
	v_xor_b32_e32 v5, s11, v1
	v_dual_mov_b32 v1, s20 :: v_dual_mov_b32 v2, s21
	v_dual_mov_b32 v3, s16 :: v_dual_and_b32 v0, v0, v3
	v_mov_b32_e32 v4, s17
	ds_store_2addr_b64 v15, v[1:2], v[3:4] offset0:1 offset1:2
	ds_store_2addr_b64 v16, v[1:2], v[3:4] offset0:2 offset1:3
	v_and_b32_e32 v0, v0, v5
	v_and_b32_e32 v5, 0x1fe, v6
	s_waitcnt lgkmcnt(0)
	s_barrier
	buffer_gl0_inv
	v_mbcnt_lo_u32_b32 v24, v0, 0
	v_add_nc_u32_e32 v1, v5, v22
	v_cmp_ne_u32_e64 s11, 0, v0
	; wave barrier
	s_delay_alu instid0(VALU_DEP_3) | instskip(NEXT) | instid1(VALU_DEP_3)
	v_cmp_eq_u32_e64 s10, 0, v24
	v_lshl_add_u32 v25, v1, 2, 8
	s_delay_alu instid0(VALU_DEP_2) | instskip(NEXT) | instid1(SALU_CYCLE_1)
	s_and_b32 s11, s11, s10
	s_and_saveexec_b32 s10, s11
	s_cbranch_execz .LBB144_44
; %bb.43:                               ;   in Loop: Header=BB144_2 Depth=1
	v_bcnt_u32_b32 v0, v0, 0
	ds_store_b32 v25, v0
.LBB144_44:                             ;   in Loop: Header=BB144_2 Depth=1
	s_or_b32 exec_lo, exec_lo, s10
	; wave barrier
	s_waitcnt lgkmcnt(0)
	s_barrier
	buffer_gl0_inv
	ds_load_2addr_b64 v[4:7], v15 offset0:1 offset1:2
	ds_load_2addr_b64 v[0:3], v16 offset0:2 offset1:3
	s_waitcnt lgkmcnt(1)
	v_add_nc_u32_e32 v26, v5, v4
	s_delay_alu instid0(VALU_DEP_1) | instskip(SKIP_1) | instid1(VALU_DEP_1)
	v_add3_u32 v26, v26, v6, v7
	s_waitcnt lgkmcnt(0)
	v_add3_u32 v26, v26, v0, v1
	s_delay_alu instid0(VALU_DEP_1) | instskip(NEXT) | instid1(VALU_DEP_1)
	v_add3_u32 v3, v26, v2, v3
	v_mov_b32_dpp v26, v3 row_shr:1 row_mask:0xf bank_mask:0xf
	s_delay_alu instid0(VALU_DEP_1) | instskip(NEXT) | instid1(VALU_DEP_1)
	v_cndmask_b32_e64 v26, v26, 0, s0
	v_add_nc_u32_e32 v3, v26, v3
	s_delay_alu instid0(VALU_DEP_1) | instskip(NEXT) | instid1(VALU_DEP_1)
	v_mov_b32_dpp v26, v3 row_shr:2 row_mask:0xf bank_mask:0xf
	v_cndmask_b32_e64 v26, 0, v26, s1
	s_delay_alu instid0(VALU_DEP_1) | instskip(NEXT) | instid1(VALU_DEP_1)
	v_add_nc_u32_e32 v3, v3, v26
	v_mov_b32_dpp v26, v3 row_shr:4 row_mask:0xf bank_mask:0xf
	s_delay_alu instid0(VALU_DEP_1) | instskip(NEXT) | instid1(VALU_DEP_1)
	v_cndmask_b32_e64 v26, 0, v26, s2
	v_add_nc_u32_e32 v3, v3, v26
	s_delay_alu instid0(VALU_DEP_1) | instskip(NEXT) | instid1(VALU_DEP_1)
	v_mov_b32_dpp v26, v3 row_shr:8 row_mask:0xf bank_mask:0xf
	v_cndmask_b32_e64 v26, 0, v26, s3
	s_delay_alu instid0(VALU_DEP_1) | instskip(SKIP_3) | instid1(VALU_DEP_1)
	v_add_nc_u32_e32 v3, v3, v26
	ds_swizzle_b32 v26, v3 offset:swizzle(BROADCAST,32,15)
	s_waitcnt lgkmcnt(0)
	v_cndmask_b32_e64 v26, v26, 0, s4
	v_add_nc_u32_e32 v3, v3, v26
	s_and_saveexec_b32 s10, s9
	s_cbranch_execz .LBB144_46
; %bb.45:                               ;   in Loop: Header=BB144_2 Depth=1
	ds_store_b32 v17, v3
.LBB144_46:                             ;   in Loop: Header=BB144_2 Depth=1
	s_or_b32 exec_lo, exec_lo, s10
	s_waitcnt lgkmcnt(0)
	s_barrier
	buffer_gl0_inv
	s_and_saveexec_b32 s10, s5
	s_cbranch_execz .LBB144_48
; %bb.47:                               ;   in Loop: Header=BB144_2 Depth=1
	ds_load_b32 v26, v19
	s_waitcnt lgkmcnt(0)
	v_mov_b32_dpp v27, v26 row_shr:1 row_mask:0xf bank_mask:0xf
	s_delay_alu instid0(VALU_DEP_1) | instskip(NEXT) | instid1(VALU_DEP_1)
	v_cndmask_b32_e64 v27, v27, 0, s8
	v_add_nc_u32_e32 v26, v27, v26
	ds_store_b32 v19, v26
.LBB144_48:                             ;   in Loop: Header=BB144_2 Depth=1
	s_or_b32 exec_lo, exec_lo, s10
	v_mov_b32_e32 v26, 0
	s_waitcnt lgkmcnt(0)
	s_barrier
	buffer_gl0_inv
	s_and_saveexec_b32 s10, s6
	s_cbranch_execz .LBB144_50
; %bb.49:                               ;   in Loop: Header=BB144_2 Depth=1
	ds_load_b32 v26, v20
.LBB144_50:                             ;   in Loop: Header=BB144_2 Depth=1
	s_or_b32 exec_lo, exec_lo, s10
	s_waitcnt lgkmcnt(0)
	v_add_nc_u32_e32 v3, v26, v3
	ds_bpermute_b32 v3, v18, v3
	s_waitcnt lgkmcnt(0)
	v_cndmask_b32_e32 v3, v3, v26, vcc_lo
	s_delay_alu instid0(VALU_DEP_1) | instskip(NEXT) | instid1(VALU_DEP_1)
	v_cndmask_b32_e64 v3, v3, 0, s7
	v_add_nc_u32_e32 v4, v3, v4
	s_delay_alu instid0(VALU_DEP_1) | instskip(NEXT) | instid1(VALU_DEP_1)
	v_add_nc_u32_e32 v5, v4, v5
	v_add_nc_u32_e32 v6, v5, v6
	s_delay_alu instid0(VALU_DEP_1) | instskip(NEXT) | instid1(VALU_DEP_1)
	v_add_nc_u32_e32 v26, v6, v7
	;; [unrolled: 3-line block ×3, first 2 shown]
	v_add_nc_u32_e32 v1, v0, v2
	ds_store_2addr_b64 v15, v[3:4], v[5:6] offset0:1 offset1:2
	ds_store_2addr_b64 v16, v[26:27], v[0:1] offset0:2 offset1:3
	s_waitcnt lgkmcnt(0)
	s_barrier
	buffer_gl0_inv
	ds_load_b32 v0, v25
	v_lshlrev_b32_e32 v1, 3, v24
	s_waitcnt lgkmcnt(0)
	s_barrier
	buffer_gl0_inv
	v_lshl_add_u32 v0, v0, 3, v1
	ds_store_b64 v0, v[13:14]
	s_waitcnt lgkmcnt(0)
	s_barrier
	buffer_gl0_inv
	ds_load_b64 v[13:14], v21
	s_waitcnt lgkmcnt(0)
	s_barrier
	buffer_gl0_inv
	v_bfe_u32 v0, v13, 16, 1
	v_lshrrev_b32_e32 v1, 16, v13
	s_delay_alu instid0(VALU_DEP_2) | instskip(NEXT) | instid1(VALU_DEP_1)
	v_add_co_u32 v0, s10, v0, -1
	v_cndmask_b32_e64 v2, 0, 1, s10
	s_delay_alu instid0(VALU_DEP_3)
	v_lshlrev_b32_e32 v3, 30, v1
	v_lshlrev_b32_e32 v4, 29, v1
	;; [unrolled: 1-line block ×4, first 2 shown]
	v_cmp_ne_u32_e64 s10, 0, v2
	v_not_b32_e32 v2, v3
	v_cmp_gt_i32_e64 s11, 0, v3
	v_not_b32_e32 v3, v4
	v_lshlrev_b32_e32 v7, 26, v1
	v_xor_b32_e32 v0, s10, v0
	v_ashrrev_i32_e32 v2, 31, v2
	v_cmp_gt_i32_e64 s10, 0, v4
	v_not_b32_e32 v4, v5
	v_ashrrev_i32_e32 v3, 31, v3
	v_and_b32_e32 v0, exec_lo, v0
	v_xor_b32_e32 v2, s11, v2
	v_cmp_gt_i32_e64 s11, 0, v5
	v_not_b32_e32 v5, v6
	v_ashrrev_i32_e32 v4, 31, v4
	v_xor_b32_e32 v3, s10, v3
	v_and_b32_e32 v0, v0, v2
	v_lshlrev_b32_e32 v24, 25, v1
	v_cmp_gt_i32_e64 s10, 0, v6
	v_not_b32_e32 v2, v7
	v_ashrrev_i32_e32 v5, 31, v5
	v_xor_b32_e32 v4, s11, v4
	v_and_b32_e32 v0, v0, v3
	v_lshlrev_b32_e32 v1, 24, v1
	v_cmp_gt_i32_e64 s11, 0, v7
	v_not_b32_e32 v3, v24
	v_ashrrev_i32_e32 v2, 31, v2
	v_xor_b32_e32 v5, s10, v5
	v_and_b32_e32 v0, v0, v4
	v_cmp_gt_i32_e64 s10, 0, v24
	v_not_b32_e32 v4, v1
	v_ashrrev_i32_e32 v3, 31, v3
	v_xor_b32_e32 v2, s11, v2
	v_and_b32_e32 v0, v0, v5
	v_cmp_gt_i32_e64 s11, 0, v1
	v_ashrrev_i32_e32 v1, 31, v4
	v_xor_b32_e32 v3, s10, v3
	v_lshrrev_b32_e32 v6, 15, v13
	v_and_b32_e32 v0, v0, v2
	s_delay_alu instid0(VALU_DEP_4) | instskip(SKIP_1) | instid1(VALU_DEP_3)
	v_xor_b32_e32 v5, s11, v1
	v_dual_mov_b32 v1, s20 :: v_dual_mov_b32 v2, s21
	v_dual_mov_b32 v3, s16 :: v_dual_and_b32 v0, v0, v3
	v_mov_b32_e32 v4, s17
	ds_store_2addr_b64 v15, v[1:2], v[3:4] offset0:1 offset1:2
	ds_store_2addr_b64 v16, v[1:2], v[3:4] offset0:2 offset1:3
	v_and_b32_e32 v0, v0, v5
	v_and_b32_e32 v5, 0x1fe, v6
	s_waitcnt lgkmcnt(0)
	s_barrier
	buffer_gl0_inv
	v_mbcnt_lo_u32_b32 v24, v0, 0
	v_add_nc_u32_e32 v1, v5, v22
	v_cmp_ne_u32_e64 s11, 0, v0
	; wave barrier
	s_delay_alu instid0(VALU_DEP_3) | instskip(NEXT) | instid1(VALU_DEP_3)
	v_cmp_eq_u32_e64 s10, 0, v24
	v_lshl_add_u32 v25, v1, 2, 8
	s_delay_alu instid0(VALU_DEP_2) | instskip(NEXT) | instid1(SALU_CYCLE_1)
	s_and_b32 s11, s11, s10
	s_and_saveexec_b32 s10, s11
	s_cbranch_execz .LBB144_52
; %bb.51:                               ;   in Loop: Header=BB144_2 Depth=1
	v_bcnt_u32_b32 v0, v0, 0
	ds_store_b32 v25, v0
.LBB144_52:                             ;   in Loop: Header=BB144_2 Depth=1
	s_or_b32 exec_lo, exec_lo, s10
	; wave barrier
	s_waitcnt lgkmcnt(0)
	s_barrier
	buffer_gl0_inv
	ds_load_2addr_b64 v[4:7], v15 offset0:1 offset1:2
	ds_load_2addr_b64 v[0:3], v16 offset0:2 offset1:3
	s_waitcnt lgkmcnt(1)
	v_add_nc_u32_e32 v26, v5, v4
	s_delay_alu instid0(VALU_DEP_1) | instskip(SKIP_1) | instid1(VALU_DEP_1)
	v_add3_u32 v26, v26, v6, v7
	s_waitcnt lgkmcnt(0)
	v_add3_u32 v26, v26, v0, v1
	s_delay_alu instid0(VALU_DEP_1) | instskip(NEXT) | instid1(VALU_DEP_1)
	v_add3_u32 v3, v26, v2, v3
	v_mov_b32_dpp v26, v3 row_shr:1 row_mask:0xf bank_mask:0xf
	s_delay_alu instid0(VALU_DEP_1) | instskip(NEXT) | instid1(VALU_DEP_1)
	v_cndmask_b32_e64 v26, v26, 0, s0
	v_add_nc_u32_e32 v3, v26, v3
	s_delay_alu instid0(VALU_DEP_1) | instskip(NEXT) | instid1(VALU_DEP_1)
	v_mov_b32_dpp v26, v3 row_shr:2 row_mask:0xf bank_mask:0xf
	v_cndmask_b32_e64 v26, 0, v26, s1
	s_delay_alu instid0(VALU_DEP_1) | instskip(NEXT) | instid1(VALU_DEP_1)
	v_add_nc_u32_e32 v3, v3, v26
	v_mov_b32_dpp v26, v3 row_shr:4 row_mask:0xf bank_mask:0xf
	s_delay_alu instid0(VALU_DEP_1) | instskip(NEXT) | instid1(VALU_DEP_1)
	v_cndmask_b32_e64 v26, 0, v26, s2
	v_add_nc_u32_e32 v3, v3, v26
	s_delay_alu instid0(VALU_DEP_1) | instskip(NEXT) | instid1(VALU_DEP_1)
	v_mov_b32_dpp v26, v3 row_shr:8 row_mask:0xf bank_mask:0xf
	v_cndmask_b32_e64 v26, 0, v26, s3
	s_delay_alu instid0(VALU_DEP_1) | instskip(SKIP_3) | instid1(VALU_DEP_1)
	v_add_nc_u32_e32 v3, v3, v26
	ds_swizzle_b32 v26, v3 offset:swizzle(BROADCAST,32,15)
	s_waitcnt lgkmcnt(0)
	v_cndmask_b32_e64 v26, v26, 0, s4
	v_add_nc_u32_e32 v3, v3, v26
	s_and_saveexec_b32 s10, s9
	s_cbranch_execz .LBB144_54
; %bb.53:                               ;   in Loop: Header=BB144_2 Depth=1
	ds_store_b32 v17, v3
.LBB144_54:                             ;   in Loop: Header=BB144_2 Depth=1
	s_or_b32 exec_lo, exec_lo, s10
	s_waitcnt lgkmcnt(0)
	s_barrier
	buffer_gl0_inv
	s_and_saveexec_b32 s10, s5
	s_cbranch_execz .LBB144_56
; %bb.55:                               ;   in Loop: Header=BB144_2 Depth=1
	ds_load_b32 v26, v19
	s_waitcnt lgkmcnt(0)
	v_mov_b32_dpp v27, v26 row_shr:1 row_mask:0xf bank_mask:0xf
	s_delay_alu instid0(VALU_DEP_1) | instskip(NEXT) | instid1(VALU_DEP_1)
	v_cndmask_b32_e64 v27, v27, 0, s8
	v_add_nc_u32_e32 v26, v27, v26
	ds_store_b32 v19, v26
.LBB144_56:                             ;   in Loop: Header=BB144_2 Depth=1
	s_or_b32 exec_lo, exec_lo, s10
	v_mov_b32_e32 v26, 0
	s_waitcnt lgkmcnt(0)
	s_barrier
	buffer_gl0_inv
	s_and_saveexec_b32 s10, s6
	s_cbranch_execz .LBB144_58
; %bb.57:                               ;   in Loop: Header=BB144_2 Depth=1
	ds_load_b32 v26, v20
.LBB144_58:                             ;   in Loop: Header=BB144_2 Depth=1
	s_or_b32 exec_lo, exec_lo, s10
	s_waitcnt lgkmcnt(0)
	v_add_nc_u32_e32 v3, v26, v3
	ds_bpermute_b32 v3, v18, v3
	s_waitcnt lgkmcnt(0)
	v_cndmask_b32_e32 v3, v3, v26, vcc_lo
	s_delay_alu instid0(VALU_DEP_1) | instskip(NEXT) | instid1(VALU_DEP_1)
	v_cndmask_b32_e64 v3, v3, 0, s7
	v_add_nc_u32_e32 v4, v3, v4
	s_delay_alu instid0(VALU_DEP_1) | instskip(NEXT) | instid1(VALU_DEP_1)
	v_add_nc_u32_e32 v5, v4, v5
	v_add_nc_u32_e32 v6, v5, v6
	s_delay_alu instid0(VALU_DEP_1) | instskip(NEXT) | instid1(VALU_DEP_1)
	v_add_nc_u32_e32 v26, v6, v7
	v_add_nc_u32_e32 v27, v26, v0
	s_delay_alu instid0(VALU_DEP_1) | instskip(NEXT) | instid1(VALU_DEP_1)
	v_add_nc_u32_e32 v0, v27, v1
	v_add_nc_u32_e32 v1, v0, v2
	ds_store_2addr_b64 v15, v[3:4], v[5:6] offset0:1 offset1:2
	ds_store_2addr_b64 v16, v[26:27], v[0:1] offset0:2 offset1:3
	s_waitcnt lgkmcnt(0)
	s_barrier
	buffer_gl0_inv
	ds_load_b32 v0, v25
	v_lshlrev_b32_e32 v1, 3, v24
	s_waitcnt lgkmcnt(0)
	s_barrier
	buffer_gl0_inv
	v_lshl_add_u32 v0, v0, 3, v1
	ds_store_b64 v0, v[13:14]
	s_waitcnt lgkmcnt(0)
	s_barrier
	buffer_gl0_inv
	ds_load_b64 v[13:14], v21
	s_waitcnt lgkmcnt(0)
	s_barrier
	buffer_gl0_inv
	v_bfe_u32 v0, v13, 24, 1
	v_lshrrev_b32_e32 v5, 24, v13
	s_delay_alu instid0(VALU_DEP_2) | instskip(NEXT) | instid1(VALU_DEP_1)
	v_add_co_u32 v0, s10, v0, -1
	v_cndmask_b32_e64 v1, 0, 1, s10
	s_delay_alu instid0(VALU_DEP_3)
	v_lshlrev_b32_e32 v2, 30, v5
	v_lshlrev_b32_e32 v3, 29, v5
	;; [unrolled: 1-line block ×4, first 2 shown]
	v_cmp_ne_u32_e64 s10, 0, v1
	v_not_b32_e32 v1, v2
	v_cmp_gt_i32_e64 s11, 0, v2
	v_not_b32_e32 v2, v3
	v_lshlrev_b32_e32 v7, 26, v5
	v_xor_b32_e32 v0, s10, v0
	v_ashrrev_i32_e32 v1, 31, v1
	v_cmp_gt_i32_e64 s10, 0, v3
	v_not_b32_e32 v3, v4
	v_ashrrev_i32_e32 v2, 31, v2
	v_and_b32_e32 v0, exec_lo, v0
	v_xor_b32_e32 v1, s11, v1
	v_cmp_gt_i32_e64 s11, 0, v4
	v_not_b32_e32 v4, v6
	v_ashrrev_i32_e32 v3, 31, v3
	v_xor_b32_e32 v2, s10, v2
	v_and_b32_e32 v0, v0, v1
	v_lshlrev_b32_e32 v24, 25, v5
	v_cmp_gt_i32_e64 s10, 0, v6
	v_not_b32_e32 v1, v7
	v_ashrrev_i32_e32 v4, 31, v4
	v_xor_b32_e32 v3, s11, v3
	v_and_b32_e32 v0, v0, v2
	v_cmp_gt_i32_e64 s11, 0, v7
	v_not_b32_e32 v2, v24
	v_ashrrev_i32_e32 v1, 31, v1
	v_xor_b32_e32 v4, s10, v4
	v_and_b32_e32 v0, v0, v3
	v_not_b32_e32 v3, v13
	v_cmp_gt_i32_e64 s10, 0, v24
	v_ashrrev_i32_e32 v2, 31, v2
	v_xor_b32_e32 v1, s11, v1
	v_and_b32_e32 v0, v0, v4
	v_cmp_gt_i32_e64 s11, 0, v13
	v_ashrrev_i32_e32 v3, 31, v3
	v_xor_b32_e32 v2, s10, v2
	s_delay_alu instid0(VALU_DEP_4) | instskip(NEXT) | instid1(VALU_DEP_3)
	v_and_b32_e32 v0, v0, v1
	v_xor_b32_e32 v3, s11, v3
	s_delay_alu instid0(VALU_DEP_2) | instskip(SKIP_1) | instid1(VALU_DEP_2)
	v_dual_mov_b32 v1, s20 :: v_dual_and_b32 v0, v0, v2
	v_mov_b32_e32 v2, s21
	v_dual_mov_b32 v3, s16 :: v_dual_and_b32 v0, v0, v3
	v_mov_b32_e32 v4, s17
	ds_store_2addr_b64 v15, v[1:2], v[3:4] offset0:1 offset1:2
	ds_store_2addr_b64 v16, v[1:2], v[3:4] offset0:2 offset1:3
	v_mbcnt_lo_u32_b32 v24, v0, 0
	v_lshl_add_u32 v1, v5, 1, v22
	v_cmp_ne_u32_e64 s11, 0, v0
	s_waitcnt lgkmcnt(0)
	s_barrier
	v_cmp_eq_u32_e64 s10, 0, v24
	v_lshl_add_u32 v25, v1, 2, 8
	buffer_gl0_inv
	; wave barrier
	s_and_b32 s11, s11, s10
	s_delay_alu instid0(SALU_CYCLE_1)
	s_and_saveexec_b32 s10, s11
	s_cbranch_execz .LBB144_60
; %bb.59:                               ;   in Loop: Header=BB144_2 Depth=1
	v_bcnt_u32_b32 v0, v0, 0
	ds_store_b32 v25, v0
.LBB144_60:                             ;   in Loop: Header=BB144_2 Depth=1
	s_or_b32 exec_lo, exec_lo, s10
	; wave barrier
	s_waitcnt lgkmcnt(0)
	s_barrier
	buffer_gl0_inv
	ds_load_2addr_b64 v[4:7], v15 offset0:1 offset1:2
	ds_load_2addr_b64 v[0:3], v16 offset0:2 offset1:3
	s_waitcnt lgkmcnt(1)
	v_add_nc_u32_e32 v26, v5, v4
	s_delay_alu instid0(VALU_DEP_1) | instskip(SKIP_1) | instid1(VALU_DEP_1)
	v_add3_u32 v26, v26, v6, v7
	s_waitcnt lgkmcnt(0)
	v_add3_u32 v26, v26, v0, v1
	s_delay_alu instid0(VALU_DEP_1) | instskip(NEXT) | instid1(VALU_DEP_1)
	v_add3_u32 v3, v26, v2, v3
	v_mov_b32_dpp v26, v3 row_shr:1 row_mask:0xf bank_mask:0xf
	s_delay_alu instid0(VALU_DEP_1) | instskip(NEXT) | instid1(VALU_DEP_1)
	v_cndmask_b32_e64 v26, v26, 0, s0
	v_add_nc_u32_e32 v3, v26, v3
	s_delay_alu instid0(VALU_DEP_1) | instskip(NEXT) | instid1(VALU_DEP_1)
	v_mov_b32_dpp v26, v3 row_shr:2 row_mask:0xf bank_mask:0xf
	v_cndmask_b32_e64 v26, 0, v26, s1
	s_delay_alu instid0(VALU_DEP_1) | instskip(NEXT) | instid1(VALU_DEP_1)
	v_add_nc_u32_e32 v3, v3, v26
	v_mov_b32_dpp v26, v3 row_shr:4 row_mask:0xf bank_mask:0xf
	s_delay_alu instid0(VALU_DEP_1) | instskip(NEXT) | instid1(VALU_DEP_1)
	v_cndmask_b32_e64 v26, 0, v26, s2
	v_add_nc_u32_e32 v3, v3, v26
	s_delay_alu instid0(VALU_DEP_1) | instskip(NEXT) | instid1(VALU_DEP_1)
	v_mov_b32_dpp v26, v3 row_shr:8 row_mask:0xf bank_mask:0xf
	v_cndmask_b32_e64 v26, 0, v26, s3
	s_delay_alu instid0(VALU_DEP_1) | instskip(SKIP_3) | instid1(VALU_DEP_1)
	v_add_nc_u32_e32 v3, v3, v26
	ds_swizzle_b32 v26, v3 offset:swizzle(BROADCAST,32,15)
	s_waitcnt lgkmcnt(0)
	v_cndmask_b32_e64 v26, v26, 0, s4
	v_add_nc_u32_e32 v3, v3, v26
	s_and_saveexec_b32 s10, s9
	s_cbranch_execz .LBB144_62
; %bb.61:                               ;   in Loop: Header=BB144_2 Depth=1
	ds_store_b32 v17, v3
.LBB144_62:                             ;   in Loop: Header=BB144_2 Depth=1
	s_or_b32 exec_lo, exec_lo, s10
	s_waitcnt lgkmcnt(0)
	s_barrier
	buffer_gl0_inv
	s_and_saveexec_b32 s10, s5
	s_cbranch_execz .LBB144_64
; %bb.63:                               ;   in Loop: Header=BB144_2 Depth=1
	ds_load_b32 v26, v19
	s_waitcnt lgkmcnt(0)
	v_mov_b32_dpp v27, v26 row_shr:1 row_mask:0xf bank_mask:0xf
	s_delay_alu instid0(VALU_DEP_1) | instskip(NEXT) | instid1(VALU_DEP_1)
	v_cndmask_b32_e64 v27, v27, 0, s8
	v_add_nc_u32_e32 v26, v27, v26
	ds_store_b32 v19, v26
.LBB144_64:                             ;   in Loop: Header=BB144_2 Depth=1
	s_or_b32 exec_lo, exec_lo, s10
	v_mov_b32_e32 v26, 0
	s_waitcnt lgkmcnt(0)
	s_barrier
	buffer_gl0_inv
	s_and_saveexec_b32 s10, s6
	s_cbranch_execz .LBB144_1
; %bb.65:                               ;   in Loop: Header=BB144_2 Depth=1
	ds_load_b32 v26, v20
	s_branch .LBB144_1
.LBB144_66:
	s_waitcnt lgkmcnt(0)
	v_xor_b32_e32 v1, 0x80000000, v14
	v_xor_b32_e32 v0, 0x80000000, v13
	v_lshlrev_b32_e32 v2, 3, v8
	s_add_u32 s0, s18, s14
	s_addc_u32 s1, s19, s15
	global_store_b64 v2, v[0:1], s[0:1]
	s_nop 0
	s_sendmsg sendmsg(MSG_DEALLOC_VGPRS)
	s_endpgm
	.section	.rodata,"a",@progbits
	.p2align	6, 0x0
	.amdhsa_kernel _Z16sort_keys_kernelI22helper_blocked_blockedN15benchmark_utils11custom_typeIiiEELj64ELj1ELj10EEvPKT0_PS4_
		.amdhsa_group_segment_fixed_size 2064
		.amdhsa_private_segment_fixed_size 0
		.amdhsa_kernarg_size 272
		.amdhsa_user_sgpr_count 15
		.amdhsa_user_sgpr_dispatch_ptr 0
		.amdhsa_user_sgpr_queue_ptr 0
		.amdhsa_user_sgpr_kernarg_segment_ptr 1
		.amdhsa_user_sgpr_dispatch_id 0
		.amdhsa_user_sgpr_private_segment_size 0
		.amdhsa_wavefront_size32 1
		.amdhsa_uses_dynamic_stack 0
		.amdhsa_enable_private_segment 0
		.amdhsa_system_sgpr_workgroup_id_x 1
		.amdhsa_system_sgpr_workgroup_id_y 0
		.amdhsa_system_sgpr_workgroup_id_z 0
		.amdhsa_system_sgpr_workgroup_info 0
		.amdhsa_system_vgpr_workitem_id 2
		.amdhsa_next_free_vgpr 28
		.amdhsa_next_free_sgpr 22
		.amdhsa_reserve_vcc 1
		.amdhsa_float_round_mode_32 0
		.amdhsa_float_round_mode_16_64 0
		.amdhsa_float_denorm_mode_32 3
		.amdhsa_float_denorm_mode_16_64 3
		.amdhsa_dx10_clamp 1
		.amdhsa_ieee_mode 1
		.amdhsa_fp16_overflow 0
		.amdhsa_workgroup_processor_mode 1
		.amdhsa_memory_ordered 1
		.amdhsa_forward_progress 0
		.amdhsa_shared_vgpr_count 0
		.amdhsa_exception_fp_ieee_invalid_op 0
		.amdhsa_exception_fp_denorm_src 0
		.amdhsa_exception_fp_ieee_div_zero 0
		.amdhsa_exception_fp_ieee_overflow 0
		.amdhsa_exception_fp_ieee_underflow 0
		.amdhsa_exception_fp_ieee_inexact 0
		.amdhsa_exception_int_div_zero 0
	.end_amdhsa_kernel
	.section	.text._Z16sort_keys_kernelI22helper_blocked_blockedN15benchmark_utils11custom_typeIiiEELj64ELj1ELj10EEvPKT0_PS4_,"axG",@progbits,_Z16sort_keys_kernelI22helper_blocked_blockedN15benchmark_utils11custom_typeIiiEELj64ELj1ELj10EEvPKT0_PS4_,comdat
.Lfunc_end144:
	.size	_Z16sort_keys_kernelI22helper_blocked_blockedN15benchmark_utils11custom_typeIiiEELj64ELj1ELj10EEvPKT0_PS4_, .Lfunc_end144-_Z16sort_keys_kernelI22helper_blocked_blockedN15benchmark_utils11custom_typeIiiEELj64ELj1ELj10EEvPKT0_PS4_
                                        ; -- End function
	.section	.AMDGPU.csdata,"",@progbits
; Kernel info:
; codeLenInByte = 7696
; NumSgprs: 24
; NumVgprs: 28
; ScratchSize: 0
; MemoryBound: 0
; FloatMode: 240
; IeeeMode: 1
; LDSByteSize: 2064 bytes/workgroup (compile time only)
; SGPRBlocks: 2
; VGPRBlocks: 3
; NumSGPRsForWavesPerEU: 24
; NumVGPRsForWavesPerEU: 28
; Occupancy: 16
; WaveLimiterHint : 0
; COMPUTE_PGM_RSRC2:SCRATCH_EN: 0
; COMPUTE_PGM_RSRC2:USER_SGPR: 15
; COMPUTE_PGM_RSRC2:TRAP_HANDLER: 0
; COMPUTE_PGM_RSRC2:TGID_X_EN: 1
; COMPUTE_PGM_RSRC2:TGID_Y_EN: 0
; COMPUTE_PGM_RSRC2:TGID_Z_EN: 0
; COMPUTE_PGM_RSRC2:TIDIG_COMP_CNT: 2
	.section	.text._Z17sort_pairs_kernelI22helper_blocked_blockedN15benchmark_utils11custom_typeIiiEELj64ELj1ELj10EEvPKT0_PS4_,"axG",@progbits,_Z17sort_pairs_kernelI22helper_blocked_blockedN15benchmark_utils11custom_typeIiiEELj64ELj1ELj10EEvPKT0_PS4_,comdat
	.protected	_Z17sort_pairs_kernelI22helper_blocked_blockedN15benchmark_utils11custom_typeIiiEELj64ELj1ELj10EEvPKT0_PS4_ ; -- Begin function _Z17sort_pairs_kernelI22helper_blocked_blockedN15benchmark_utils11custom_typeIiiEELj64ELj1ELj10EEvPKT0_PS4_
	.globl	_Z17sort_pairs_kernelI22helper_blocked_blockedN15benchmark_utils11custom_typeIiiEELj64ELj1ELj10EEvPKT0_PS4_
	.p2align	8
	.type	_Z17sort_pairs_kernelI22helper_blocked_blockedN15benchmark_utils11custom_typeIiiEELj64ELj1ELj10EEvPKT0_PS4_,@function
_Z17sort_pairs_kernelI22helper_blocked_blockedN15benchmark_utils11custom_typeIiiEELj64ELj1ELj10EEvPKT0_PS4_: ; @_Z17sort_pairs_kernelI22helper_blocked_blockedN15benchmark_utils11custom_typeIiiEELj64ELj1ELj10EEvPKT0_PS4_
; %bb.0:
	s_clause 0x1
	s_load_b128 s[16:19], s[0:1], 0x0
	s_load_b32 s9, s[0:1], 0x1c
	s_mov_b32 s21, 0
	s_lshl_b32 s20, s15, 6
	v_mbcnt_lo_u32_b32 v5, -1, 0
	s_lshl_b64 s[14:15], s[20:21], 3
	v_bfe_u32 v3, v0, 10, 10
	s_mov_b32 s20, s21
	s_mov_b32 s13, 10
	v_and_b32_e32 v6, 16, v5
	v_add_nc_u32_e32 v7, -1, v5
	v_dual_mov_b32 v11, s20 :: v_dual_and_b32 v4, 15, v5
	v_dual_mov_b32 v12, s21 :: v_dual_and_b32 v13, 1, v5
	s_delay_alu instid0(VALU_DEP_4) | instskip(NEXT) | instid1(VALU_DEP_4)
	v_cmp_eq_u32_e64 s4, 0, v6
	v_cmp_gt_i32_e64 s7, 0, v7
	s_delay_alu instid0(VALU_DEP_4)
	v_cmp_lt_u32_e64 s2, 3, v4
	v_cmp_lt_u32_e64 s3, 7, v4
	v_cmp_eq_u32_e64 s8, 0, v13
	s_waitcnt lgkmcnt(0)
	s_add_u32 s0, s16, s14
	s_addc_u32 s1, s17, s15
	s_mov_b32 s16, s21
	s_mov_b32 s17, s21
	v_dual_mov_b32 v9, s16 :: v_dual_and_b32 v8, 0x3ff, v0
	v_mov_b32_e32 v10, s17
	v_bfe_u32 v0, v0, 20, 10
	s_lshr_b32 s10, s9, 16
	s_delay_alu instid0(VALU_DEP_3)
	v_lshlrev_b32_e32 v1, 3, v8
	v_lshlrev_b32_e32 v19, 5, v8
	v_and_b32_e32 v6, 32, v8
	v_mad_u32_u24 v0, v0, s10, v3
	v_lshrrev_b32_e32 v14, 3, v8
	global_load_b64 v[1:2], v1, s[0:1]
	s_and_b32 s9, s9, 0xffff
	v_cmp_eq_u32_e64 s0, 0, v4
	v_cmp_lt_u32_e64 s1, 1, v4
	v_mad_u64_u32 v[3:4], null, v0, s9, v[8:9]
	v_cndmask_b32_e64 v7, v7, v5, s7
	v_lshlrev_b32_e32 v17, 2, v8
	v_or_b32_e32 v13, 31, v6
	v_and_b32_e32 v21, 4, v14
	v_or_b32_e32 v0, v5, v6
	v_mad_i32_i24 v23, 0xffffffe4, v8, v19
	v_cmp_eq_u32_e32 vcc_lo, 0, v5
	v_cmp_gt_u32_e64 s5, 2, v8
	v_cmp_lt_u32_e64 s6, 31, v8
	v_cmp_eq_u32_e64 s7, 0, v8
	v_or_b32_e32 v20, 8, v19
	v_lshlrev_b32_e32 v22, 2, v7
	v_cmp_eq_u32_e64 s9, v13, v8
	v_add_nc_u32_e32 v24, -4, v21
	v_lshlrev_b32_e32 v25, 3, v0
	v_lshrrev_b32_e32 v26, 5, v3
	v_add_nc_u32_e32 v27, v23, v17
	s_waitcnt vmcnt(0)
	v_add_nc_u32_e32 v13, 1, v1
	v_add_nc_u32_e32 v14, 1, v2
	v_xor_b32_e32 v15, 0x80000000, v1
	v_xor_b32_e32 v16, 0x80000000, v2
	s_branch .LBB145_2
.LBB145_1:                              ;   in Loop: Header=BB145_2 Depth=1
	s_or_b32 exec_lo, exec_lo, s10
	s_waitcnt lgkmcnt(0)
	v_add_nc_u32_e32 v3, v28, v3
	s_add_i32 s13, s13, -1
	s_delay_alu instid0(SALU_CYCLE_1) | instskip(SKIP_3) | instid1(VALU_DEP_1)
	s_cmp_lg_u32 s13, 0
	ds_bpermute_b32 v3, v22, v3
	s_waitcnt lgkmcnt(0)
	v_cndmask_b32_e32 v3, v3, v28, vcc_lo
	v_cndmask_b32_e64 v3, v3, 0, s7
	s_delay_alu instid0(VALU_DEP_1) | instskip(NEXT) | instid1(VALU_DEP_1)
	v_add_nc_u32_e32 v4, v3, v4
	v_add_nc_u32_e32 v5, v4, v5
	s_delay_alu instid0(VALU_DEP_1) | instskip(NEXT) | instid1(VALU_DEP_1)
	v_add_nc_u32_e32 v6, v5, v6
	v_add_nc_u32_e32 v28, v6, v7
	;; [unrolled: 3-line block ×3, first 2 shown]
	s_delay_alu instid0(VALU_DEP_1)
	v_add_nc_u32_e32 v1, v0, v2
	ds_store_2addr_b64 v19, v[3:4], v[5:6] offset0:1 offset1:2
	ds_store_2addr_b64 v20, v[28:29], v[0:1] offset0:2 offset1:3
	s_waitcnt lgkmcnt(0)
	s_barrier
	buffer_gl0_inv
	ds_load_b32 v0, v16
	v_lshlrev_b32_e32 v1, 3, v15
	s_waitcnt lgkmcnt(0)
	s_barrier
	buffer_gl0_inv
	v_lshl_add_u32 v0, v0, 3, v1
	ds_store_b64 v0, v[13:14]
	s_waitcnt lgkmcnt(0)
	s_barrier
	buffer_gl0_inv
	ds_load_b64 v[15:16], v27
	s_waitcnt lgkmcnt(0)
	s_barrier
	buffer_gl0_inv
	ds_store_b64 v0, v[17:18]
	s_waitcnt lgkmcnt(0)
	s_barrier
	buffer_gl0_inv
	ds_load_b64 v[13:14], v27
	s_cbranch_scc0 .LBB145_66
.LBB145_2:                              ; =>This Inner Loop Header: Depth=1
	s_delay_alu instid0(VALU_DEP_1)
	v_and_b32_e32 v0, 1, v16
	v_lshlrev_b32_e32 v1, 30, v16
	v_lshlrev_b32_e32 v2, 29, v16
	;; [unrolled: 1-line block ×4, first 2 shown]
	v_add_co_u32 v0, s10, v0, -1
	s_delay_alu instid0(VALU_DEP_1)
	v_cndmask_b32_e64 v3, 0, 1, s10
	v_not_b32_e32 v7, v1
	v_cmp_gt_i32_e64 s11, 0, v1
	v_not_b32_e32 v1, v2
	v_lshlrev_b32_e32 v6, 26, v16
	v_cmp_ne_u32_e64 s10, 0, v3
	v_ashrrev_i32_e32 v7, 31, v7
	v_lshlrev_b32_e32 v3, 25, v16
	v_ashrrev_i32_e32 v1, 31, v1
	v_cmp_gt_i32_e64 s12, 0, v5
	v_xor_b32_e32 v0, s10, v0
	v_cmp_gt_i32_e64 s10, 0, v2
	v_not_b32_e32 v2, v4
	v_xor_b32_e32 v7, s11, v7
	v_cmp_gt_i32_e64 s11, 0, v4
	v_and_b32_e32 v0, exec_lo, v0
	v_xor_b32_e32 v1, s10, v1
	v_ashrrev_i32_e32 v2, 31, v2
	v_not_b32_e32 v4, v5
	v_not_b32_e32 v5, v6
	v_and_b32_e32 v0, v0, v7
	v_cmp_gt_i32_e64 s10, 0, v6
	v_xor_b32_e32 v2, s11, v2
	v_not_b32_e32 v6, v3
	ds_store_2addr_b64 v19, v[11:12], v[9:10] offset0:1 offset1:2
	ds_store_2addr_b64 v20, v[11:12], v[9:10] offset0:2 offset1:3
	v_and_b32_e32 v0, v0, v1
	v_ashrrev_i32_e32 v1, 31, v4
	v_ashrrev_i32_e32 v4, 31, v5
	v_lshlrev_b32_e32 v5, 24, v16
	s_waitcnt lgkmcnt(0)
	v_and_b32_e32 v0, v0, v2
	v_xor_b32_e32 v1, s12, v1
	v_xor_b32_e32 v2, s10, v4
	v_cmp_gt_i32_e64 s10, 0, v3
	v_not_b32_e32 v3, v5
	v_ashrrev_i32_e32 v4, 31, v6
	v_and_b32_e32 v0, v0, v1
	v_cmp_gt_i32_e64 s11, 0, v5
	s_barrier
	v_ashrrev_i32_e32 v1, 31, v3
	v_xor_b32_e32 v3, s10, v4
	v_and_b32_e32 v0, v0, v2
	buffer_gl0_inv
	v_xor_b32_e32 v1, s11, v1
	; wave barrier
	v_and_b32_e32 v0, v0, v3
	s_delay_alu instid0(VALU_DEP_1) | instskip(SKIP_1) | instid1(VALU_DEP_2)
	v_and_b32_e32 v0, v0, v1
	v_and_b32_e32 v1, 0xff, v16
	v_mbcnt_lo_u32_b32 v17, v0, 0
	s_delay_alu instid0(VALU_DEP_2) | instskip(SKIP_1) | instid1(VALU_DEP_3)
	v_lshl_add_u32 v1, v1, 1, v26
	v_cmp_ne_u32_e64 s11, 0, v0
	v_cmp_eq_u32_e64 s10, 0, v17
	s_delay_alu instid0(VALU_DEP_3) | instskip(NEXT) | instid1(VALU_DEP_2)
	v_lshl_add_u32 v18, v1, 2, 8
	s_and_b32 s11, s11, s10
	s_delay_alu instid0(SALU_CYCLE_1)
	s_and_saveexec_b32 s10, s11
	s_cbranch_execz .LBB145_4
; %bb.3:                                ;   in Loop: Header=BB145_2 Depth=1
	v_bcnt_u32_b32 v0, v0, 0
	ds_store_b32 v18, v0
.LBB145_4:                              ;   in Loop: Header=BB145_2 Depth=1
	s_or_b32 exec_lo, exec_lo, s10
	; wave barrier
	s_waitcnt lgkmcnt(0)
	s_barrier
	buffer_gl0_inv
	ds_load_2addr_b64 v[4:7], v19 offset0:1 offset1:2
	ds_load_2addr_b64 v[0:3], v20 offset0:2 offset1:3
	s_waitcnt lgkmcnt(1)
	v_add_nc_u32_e32 v28, v5, v4
	s_delay_alu instid0(VALU_DEP_1) | instskip(SKIP_1) | instid1(VALU_DEP_1)
	v_add3_u32 v28, v28, v6, v7
	s_waitcnt lgkmcnt(0)
	v_add3_u32 v28, v28, v0, v1
	s_delay_alu instid0(VALU_DEP_1) | instskip(NEXT) | instid1(VALU_DEP_1)
	v_add3_u32 v3, v28, v2, v3
	v_mov_b32_dpp v28, v3 row_shr:1 row_mask:0xf bank_mask:0xf
	s_delay_alu instid0(VALU_DEP_1) | instskip(NEXT) | instid1(VALU_DEP_1)
	v_cndmask_b32_e64 v28, v28, 0, s0
	v_add_nc_u32_e32 v3, v28, v3
	s_delay_alu instid0(VALU_DEP_1) | instskip(NEXT) | instid1(VALU_DEP_1)
	v_mov_b32_dpp v28, v3 row_shr:2 row_mask:0xf bank_mask:0xf
	v_cndmask_b32_e64 v28, 0, v28, s1
	s_delay_alu instid0(VALU_DEP_1) | instskip(NEXT) | instid1(VALU_DEP_1)
	v_add_nc_u32_e32 v3, v3, v28
	v_mov_b32_dpp v28, v3 row_shr:4 row_mask:0xf bank_mask:0xf
	s_delay_alu instid0(VALU_DEP_1) | instskip(NEXT) | instid1(VALU_DEP_1)
	v_cndmask_b32_e64 v28, 0, v28, s2
	v_add_nc_u32_e32 v3, v3, v28
	s_delay_alu instid0(VALU_DEP_1) | instskip(NEXT) | instid1(VALU_DEP_1)
	v_mov_b32_dpp v28, v3 row_shr:8 row_mask:0xf bank_mask:0xf
	v_cndmask_b32_e64 v28, 0, v28, s3
	s_delay_alu instid0(VALU_DEP_1) | instskip(SKIP_3) | instid1(VALU_DEP_1)
	v_add_nc_u32_e32 v3, v3, v28
	ds_swizzle_b32 v28, v3 offset:swizzle(BROADCAST,32,15)
	s_waitcnt lgkmcnt(0)
	v_cndmask_b32_e64 v28, v28, 0, s4
	v_add_nc_u32_e32 v3, v3, v28
	s_and_saveexec_b32 s10, s9
	s_cbranch_execz .LBB145_6
; %bb.5:                                ;   in Loop: Header=BB145_2 Depth=1
	ds_store_b32 v21, v3
.LBB145_6:                              ;   in Loop: Header=BB145_2 Depth=1
	s_or_b32 exec_lo, exec_lo, s10
	s_waitcnt lgkmcnt(0)
	s_barrier
	buffer_gl0_inv
	s_and_saveexec_b32 s10, s5
	s_cbranch_execz .LBB145_8
; %bb.7:                                ;   in Loop: Header=BB145_2 Depth=1
	ds_load_b32 v28, v23
	s_waitcnt lgkmcnt(0)
	v_mov_b32_dpp v29, v28 row_shr:1 row_mask:0xf bank_mask:0xf
	s_delay_alu instid0(VALU_DEP_1) | instskip(NEXT) | instid1(VALU_DEP_1)
	v_cndmask_b32_e64 v29, v29, 0, s8
	v_add_nc_u32_e32 v28, v29, v28
	ds_store_b32 v23, v28
.LBB145_8:                              ;   in Loop: Header=BB145_2 Depth=1
	s_or_b32 exec_lo, exec_lo, s10
	v_mov_b32_e32 v28, 0
	s_waitcnt lgkmcnt(0)
	s_barrier
	buffer_gl0_inv
	s_and_saveexec_b32 s10, s6
	s_cbranch_execz .LBB145_10
; %bb.9:                                ;   in Loop: Header=BB145_2 Depth=1
	ds_load_b32 v28, v24
.LBB145_10:                             ;   in Loop: Header=BB145_2 Depth=1
	s_or_b32 exec_lo, exec_lo, s10
	s_waitcnt lgkmcnt(0)
	v_add_nc_u32_e32 v3, v28, v3
	ds_bpermute_b32 v3, v22, v3
	s_waitcnt lgkmcnt(0)
	v_cndmask_b32_e32 v3, v3, v28, vcc_lo
	s_delay_alu instid0(VALU_DEP_1) | instskip(NEXT) | instid1(VALU_DEP_1)
	v_cndmask_b32_e64 v3, v3, 0, s7
	v_add_nc_u32_e32 v4, v3, v4
	s_delay_alu instid0(VALU_DEP_1) | instskip(NEXT) | instid1(VALU_DEP_1)
	v_add_nc_u32_e32 v5, v4, v5
	v_add_nc_u32_e32 v6, v5, v6
	s_delay_alu instid0(VALU_DEP_1) | instskip(NEXT) | instid1(VALU_DEP_1)
	v_add_nc_u32_e32 v28, v6, v7
	;; [unrolled: 3-line block ×3, first 2 shown]
	v_add_nc_u32_e32 v1, v0, v2
	ds_store_2addr_b64 v19, v[3:4], v[5:6] offset0:1 offset1:2
	ds_store_2addr_b64 v20, v[28:29], v[0:1] offset0:2 offset1:3
	s_waitcnt lgkmcnt(0)
	s_barrier
	buffer_gl0_inv
	ds_load_b32 v0, v18
	v_lshlrev_b32_e32 v1, 3, v17
	s_waitcnt lgkmcnt(0)
	s_barrier
	buffer_gl0_inv
	v_lshl_add_u32 v0, v0, 3, v1
	ds_store_b64 v0, v[15:16]
	s_waitcnt lgkmcnt(0)
	s_barrier
	buffer_gl0_inv
	ds_load_b64 v[17:18], v25
	s_waitcnt lgkmcnt(0)
	s_barrier
	buffer_gl0_inv
	ds_store_b64 v0, v[13:14]
	s_waitcnt lgkmcnt(0)
	s_barrier
	buffer_gl0_inv
	v_bfe_u32 v1, v18, 8, 1
	v_lshrrev_b32_e32 v2, 8, v18
	s_delay_alu instid0(VALU_DEP_2) | instskip(NEXT) | instid1(VALU_DEP_1)
	v_add_co_u32 v1, s10, v1, -1
	v_cndmask_b32_e64 v3, 0, 1, s10
	s_delay_alu instid0(VALU_DEP_3)
	v_lshlrev_b32_e32 v4, 30, v2
	v_lshlrev_b32_e32 v5, 29, v2
	v_lshlrev_b32_e32 v6, 28, v2
	v_lshlrev_b32_e32 v7, 27, v2
	v_cmp_ne_u32_e64 s10, 0, v3
	v_not_b32_e32 v3, v4
	v_cmp_gt_i32_e64 s11, 0, v4
	v_not_b32_e32 v4, v5
	v_lshlrev_b32_e32 v15, 26, v2
	v_xor_b32_e32 v1, s10, v1
	v_ashrrev_i32_e32 v3, 31, v3
	v_cmp_gt_i32_e64 s10, 0, v5
	v_not_b32_e32 v5, v6
	v_ashrrev_i32_e32 v4, 31, v4
	v_and_b32_e32 v1, exec_lo, v1
	v_xor_b32_e32 v3, s11, v3
	v_cmp_gt_i32_e64 s11, 0, v6
	v_not_b32_e32 v6, v7
	v_ashrrev_i32_e32 v5, 31, v5
	v_xor_b32_e32 v4, s10, v4
	v_and_b32_e32 v1, v1, v3
	v_lshlrev_b32_e32 v16, 25, v2
	v_cmp_gt_i32_e64 s10, 0, v7
	v_not_b32_e32 v3, v15
	v_ashrrev_i32_e32 v6, 31, v6
	v_xor_b32_e32 v5, s11, v5
	v_and_b32_e32 v1, v1, v4
	v_lshlrev_b32_e32 v2, 24, v2
	v_cmp_gt_i32_e64 s11, 0, v15
	v_not_b32_e32 v4, v16
	v_ashrrev_i32_e32 v3, 31, v3
	v_xor_b32_e32 v6, s10, v6
	v_and_b32_e32 v1, v1, v5
	v_cmp_gt_i32_e64 s10, 0, v16
	v_not_b32_e32 v5, v2
	v_ashrrev_i32_e32 v4, 31, v4
	v_xor_b32_e32 v3, s11, v3
	v_and_b32_e32 v1, v1, v6
	v_cmp_gt_i32_e64 s11, 0, v2
	v_ashrrev_i32_e32 v2, 31, v5
	v_xor_b32_e32 v4, s10, v4
	ds_load_b64 v[15:16], v25
	v_and_b32_e32 v1, v1, v3
	s_waitcnt lgkmcnt(0)
	v_xor_b32_e32 v0, s11, v2
	v_lshrrev_b32_e32 v2, 7, v18
	s_barrier
	v_and_b32_e32 v1, v1, v4
	buffer_gl0_inv
	ds_store_2addr_b64 v19, v[11:12], v[9:10] offset0:1 offset1:2
	ds_store_2addr_b64 v20, v[11:12], v[9:10] offset0:2 offset1:3
	s_waitcnt lgkmcnt(0)
	s_barrier
	v_and_b32_e32 v0, v1, v0
	v_and_b32_e32 v1, 0x1fe, v2
	buffer_gl0_inv
	; wave barrier
	v_mbcnt_lo_u32_b32 v13, v0, 0
	v_add_nc_u32_e32 v1, v1, v26
	v_cmp_ne_u32_e64 s11, 0, v0
	s_delay_alu instid0(VALU_DEP_3) | instskip(NEXT) | instid1(VALU_DEP_3)
	v_cmp_eq_u32_e64 s10, 0, v13
	v_lshl_add_u32 v14, v1, 2, 8
	s_delay_alu instid0(VALU_DEP_2) | instskip(NEXT) | instid1(SALU_CYCLE_1)
	s_and_b32 s11, s11, s10
	s_and_saveexec_b32 s10, s11
	s_cbranch_execz .LBB145_12
; %bb.11:                               ;   in Loop: Header=BB145_2 Depth=1
	v_bcnt_u32_b32 v0, v0, 0
	ds_store_b32 v14, v0
.LBB145_12:                             ;   in Loop: Header=BB145_2 Depth=1
	s_or_b32 exec_lo, exec_lo, s10
	; wave barrier
	s_waitcnt lgkmcnt(0)
	s_barrier
	buffer_gl0_inv
	ds_load_2addr_b64 v[4:7], v19 offset0:1 offset1:2
	ds_load_2addr_b64 v[0:3], v20 offset0:2 offset1:3
	s_waitcnt lgkmcnt(1)
	v_add_nc_u32_e32 v28, v5, v4
	s_delay_alu instid0(VALU_DEP_1) | instskip(SKIP_1) | instid1(VALU_DEP_1)
	v_add3_u32 v28, v28, v6, v7
	s_waitcnt lgkmcnt(0)
	v_add3_u32 v28, v28, v0, v1
	s_delay_alu instid0(VALU_DEP_1) | instskip(NEXT) | instid1(VALU_DEP_1)
	v_add3_u32 v3, v28, v2, v3
	v_mov_b32_dpp v28, v3 row_shr:1 row_mask:0xf bank_mask:0xf
	s_delay_alu instid0(VALU_DEP_1) | instskip(NEXT) | instid1(VALU_DEP_1)
	v_cndmask_b32_e64 v28, v28, 0, s0
	v_add_nc_u32_e32 v3, v28, v3
	s_delay_alu instid0(VALU_DEP_1) | instskip(NEXT) | instid1(VALU_DEP_1)
	v_mov_b32_dpp v28, v3 row_shr:2 row_mask:0xf bank_mask:0xf
	v_cndmask_b32_e64 v28, 0, v28, s1
	s_delay_alu instid0(VALU_DEP_1) | instskip(NEXT) | instid1(VALU_DEP_1)
	v_add_nc_u32_e32 v3, v3, v28
	v_mov_b32_dpp v28, v3 row_shr:4 row_mask:0xf bank_mask:0xf
	s_delay_alu instid0(VALU_DEP_1) | instskip(NEXT) | instid1(VALU_DEP_1)
	v_cndmask_b32_e64 v28, 0, v28, s2
	v_add_nc_u32_e32 v3, v3, v28
	s_delay_alu instid0(VALU_DEP_1) | instskip(NEXT) | instid1(VALU_DEP_1)
	v_mov_b32_dpp v28, v3 row_shr:8 row_mask:0xf bank_mask:0xf
	v_cndmask_b32_e64 v28, 0, v28, s3
	s_delay_alu instid0(VALU_DEP_1) | instskip(SKIP_3) | instid1(VALU_DEP_1)
	v_add_nc_u32_e32 v3, v3, v28
	ds_swizzle_b32 v28, v3 offset:swizzle(BROADCAST,32,15)
	s_waitcnt lgkmcnt(0)
	v_cndmask_b32_e64 v28, v28, 0, s4
	v_add_nc_u32_e32 v3, v3, v28
	s_and_saveexec_b32 s10, s9
	s_cbranch_execz .LBB145_14
; %bb.13:                               ;   in Loop: Header=BB145_2 Depth=1
	ds_store_b32 v21, v3
.LBB145_14:                             ;   in Loop: Header=BB145_2 Depth=1
	s_or_b32 exec_lo, exec_lo, s10
	s_waitcnt lgkmcnt(0)
	s_barrier
	buffer_gl0_inv
	s_and_saveexec_b32 s10, s5
	s_cbranch_execz .LBB145_16
; %bb.15:                               ;   in Loop: Header=BB145_2 Depth=1
	ds_load_b32 v28, v23
	s_waitcnt lgkmcnt(0)
	v_mov_b32_dpp v29, v28 row_shr:1 row_mask:0xf bank_mask:0xf
	s_delay_alu instid0(VALU_DEP_1) | instskip(NEXT) | instid1(VALU_DEP_1)
	v_cndmask_b32_e64 v29, v29, 0, s8
	v_add_nc_u32_e32 v28, v29, v28
	ds_store_b32 v23, v28
.LBB145_16:                             ;   in Loop: Header=BB145_2 Depth=1
	s_or_b32 exec_lo, exec_lo, s10
	v_mov_b32_e32 v28, 0
	s_waitcnt lgkmcnt(0)
	s_barrier
	buffer_gl0_inv
	s_and_saveexec_b32 s10, s6
	s_cbranch_execz .LBB145_18
; %bb.17:                               ;   in Loop: Header=BB145_2 Depth=1
	ds_load_b32 v28, v24
.LBB145_18:                             ;   in Loop: Header=BB145_2 Depth=1
	s_or_b32 exec_lo, exec_lo, s10
	s_waitcnt lgkmcnt(0)
	v_add_nc_u32_e32 v3, v28, v3
	ds_bpermute_b32 v3, v22, v3
	s_waitcnt lgkmcnt(0)
	v_cndmask_b32_e32 v3, v3, v28, vcc_lo
	s_delay_alu instid0(VALU_DEP_1) | instskip(NEXT) | instid1(VALU_DEP_1)
	v_cndmask_b32_e64 v3, v3, 0, s7
	v_add_nc_u32_e32 v4, v3, v4
	s_delay_alu instid0(VALU_DEP_1) | instskip(NEXT) | instid1(VALU_DEP_1)
	v_add_nc_u32_e32 v5, v4, v5
	v_add_nc_u32_e32 v6, v5, v6
	s_delay_alu instid0(VALU_DEP_1) | instskip(NEXT) | instid1(VALU_DEP_1)
	v_add_nc_u32_e32 v28, v6, v7
	;; [unrolled: 3-line block ×3, first 2 shown]
	v_add_nc_u32_e32 v1, v0, v2
	ds_store_2addr_b64 v19, v[3:4], v[5:6] offset0:1 offset1:2
	ds_store_2addr_b64 v20, v[28:29], v[0:1] offset0:2 offset1:3
	s_waitcnt lgkmcnt(0)
	s_barrier
	buffer_gl0_inv
	ds_load_b32 v0, v14
	v_lshlrev_b32_e32 v1, 3, v13
	s_waitcnt lgkmcnt(0)
	s_barrier
	buffer_gl0_inv
	v_lshl_add_u32 v0, v0, 3, v1
	v_dual_mov_b32 v1, s20 :: v_dual_mov_b32 v2, s21
	ds_store_b64 v0, v[17:18]
	s_waitcnt lgkmcnt(0)
	s_barrier
	buffer_gl0_inv
	ds_load_b64 v[13:14], v25
	s_waitcnt lgkmcnt(0)
	s_barrier
	buffer_gl0_inv
	ds_store_b64 v0, v[15:16]
	s_waitcnt lgkmcnt(0)
	s_barrier
	buffer_gl0_inv
	ds_load_b64 v[15:16], v25
	s_waitcnt lgkmcnt(0)
	s_barrier
	buffer_gl0_inv
	v_bfe_u32 v3, v14, 16, 1
	v_lshrrev_b32_e32 v4, 16, v14
	s_delay_alu instid0(VALU_DEP_2) | instskip(NEXT) | instid1(VALU_DEP_1)
	v_add_co_u32 v3, s10, v3, -1
	v_cndmask_b32_e64 v5, 0, 1, s10
	s_delay_alu instid0(VALU_DEP_3)
	v_lshlrev_b32_e32 v6, 30, v4
	v_lshlrev_b32_e32 v7, 29, v4
	;; [unrolled: 1-line block ×4, first 2 shown]
	v_cmp_ne_u32_e64 s10, 0, v5
	v_not_b32_e32 v5, v6
	v_cmp_gt_i32_e64 s11, 0, v6
	v_not_b32_e32 v6, v7
	v_lshlrev_b32_e32 v28, 26, v4
	v_xor_b32_e32 v3, s10, v3
	v_ashrrev_i32_e32 v5, 31, v5
	v_cmp_gt_i32_e64 s10, 0, v7
	v_not_b32_e32 v7, v17
	v_ashrrev_i32_e32 v6, 31, v6
	v_and_b32_e32 v3, exec_lo, v3
	v_xor_b32_e32 v5, s11, v5
	v_cmp_gt_i32_e64 s11, 0, v17
	v_not_b32_e32 v17, v18
	v_ashrrev_i32_e32 v7, 31, v7
	v_xor_b32_e32 v6, s10, v6
	v_and_b32_e32 v3, v3, v5
	v_lshlrev_b32_e32 v29, 25, v4
	v_cmp_gt_i32_e64 s10, 0, v18
	v_not_b32_e32 v5, v28
	v_ashrrev_i32_e32 v17, 31, v17
	v_xor_b32_e32 v7, s11, v7
	v_and_b32_e32 v3, v3, v6
	v_lshlrev_b32_e32 v4, 24, v4
	v_cmp_gt_i32_e64 s11, 0, v28
	v_not_b32_e32 v6, v29
	v_ashrrev_i32_e32 v5, 31, v5
	v_xor_b32_e32 v17, s10, v17
	v_and_b32_e32 v3, v3, v7
	v_cmp_gt_i32_e64 s10, 0, v29
	v_not_b32_e32 v7, v4
	v_ashrrev_i32_e32 v6, 31, v6
	v_xor_b32_e32 v5, s11, v5
	v_and_b32_e32 v3, v3, v17
	v_cmp_gt_i32_e64 s11, 0, v4
	v_ashrrev_i32_e32 v4, 31, v7
	v_xor_b32_e32 v6, s10, v6
	s_delay_alu instid0(VALU_DEP_4) | instskip(NEXT) | instid1(VALU_DEP_3)
	v_and_b32_e32 v3, v3, v5
	v_xor_b32_e32 v0, s11, v4
	s_delay_alu instid0(VALU_DEP_2)
	v_and_b32_e32 v5, v3, v6
	v_mov_b32_e32 v3, s16
	v_lshrrev_b32_e32 v6, 15, v14
	v_mov_b32_e32 v4, s17
	ds_store_2addr_b64 v19, v[1:2], v[3:4] offset0:1 offset1:2
	ds_store_2addr_b64 v20, v[1:2], v[3:4] offset0:2 offset1:3
	v_and_b32_e32 v0, v5, v0
	v_and_b32_e32 v5, 0x1fe, v6
	s_waitcnt lgkmcnt(0)
	s_barrier
	buffer_gl0_inv
	v_mbcnt_lo_u32_b32 v17, v0, 0
	v_add_nc_u32_e32 v1, v5, v26
	v_cmp_ne_u32_e64 s11, 0, v0
	; wave barrier
	s_delay_alu instid0(VALU_DEP_3) | instskip(NEXT) | instid1(VALU_DEP_3)
	v_cmp_eq_u32_e64 s10, 0, v17
	v_lshl_add_u32 v18, v1, 2, 8
	s_delay_alu instid0(VALU_DEP_2) | instskip(NEXT) | instid1(SALU_CYCLE_1)
	s_and_b32 s11, s11, s10
	s_and_saveexec_b32 s10, s11
	s_cbranch_execz .LBB145_20
; %bb.19:                               ;   in Loop: Header=BB145_2 Depth=1
	v_bcnt_u32_b32 v0, v0, 0
	ds_store_b32 v18, v0
.LBB145_20:                             ;   in Loop: Header=BB145_2 Depth=1
	s_or_b32 exec_lo, exec_lo, s10
	; wave barrier
	s_waitcnt lgkmcnt(0)
	s_barrier
	buffer_gl0_inv
	ds_load_2addr_b64 v[4:7], v19 offset0:1 offset1:2
	ds_load_2addr_b64 v[0:3], v20 offset0:2 offset1:3
	s_waitcnt lgkmcnt(1)
	v_add_nc_u32_e32 v28, v5, v4
	s_delay_alu instid0(VALU_DEP_1) | instskip(SKIP_1) | instid1(VALU_DEP_1)
	v_add3_u32 v28, v28, v6, v7
	s_waitcnt lgkmcnt(0)
	v_add3_u32 v28, v28, v0, v1
	s_delay_alu instid0(VALU_DEP_1) | instskip(NEXT) | instid1(VALU_DEP_1)
	v_add3_u32 v3, v28, v2, v3
	v_mov_b32_dpp v28, v3 row_shr:1 row_mask:0xf bank_mask:0xf
	s_delay_alu instid0(VALU_DEP_1) | instskip(NEXT) | instid1(VALU_DEP_1)
	v_cndmask_b32_e64 v28, v28, 0, s0
	v_add_nc_u32_e32 v3, v28, v3
	s_delay_alu instid0(VALU_DEP_1) | instskip(NEXT) | instid1(VALU_DEP_1)
	v_mov_b32_dpp v28, v3 row_shr:2 row_mask:0xf bank_mask:0xf
	v_cndmask_b32_e64 v28, 0, v28, s1
	s_delay_alu instid0(VALU_DEP_1) | instskip(NEXT) | instid1(VALU_DEP_1)
	v_add_nc_u32_e32 v3, v3, v28
	v_mov_b32_dpp v28, v3 row_shr:4 row_mask:0xf bank_mask:0xf
	s_delay_alu instid0(VALU_DEP_1) | instskip(NEXT) | instid1(VALU_DEP_1)
	v_cndmask_b32_e64 v28, 0, v28, s2
	v_add_nc_u32_e32 v3, v3, v28
	s_delay_alu instid0(VALU_DEP_1) | instskip(NEXT) | instid1(VALU_DEP_1)
	v_mov_b32_dpp v28, v3 row_shr:8 row_mask:0xf bank_mask:0xf
	v_cndmask_b32_e64 v28, 0, v28, s3
	s_delay_alu instid0(VALU_DEP_1) | instskip(SKIP_3) | instid1(VALU_DEP_1)
	v_add_nc_u32_e32 v3, v3, v28
	ds_swizzle_b32 v28, v3 offset:swizzle(BROADCAST,32,15)
	s_waitcnt lgkmcnt(0)
	v_cndmask_b32_e64 v28, v28, 0, s4
	v_add_nc_u32_e32 v3, v3, v28
	s_and_saveexec_b32 s10, s9
	s_cbranch_execz .LBB145_22
; %bb.21:                               ;   in Loop: Header=BB145_2 Depth=1
	ds_store_b32 v21, v3
.LBB145_22:                             ;   in Loop: Header=BB145_2 Depth=1
	s_or_b32 exec_lo, exec_lo, s10
	s_waitcnt lgkmcnt(0)
	s_barrier
	buffer_gl0_inv
	s_and_saveexec_b32 s10, s5
	s_cbranch_execz .LBB145_24
; %bb.23:                               ;   in Loop: Header=BB145_2 Depth=1
	ds_load_b32 v28, v23
	s_waitcnt lgkmcnt(0)
	v_mov_b32_dpp v29, v28 row_shr:1 row_mask:0xf bank_mask:0xf
	s_delay_alu instid0(VALU_DEP_1) | instskip(NEXT) | instid1(VALU_DEP_1)
	v_cndmask_b32_e64 v29, v29, 0, s8
	v_add_nc_u32_e32 v28, v29, v28
	ds_store_b32 v23, v28
.LBB145_24:                             ;   in Loop: Header=BB145_2 Depth=1
	s_or_b32 exec_lo, exec_lo, s10
	v_mov_b32_e32 v28, 0
	s_waitcnt lgkmcnt(0)
	s_barrier
	buffer_gl0_inv
	s_and_saveexec_b32 s10, s6
	s_cbranch_execz .LBB145_26
; %bb.25:                               ;   in Loop: Header=BB145_2 Depth=1
	ds_load_b32 v28, v24
.LBB145_26:                             ;   in Loop: Header=BB145_2 Depth=1
	s_or_b32 exec_lo, exec_lo, s10
	s_waitcnt lgkmcnt(0)
	v_add_nc_u32_e32 v3, v28, v3
	ds_bpermute_b32 v3, v22, v3
	s_waitcnt lgkmcnt(0)
	v_cndmask_b32_e32 v3, v3, v28, vcc_lo
	s_delay_alu instid0(VALU_DEP_1) | instskip(NEXT) | instid1(VALU_DEP_1)
	v_cndmask_b32_e64 v3, v3, 0, s7
	v_add_nc_u32_e32 v4, v3, v4
	s_delay_alu instid0(VALU_DEP_1) | instskip(NEXT) | instid1(VALU_DEP_1)
	v_add_nc_u32_e32 v5, v4, v5
	v_add_nc_u32_e32 v6, v5, v6
	s_delay_alu instid0(VALU_DEP_1) | instskip(NEXT) | instid1(VALU_DEP_1)
	v_add_nc_u32_e32 v28, v6, v7
	;; [unrolled: 3-line block ×3, first 2 shown]
	v_add_nc_u32_e32 v1, v0, v2
	ds_store_2addr_b64 v19, v[3:4], v[5:6] offset0:1 offset1:2
	ds_store_2addr_b64 v20, v[28:29], v[0:1] offset0:2 offset1:3
	s_waitcnt lgkmcnt(0)
	s_barrier
	buffer_gl0_inv
	ds_load_b32 v0, v18
	v_lshlrev_b32_e32 v1, 3, v17
	s_waitcnt lgkmcnt(0)
	s_barrier
	buffer_gl0_inv
	v_lshl_add_u32 v0, v0, 3, v1
	ds_store_b64 v0, v[13:14]
	s_waitcnt lgkmcnt(0)
	s_barrier
	buffer_gl0_inv
	ds_load_b64 v[13:14], v25
	s_waitcnt lgkmcnt(0)
	s_barrier
	buffer_gl0_inv
	ds_store_b64 v0, v[15:16]
	s_waitcnt lgkmcnt(0)
	s_barrier
	buffer_gl0_inv
	ds_load_b64 v[15:16], v25
	s_waitcnt lgkmcnt(0)
	s_barrier
	buffer_gl0_inv
	v_bfe_u32 v1, v14, 24, 1
	v_lshrrev_b32_e32 v5, 24, v14
	s_delay_alu instid0(VALU_DEP_2) | instskip(NEXT) | instid1(VALU_DEP_1)
	v_add_co_u32 v1, s10, v1, -1
	v_cndmask_b32_e64 v2, 0, 1, s10
	s_delay_alu instid0(VALU_DEP_3)
	v_lshlrev_b32_e32 v3, 30, v5
	v_lshlrev_b32_e32 v4, 29, v5
	;; [unrolled: 1-line block ×4, first 2 shown]
	v_cmp_ne_u32_e64 s10, 0, v2
	v_not_b32_e32 v2, v3
	v_cmp_gt_i32_e64 s11, 0, v3
	v_not_b32_e32 v3, v4
	v_lshlrev_b32_e32 v17, 26, v5
	v_xor_b32_e32 v1, s10, v1
	v_ashrrev_i32_e32 v2, 31, v2
	v_cmp_gt_i32_e64 s10, 0, v4
	v_not_b32_e32 v4, v6
	v_ashrrev_i32_e32 v3, 31, v3
	v_and_b32_e32 v1, exec_lo, v1
	v_xor_b32_e32 v2, s11, v2
	v_cmp_gt_i32_e64 s11, 0, v6
	v_not_b32_e32 v6, v7
	v_ashrrev_i32_e32 v4, 31, v4
	v_xor_b32_e32 v3, s10, v3
	v_and_b32_e32 v1, v1, v2
	v_lshlrev_b32_e32 v18, 25, v5
	v_cmp_gt_i32_e64 s10, 0, v7
	v_not_b32_e32 v2, v17
	v_ashrrev_i32_e32 v6, 31, v6
	v_xor_b32_e32 v4, s11, v4
	v_and_b32_e32 v1, v1, v3
	v_cmp_gt_i32_e64 s11, 0, v17
	v_not_b32_e32 v3, v18
	v_ashrrev_i32_e32 v2, 31, v2
	v_xor_b32_e32 v6, s10, v6
	v_and_b32_e32 v1, v1, v4
	v_not_b32_e32 v4, v14
	v_cmp_gt_i32_e64 s10, 0, v18
	v_ashrrev_i32_e32 v3, 31, v3
	v_xor_b32_e32 v2, s11, v2
	v_and_b32_e32 v1, v1, v6
	v_cmp_gt_i32_e64 s11, 0, v14
	v_ashrrev_i32_e32 v4, 31, v4
	v_xor_b32_e32 v3, s10, v3
	s_delay_alu instid0(VALU_DEP_4) | instskip(NEXT) | instid1(VALU_DEP_3)
	v_and_b32_e32 v1, v1, v2
	v_xor_b32_e32 v0, s11, v4
	s_delay_alu instid0(VALU_DEP_2) | instskip(SKIP_1) | instid1(VALU_DEP_2)
	v_and_b32_e32 v3, v1, v3
	v_dual_mov_b32 v1, s20 :: v_dual_mov_b32 v2, s21
	v_dual_mov_b32 v3, s16 :: v_dual_and_b32 v0, v3, v0
	v_mov_b32_e32 v4, s17
	ds_store_2addr_b64 v19, v[1:2], v[3:4] offset0:1 offset1:2
	ds_store_2addr_b64 v20, v[1:2], v[3:4] offset0:2 offset1:3
	v_mbcnt_lo_u32_b32 v17, v0, 0
	v_lshl_add_u32 v1, v5, 1, v26
	v_cmp_ne_u32_e64 s11, 0, v0
	s_waitcnt lgkmcnt(0)
	s_barrier
	v_cmp_eq_u32_e64 s10, 0, v17
	v_lshl_add_u32 v18, v1, 2, 8
	buffer_gl0_inv
	; wave barrier
	s_and_b32 s11, s11, s10
	s_delay_alu instid0(SALU_CYCLE_1)
	s_and_saveexec_b32 s10, s11
	s_cbranch_execz .LBB145_28
; %bb.27:                               ;   in Loop: Header=BB145_2 Depth=1
	v_bcnt_u32_b32 v0, v0, 0
	ds_store_b32 v18, v0
.LBB145_28:                             ;   in Loop: Header=BB145_2 Depth=1
	s_or_b32 exec_lo, exec_lo, s10
	; wave barrier
	s_waitcnt lgkmcnt(0)
	s_barrier
	buffer_gl0_inv
	ds_load_2addr_b64 v[4:7], v19 offset0:1 offset1:2
	ds_load_2addr_b64 v[0:3], v20 offset0:2 offset1:3
	s_waitcnt lgkmcnt(1)
	v_add_nc_u32_e32 v28, v5, v4
	s_delay_alu instid0(VALU_DEP_1) | instskip(SKIP_1) | instid1(VALU_DEP_1)
	v_add3_u32 v28, v28, v6, v7
	s_waitcnt lgkmcnt(0)
	v_add3_u32 v28, v28, v0, v1
	s_delay_alu instid0(VALU_DEP_1) | instskip(NEXT) | instid1(VALU_DEP_1)
	v_add3_u32 v3, v28, v2, v3
	v_mov_b32_dpp v28, v3 row_shr:1 row_mask:0xf bank_mask:0xf
	s_delay_alu instid0(VALU_DEP_1) | instskip(NEXT) | instid1(VALU_DEP_1)
	v_cndmask_b32_e64 v28, v28, 0, s0
	v_add_nc_u32_e32 v3, v28, v3
	s_delay_alu instid0(VALU_DEP_1) | instskip(NEXT) | instid1(VALU_DEP_1)
	v_mov_b32_dpp v28, v3 row_shr:2 row_mask:0xf bank_mask:0xf
	v_cndmask_b32_e64 v28, 0, v28, s1
	s_delay_alu instid0(VALU_DEP_1) | instskip(NEXT) | instid1(VALU_DEP_1)
	v_add_nc_u32_e32 v3, v3, v28
	v_mov_b32_dpp v28, v3 row_shr:4 row_mask:0xf bank_mask:0xf
	s_delay_alu instid0(VALU_DEP_1) | instskip(NEXT) | instid1(VALU_DEP_1)
	v_cndmask_b32_e64 v28, 0, v28, s2
	v_add_nc_u32_e32 v3, v3, v28
	s_delay_alu instid0(VALU_DEP_1) | instskip(NEXT) | instid1(VALU_DEP_1)
	v_mov_b32_dpp v28, v3 row_shr:8 row_mask:0xf bank_mask:0xf
	v_cndmask_b32_e64 v28, 0, v28, s3
	s_delay_alu instid0(VALU_DEP_1) | instskip(SKIP_3) | instid1(VALU_DEP_1)
	v_add_nc_u32_e32 v3, v3, v28
	ds_swizzle_b32 v28, v3 offset:swizzle(BROADCAST,32,15)
	s_waitcnt lgkmcnt(0)
	v_cndmask_b32_e64 v28, v28, 0, s4
	v_add_nc_u32_e32 v3, v3, v28
	s_and_saveexec_b32 s10, s9
	s_cbranch_execz .LBB145_30
; %bb.29:                               ;   in Loop: Header=BB145_2 Depth=1
	ds_store_b32 v21, v3
.LBB145_30:                             ;   in Loop: Header=BB145_2 Depth=1
	s_or_b32 exec_lo, exec_lo, s10
	s_waitcnt lgkmcnt(0)
	s_barrier
	buffer_gl0_inv
	s_and_saveexec_b32 s10, s5
	s_cbranch_execz .LBB145_32
; %bb.31:                               ;   in Loop: Header=BB145_2 Depth=1
	ds_load_b32 v28, v23
	s_waitcnt lgkmcnt(0)
	v_mov_b32_dpp v29, v28 row_shr:1 row_mask:0xf bank_mask:0xf
	s_delay_alu instid0(VALU_DEP_1) | instskip(NEXT) | instid1(VALU_DEP_1)
	v_cndmask_b32_e64 v29, v29, 0, s8
	v_add_nc_u32_e32 v28, v29, v28
	ds_store_b32 v23, v28
.LBB145_32:                             ;   in Loop: Header=BB145_2 Depth=1
	s_or_b32 exec_lo, exec_lo, s10
	v_mov_b32_e32 v28, 0
	s_waitcnt lgkmcnt(0)
	s_barrier
	buffer_gl0_inv
	s_and_saveexec_b32 s10, s6
	s_cbranch_execz .LBB145_34
; %bb.33:                               ;   in Loop: Header=BB145_2 Depth=1
	ds_load_b32 v28, v24
.LBB145_34:                             ;   in Loop: Header=BB145_2 Depth=1
	s_or_b32 exec_lo, exec_lo, s10
	s_waitcnt lgkmcnt(0)
	v_add_nc_u32_e32 v3, v28, v3
	ds_bpermute_b32 v3, v22, v3
	s_waitcnt lgkmcnt(0)
	v_cndmask_b32_e32 v3, v3, v28, vcc_lo
	s_delay_alu instid0(VALU_DEP_1) | instskip(NEXT) | instid1(VALU_DEP_1)
	v_cndmask_b32_e64 v3, v3, 0, s7
	v_add_nc_u32_e32 v4, v3, v4
	s_delay_alu instid0(VALU_DEP_1) | instskip(NEXT) | instid1(VALU_DEP_1)
	v_add_nc_u32_e32 v5, v4, v5
	v_add_nc_u32_e32 v6, v5, v6
	s_delay_alu instid0(VALU_DEP_1) | instskip(NEXT) | instid1(VALU_DEP_1)
	v_add_nc_u32_e32 v28, v6, v7
	;; [unrolled: 3-line block ×3, first 2 shown]
	v_add_nc_u32_e32 v1, v0, v2
	ds_store_2addr_b64 v19, v[3:4], v[5:6] offset0:1 offset1:2
	ds_store_2addr_b64 v20, v[28:29], v[0:1] offset0:2 offset1:3
	s_waitcnt lgkmcnt(0)
	s_barrier
	buffer_gl0_inv
	ds_load_b32 v0, v18
	v_lshlrev_b32_e32 v1, 3, v17
	s_waitcnt lgkmcnt(0)
	s_barrier
	buffer_gl0_inv
	v_lshl_add_u32 v0, v0, 3, v1
	v_dual_mov_b32 v1, s20 :: v_dual_mov_b32 v2, s21
	ds_store_b64 v0, v[13:14]
	s_waitcnt lgkmcnt(0)
	s_barrier
	buffer_gl0_inv
	ds_load_b64 v[13:14], v25
	s_waitcnt lgkmcnt(0)
	s_barrier
	buffer_gl0_inv
	ds_store_b64 v0, v[15:16]
	s_waitcnt lgkmcnt(0)
	s_barrier
	buffer_gl0_inv
	ds_load_b64 v[15:16], v25
	s_waitcnt lgkmcnt(0)
	s_barrier
	buffer_gl0_inv
	v_and_b32_e32 v3, 1, v13
	v_lshlrev_b32_e32 v4, 30, v13
	v_lshlrev_b32_e32 v5, 29, v13
	;; [unrolled: 1-line block ×4, first 2 shown]
	v_add_co_u32 v3, s10, v3, -1
	s_delay_alu instid0(VALU_DEP_1)
	v_cndmask_b32_e64 v7, 0, 1, s10
	v_not_b32_e32 v29, v4
	v_cmp_gt_i32_e64 s11, 0, v4
	v_not_b32_e32 v4, v5
	v_lshlrev_b32_e32 v18, 26, v13
	v_cmp_ne_u32_e64 s10, 0, v7
	v_ashrrev_i32_e32 v29, 31, v29
	v_lshlrev_b32_e32 v28, 25, v13
	v_ashrrev_i32_e32 v4, 31, v4
	v_lshlrev_b32_e32 v7, 24, v13
	v_xor_b32_e32 v3, s10, v3
	v_cmp_gt_i32_e64 s10, 0, v5
	v_not_b32_e32 v5, v6
	v_xor_b32_e32 v29, s11, v29
	v_cmp_gt_i32_e64 s11, 0, v6
	v_and_b32_e32 v3, exec_lo, v3
	v_not_b32_e32 v6, v17
	v_ashrrev_i32_e32 v5, 31, v5
	v_xor_b32_e32 v4, s10, v4
	v_cmp_gt_i32_e64 s10, 0, v17
	v_and_b32_e32 v3, v3, v29
	v_not_b32_e32 v17, v18
	v_ashrrev_i32_e32 v6, 31, v6
	v_xor_b32_e32 v5, s11, v5
	v_cmp_gt_i32_e64 s11, 0, v18
	v_and_b32_e32 v3, v3, v4
	;; [unrolled: 5-line block ×4, first 2 shown]
	v_ashrrev_i32_e32 v5, 31, v5
	v_xor_b32_e32 v4, s10, v4
	s_delay_alu instid0(VALU_DEP_3) | instskip(NEXT) | instid1(VALU_DEP_3)
	v_and_b32_e32 v3, v3, v17
	v_xor_b32_e32 v0, s11, v5
	s_delay_alu instid0(VALU_DEP_2)
	v_and_b32_e32 v5, v3, v4
	v_dual_mov_b32 v3, s16 :: v_dual_mov_b32 v4, s17
	ds_store_2addr_b64 v19, v[1:2], v[3:4] offset0:1 offset1:2
	ds_store_2addr_b64 v20, v[1:2], v[3:4] offset0:2 offset1:3
	v_and_b32_e32 v0, v5, v0
	v_and_b32_e32 v5, 0xff, v13
	s_waitcnt lgkmcnt(0)
	s_barrier
	buffer_gl0_inv
	v_mbcnt_lo_u32_b32 v17, v0, 0
	v_lshl_add_u32 v1, v5, 1, v26
	v_cmp_ne_u32_e64 s11, 0, v0
	; wave barrier
	s_delay_alu instid0(VALU_DEP_3) | instskip(NEXT) | instid1(VALU_DEP_3)
	v_cmp_eq_u32_e64 s10, 0, v17
	v_lshl_add_u32 v18, v1, 2, 8
	s_delay_alu instid0(VALU_DEP_2) | instskip(NEXT) | instid1(SALU_CYCLE_1)
	s_and_b32 s11, s11, s10
	s_and_saveexec_b32 s10, s11
	s_cbranch_execz .LBB145_36
; %bb.35:                               ;   in Loop: Header=BB145_2 Depth=1
	v_bcnt_u32_b32 v0, v0, 0
	ds_store_b32 v18, v0
.LBB145_36:                             ;   in Loop: Header=BB145_2 Depth=1
	s_or_b32 exec_lo, exec_lo, s10
	; wave barrier
	s_waitcnt lgkmcnt(0)
	s_barrier
	buffer_gl0_inv
	ds_load_2addr_b64 v[4:7], v19 offset0:1 offset1:2
	ds_load_2addr_b64 v[0:3], v20 offset0:2 offset1:3
	s_waitcnt lgkmcnt(1)
	v_add_nc_u32_e32 v28, v5, v4
	s_delay_alu instid0(VALU_DEP_1) | instskip(SKIP_1) | instid1(VALU_DEP_1)
	v_add3_u32 v28, v28, v6, v7
	s_waitcnt lgkmcnt(0)
	v_add3_u32 v28, v28, v0, v1
	s_delay_alu instid0(VALU_DEP_1) | instskip(NEXT) | instid1(VALU_DEP_1)
	v_add3_u32 v3, v28, v2, v3
	v_mov_b32_dpp v28, v3 row_shr:1 row_mask:0xf bank_mask:0xf
	s_delay_alu instid0(VALU_DEP_1) | instskip(NEXT) | instid1(VALU_DEP_1)
	v_cndmask_b32_e64 v28, v28, 0, s0
	v_add_nc_u32_e32 v3, v28, v3
	s_delay_alu instid0(VALU_DEP_1) | instskip(NEXT) | instid1(VALU_DEP_1)
	v_mov_b32_dpp v28, v3 row_shr:2 row_mask:0xf bank_mask:0xf
	v_cndmask_b32_e64 v28, 0, v28, s1
	s_delay_alu instid0(VALU_DEP_1) | instskip(NEXT) | instid1(VALU_DEP_1)
	v_add_nc_u32_e32 v3, v3, v28
	v_mov_b32_dpp v28, v3 row_shr:4 row_mask:0xf bank_mask:0xf
	s_delay_alu instid0(VALU_DEP_1) | instskip(NEXT) | instid1(VALU_DEP_1)
	v_cndmask_b32_e64 v28, 0, v28, s2
	v_add_nc_u32_e32 v3, v3, v28
	s_delay_alu instid0(VALU_DEP_1) | instskip(NEXT) | instid1(VALU_DEP_1)
	v_mov_b32_dpp v28, v3 row_shr:8 row_mask:0xf bank_mask:0xf
	v_cndmask_b32_e64 v28, 0, v28, s3
	s_delay_alu instid0(VALU_DEP_1) | instskip(SKIP_3) | instid1(VALU_DEP_1)
	v_add_nc_u32_e32 v3, v3, v28
	ds_swizzle_b32 v28, v3 offset:swizzle(BROADCAST,32,15)
	s_waitcnt lgkmcnt(0)
	v_cndmask_b32_e64 v28, v28, 0, s4
	v_add_nc_u32_e32 v3, v3, v28
	s_and_saveexec_b32 s10, s9
	s_cbranch_execz .LBB145_38
; %bb.37:                               ;   in Loop: Header=BB145_2 Depth=1
	ds_store_b32 v21, v3
.LBB145_38:                             ;   in Loop: Header=BB145_2 Depth=1
	s_or_b32 exec_lo, exec_lo, s10
	s_waitcnt lgkmcnt(0)
	s_barrier
	buffer_gl0_inv
	s_and_saveexec_b32 s10, s5
	s_cbranch_execz .LBB145_40
; %bb.39:                               ;   in Loop: Header=BB145_2 Depth=1
	ds_load_b32 v28, v23
	s_waitcnt lgkmcnt(0)
	v_mov_b32_dpp v29, v28 row_shr:1 row_mask:0xf bank_mask:0xf
	s_delay_alu instid0(VALU_DEP_1) | instskip(NEXT) | instid1(VALU_DEP_1)
	v_cndmask_b32_e64 v29, v29, 0, s8
	v_add_nc_u32_e32 v28, v29, v28
	ds_store_b32 v23, v28
.LBB145_40:                             ;   in Loop: Header=BB145_2 Depth=1
	s_or_b32 exec_lo, exec_lo, s10
	v_mov_b32_e32 v28, 0
	s_waitcnt lgkmcnt(0)
	s_barrier
	buffer_gl0_inv
	s_and_saveexec_b32 s10, s6
	s_cbranch_execz .LBB145_42
; %bb.41:                               ;   in Loop: Header=BB145_2 Depth=1
	ds_load_b32 v28, v24
.LBB145_42:                             ;   in Loop: Header=BB145_2 Depth=1
	s_or_b32 exec_lo, exec_lo, s10
	s_waitcnt lgkmcnt(0)
	v_add_nc_u32_e32 v3, v28, v3
	ds_bpermute_b32 v3, v22, v3
	s_waitcnt lgkmcnt(0)
	v_cndmask_b32_e32 v3, v3, v28, vcc_lo
	s_delay_alu instid0(VALU_DEP_1) | instskip(NEXT) | instid1(VALU_DEP_1)
	v_cndmask_b32_e64 v3, v3, 0, s7
	v_add_nc_u32_e32 v4, v3, v4
	s_delay_alu instid0(VALU_DEP_1) | instskip(NEXT) | instid1(VALU_DEP_1)
	v_add_nc_u32_e32 v5, v4, v5
	v_add_nc_u32_e32 v6, v5, v6
	s_delay_alu instid0(VALU_DEP_1) | instskip(NEXT) | instid1(VALU_DEP_1)
	v_add_nc_u32_e32 v28, v6, v7
	;; [unrolled: 3-line block ×3, first 2 shown]
	v_add_nc_u32_e32 v1, v0, v2
	ds_store_2addr_b64 v19, v[3:4], v[5:6] offset0:1 offset1:2
	ds_store_2addr_b64 v20, v[28:29], v[0:1] offset0:2 offset1:3
	s_waitcnt lgkmcnt(0)
	s_barrier
	buffer_gl0_inv
	ds_load_b32 v0, v18
	v_lshlrev_b32_e32 v1, 3, v17
	s_waitcnt lgkmcnt(0)
	s_barrier
	buffer_gl0_inv
	v_lshl_add_u32 v0, v0, 3, v1
	v_dual_mov_b32 v1, s20 :: v_dual_mov_b32 v2, s21
	ds_store_b64 v0, v[13:14]
	s_waitcnt lgkmcnt(0)
	s_barrier
	buffer_gl0_inv
	ds_load_b64 v[13:14], v25
	s_waitcnt lgkmcnt(0)
	s_barrier
	buffer_gl0_inv
	ds_store_b64 v0, v[15:16]
	s_waitcnt lgkmcnt(0)
	s_barrier
	buffer_gl0_inv
	ds_load_b64 v[15:16], v25
	s_waitcnt lgkmcnt(0)
	s_barrier
	buffer_gl0_inv
	v_bfe_u32 v3, v13, 8, 1
	v_lshrrev_b32_e32 v4, 8, v13
	s_delay_alu instid0(VALU_DEP_2) | instskip(NEXT) | instid1(VALU_DEP_1)
	v_add_co_u32 v3, s10, v3, -1
	v_cndmask_b32_e64 v5, 0, 1, s10
	s_delay_alu instid0(VALU_DEP_3)
	v_lshlrev_b32_e32 v6, 30, v4
	v_lshlrev_b32_e32 v7, 29, v4
	;; [unrolled: 1-line block ×4, first 2 shown]
	v_cmp_ne_u32_e64 s10, 0, v5
	v_not_b32_e32 v5, v6
	v_cmp_gt_i32_e64 s11, 0, v6
	v_not_b32_e32 v6, v7
	v_lshlrev_b32_e32 v28, 26, v4
	v_xor_b32_e32 v3, s10, v3
	v_ashrrev_i32_e32 v5, 31, v5
	v_cmp_gt_i32_e64 s10, 0, v7
	v_not_b32_e32 v7, v17
	v_ashrrev_i32_e32 v6, 31, v6
	v_and_b32_e32 v3, exec_lo, v3
	v_xor_b32_e32 v5, s11, v5
	v_cmp_gt_i32_e64 s11, 0, v17
	v_not_b32_e32 v17, v18
	v_ashrrev_i32_e32 v7, 31, v7
	v_xor_b32_e32 v6, s10, v6
	v_and_b32_e32 v3, v3, v5
	v_lshlrev_b32_e32 v29, 25, v4
	v_cmp_gt_i32_e64 s10, 0, v18
	v_not_b32_e32 v5, v28
	v_ashrrev_i32_e32 v17, 31, v17
	v_xor_b32_e32 v7, s11, v7
	v_and_b32_e32 v3, v3, v6
	v_lshlrev_b32_e32 v4, 24, v4
	v_cmp_gt_i32_e64 s11, 0, v28
	v_not_b32_e32 v6, v29
	v_ashrrev_i32_e32 v5, 31, v5
	v_xor_b32_e32 v17, s10, v17
	v_and_b32_e32 v3, v3, v7
	v_cmp_gt_i32_e64 s10, 0, v29
	v_not_b32_e32 v7, v4
	v_ashrrev_i32_e32 v6, 31, v6
	v_xor_b32_e32 v5, s11, v5
	v_and_b32_e32 v3, v3, v17
	v_cmp_gt_i32_e64 s11, 0, v4
	v_ashrrev_i32_e32 v4, 31, v7
	v_xor_b32_e32 v6, s10, v6
	s_delay_alu instid0(VALU_DEP_4) | instskip(NEXT) | instid1(VALU_DEP_3)
	v_and_b32_e32 v3, v3, v5
	v_xor_b32_e32 v0, s11, v4
	s_delay_alu instid0(VALU_DEP_2)
	v_and_b32_e32 v5, v3, v6
	v_mov_b32_e32 v3, s16
	v_lshrrev_b32_e32 v6, 7, v13
	v_mov_b32_e32 v4, s17
	ds_store_2addr_b64 v19, v[1:2], v[3:4] offset0:1 offset1:2
	ds_store_2addr_b64 v20, v[1:2], v[3:4] offset0:2 offset1:3
	v_and_b32_e32 v0, v5, v0
	v_and_b32_e32 v5, 0x1fe, v6
	s_waitcnt lgkmcnt(0)
	s_barrier
	buffer_gl0_inv
	v_mbcnt_lo_u32_b32 v17, v0, 0
	v_add_nc_u32_e32 v1, v5, v26
	v_cmp_ne_u32_e64 s11, 0, v0
	; wave barrier
	s_delay_alu instid0(VALU_DEP_3) | instskip(NEXT) | instid1(VALU_DEP_3)
	v_cmp_eq_u32_e64 s10, 0, v17
	v_lshl_add_u32 v18, v1, 2, 8
	s_delay_alu instid0(VALU_DEP_2) | instskip(NEXT) | instid1(SALU_CYCLE_1)
	s_and_b32 s11, s11, s10
	s_and_saveexec_b32 s10, s11
	s_cbranch_execz .LBB145_44
; %bb.43:                               ;   in Loop: Header=BB145_2 Depth=1
	v_bcnt_u32_b32 v0, v0, 0
	ds_store_b32 v18, v0
.LBB145_44:                             ;   in Loop: Header=BB145_2 Depth=1
	s_or_b32 exec_lo, exec_lo, s10
	; wave barrier
	s_waitcnt lgkmcnt(0)
	s_barrier
	buffer_gl0_inv
	ds_load_2addr_b64 v[4:7], v19 offset0:1 offset1:2
	ds_load_2addr_b64 v[0:3], v20 offset0:2 offset1:3
	s_waitcnt lgkmcnt(1)
	v_add_nc_u32_e32 v28, v5, v4
	s_delay_alu instid0(VALU_DEP_1) | instskip(SKIP_1) | instid1(VALU_DEP_1)
	v_add3_u32 v28, v28, v6, v7
	s_waitcnt lgkmcnt(0)
	v_add3_u32 v28, v28, v0, v1
	s_delay_alu instid0(VALU_DEP_1) | instskip(NEXT) | instid1(VALU_DEP_1)
	v_add3_u32 v3, v28, v2, v3
	v_mov_b32_dpp v28, v3 row_shr:1 row_mask:0xf bank_mask:0xf
	s_delay_alu instid0(VALU_DEP_1) | instskip(NEXT) | instid1(VALU_DEP_1)
	v_cndmask_b32_e64 v28, v28, 0, s0
	v_add_nc_u32_e32 v3, v28, v3
	s_delay_alu instid0(VALU_DEP_1) | instskip(NEXT) | instid1(VALU_DEP_1)
	v_mov_b32_dpp v28, v3 row_shr:2 row_mask:0xf bank_mask:0xf
	v_cndmask_b32_e64 v28, 0, v28, s1
	s_delay_alu instid0(VALU_DEP_1) | instskip(NEXT) | instid1(VALU_DEP_1)
	v_add_nc_u32_e32 v3, v3, v28
	v_mov_b32_dpp v28, v3 row_shr:4 row_mask:0xf bank_mask:0xf
	s_delay_alu instid0(VALU_DEP_1) | instskip(NEXT) | instid1(VALU_DEP_1)
	v_cndmask_b32_e64 v28, 0, v28, s2
	v_add_nc_u32_e32 v3, v3, v28
	s_delay_alu instid0(VALU_DEP_1) | instskip(NEXT) | instid1(VALU_DEP_1)
	v_mov_b32_dpp v28, v3 row_shr:8 row_mask:0xf bank_mask:0xf
	v_cndmask_b32_e64 v28, 0, v28, s3
	s_delay_alu instid0(VALU_DEP_1) | instskip(SKIP_3) | instid1(VALU_DEP_1)
	v_add_nc_u32_e32 v3, v3, v28
	ds_swizzle_b32 v28, v3 offset:swizzle(BROADCAST,32,15)
	s_waitcnt lgkmcnt(0)
	v_cndmask_b32_e64 v28, v28, 0, s4
	v_add_nc_u32_e32 v3, v3, v28
	s_and_saveexec_b32 s10, s9
	s_cbranch_execz .LBB145_46
; %bb.45:                               ;   in Loop: Header=BB145_2 Depth=1
	ds_store_b32 v21, v3
.LBB145_46:                             ;   in Loop: Header=BB145_2 Depth=1
	s_or_b32 exec_lo, exec_lo, s10
	s_waitcnt lgkmcnt(0)
	s_barrier
	buffer_gl0_inv
	s_and_saveexec_b32 s10, s5
	s_cbranch_execz .LBB145_48
; %bb.47:                               ;   in Loop: Header=BB145_2 Depth=1
	ds_load_b32 v28, v23
	s_waitcnt lgkmcnt(0)
	v_mov_b32_dpp v29, v28 row_shr:1 row_mask:0xf bank_mask:0xf
	s_delay_alu instid0(VALU_DEP_1) | instskip(NEXT) | instid1(VALU_DEP_1)
	v_cndmask_b32_e64 v29, v29, 0, s8
	v_add_nc_u32_e32 v28, v29, v28
	ds_store_b32 v23, v28
.LBB145_48:                             ;   in Loop: Header=BB145_2 Depth=1
	s_or_b32 exec_lo, exec_lo, s10
	v_mov_b32_e32 v28, 0
	s_waitcnt lgkmcnt(0)
	s_barrier
	buffer_gl0_inv
	s_and_saveexec_b32 s10, s6
	s_cbranch_execz .LBB145_50
; %bb.49:                               ;   in Loop: Header=BB145_2 Depth=1
	ds_load_b32 v28, v24
.LBB145_50:                             ;   in Loop: Header=BB145_2 Depth=1
	s_or_b32 exec_lo, exec_lo, s10
	s_waitcnt lgkmcnt(0)
	v_add_nc_u32_e32 v3, v28, v3
	ds_bpermute_b32 v3, v22, v3
	s_waitcnt lgkmcnt(0)
	v_cndmask_b32_e32 v3, v3, v28, vcc_lo
	s_delay_alu instid0(VALU_DEP_1) | instskip(NEXT) | instid1(VALU_DEP_1)
	v_cndmask_b32_e64 v3, v3, 0, s7
	v_add_nc_u32_e32 v4, v3, v4
	s_delay_alu instid0(VALU_DEP_1) | instskip(NEXT) | instid1(VALU_DEP_1)
	v_add_nc_u32_e32 v5, v4, v5
	v_add_nc_u32_e32 v6, v5, v6
	s_delay_alu instid0(VALU_DEP_1) | instskip(NEXT) | instid1(VALU_DEP_1)
	v_add_nc_u32_e32 v28, v6, v7
	;; [unrolled: 3-line block ×3, first 2 shown]
	v_add_nc_u32_e32 v1, v0, v2
	ds_store_2addr_b64 v19, v[3:4], v[5:6] offset0:1 offset1:2
	ds_store_2addr_b64 v20, v[28:29], v[0:1] offset0:2 offset1:3
	s_waitcnt lgkmcnt(0)
	s_barrier
	buffer_gl0_inv
	ds_load_b32 v0, v18
	v_lshlrev_b32_e32 v1, 3, v17
	s_waitcnt lgkmcnt(0)
	s_barrier
	buffer_gl0_inv
	v_lshl_add_u32 v0, v0, 3, v1
	v_dual_mov_b32 v1, s20 :: v_dual_mov_b32 v2, s21
	ds_store_b64 v0, v[13:14]
	s_waitcnt lgkmcnt(0)
	s_barrier
	buffer_gl0_inv
	ds_load_b64 v[13:14], v25
	s_waitcnt lgkmcnt(0)
	s_barrier
	buffer_gl0_inv
	ds_store_b64 v0, v[15:16]
	s_waitcnt lgkmcnt(0)
	s_barrier
	buffer_gl0_inv
	ds_load_b64 v[15:16], v25
	s_waitcnt lgkmcnt(0)
	s_barrier
	buffer_gl0_inv
	v_bfe_u32 v3, v13, 16, 1
	v_lshrrev_b32_e32 v4, 16, v13
	s_delay_alu instid0(VALU_DEP_2) | instskip(NEXT) | instid1(VALU_DEP_1)
	v_add_co_u32 v3, s10, v3, -1
	v_cndmask_b32_e64 v5, 0, 1, s10
	s_delay_alu instid0(VALU_DEP_3)
	v_lshlrev_b32_e32 v6, 30, v4
	v_lshlrev_b32_e32 v7, 29, v4
	;; [unrolled: 1-line block ×4, first 2 shown]
	v_cmp_ne_u32_e64 s10, 0, v5
	v_not_b32_e32 v5, v6
	v_cmp_gt_i32_e64 s11, 0, v6
	v_not_b32_e32 v6, v7
	v_lshlrev_b32_e32 v28, 26, v4
	v_xor_b32_e32 v3, s10, v3
	v_ashrrev_i32_e32 v5, 31, v5
	v_cmp_gt_i32_e64 s10, 0, v7
	v_not_b32_e32 v7, v17
	v_ashrrev_i32_e32 v6, 31, v6
	v_and_b32_e32 v3, exec_lo, v3
	v_xor_b32_e32 v5, s11, v5
	v_cmp_gt_i32_e64 s11, 0, v17
	v_not_b32_e32 v17, v18
	v_ashrrev_i32_e32 v7, 31, v7
	v_xor_b32_e32 v6, s10, v6
	v_and_b32_e32 v3, v3, v5
	v_lshlrev_b32_e32 v29, 25, v4
	v_cmp_gt_i32_e64 s10, 0, v18
	v_not_b32_e32 v5, v28
	v_ashrrev_i32_e32 v17, 31, v17
	v_xor_b32_e32 v7, s11, v7
	v_and_b32_e32 v3, v3, v6
	v_lshlrev_b32_e32 v4, 24, v4
	v_cmp_gt_i32_e64 s11, 0, v28
	v_not_b32_e32 v6, v29
	v_ashrrev_i32_e32 v5, 31, v5
	v_xor_b32_e32 v17, s10, v17
	v_and_b32_e32 v3, v3, v7
	v_cmp_gt_i32_e64 s10, 0, v29
	v_not_b32_e32 v7, v4
	v_ashrrev_i32_e32 v6, 31, v6
	v_xor_b32_e32 v5, s11, v5
	v_and_b32_e32 v3, v3, v17
	v_cmp_gt_i32_e64 s11, 0, v4
	v_ashrrev_i32_e32 v4, 31, v7
	v_xor_b32_e32 v6, s10, v6
	s_delay_alu instid0(VALU_DEP_4) | instskip(NEXT) | instid1(VALU_DEP_3)
	v_and_b32_e32 v3, v3, v5
	v_xor_b32_e32 v0, s11, v4
	s_delay_alu instid0(VALU_DEP_2)
	v_and_b32_e32 v5, v3, v6
	v_mov_b32_e32 v3, s16
	v_lshrrev_b32_e32 v6, 15, v13
	v_mov_b32_e32 v4, s17
	ds_store_2addr_b64 v19, v[1:2], v[3:4] offset0:1 offset1:2
	ds_store_2addr_b64 v20, v[1:2], v[3:4] offset0:2 offset1:3
	v_and_b32_e32 v0, v5, v0
	v_and_b32_e32 v5, 0x1fe, v6
	s_waitcnt lgkmcnt(0)
	s_barrier
	buffer_gl0_inv
	v_mbcnt_lo_u32_b32 v17, v0, 0
	v_add_nc_u32_e32 v1, v5, v26
	v_cmp_ne_u32_e64 s11, 0, v0
	; wave barrier
	s_delay_alu instid0(VALU_DEP_3) | instskip(NEXT) | instid1(VALU_DEP_3)
	v_cmp_eq_u32_e64 s10, 0, v17
	v_lshl_add_u32 v18, v1, 2, 8
	s_delay_alu instid0(VALU_DEP_2) | instskip(NEXT) | instid1(SALU_CYCLE_1)
	s_and_b32 s11, s11, s10
	s_and_saveexec_b32 s10, s11
	s_cbranch_execz .LBB145_52
; %bb.51:                               ;   in Loop: Header=BB145_2 Depth=1
	v_bcnt_u32_b32 v0, v0, 0
	ds_store_b32 v18, v0
.LBB145_52:                             ;   in Loop: Header=BB145_2 Depth=1
	s_or_b32 exec_lo, exec_lo, s10
	; wave barrier
	s_waitcnt lgkmcnt(0)
	s_barrier
	buffer_gl0_inv
	ds_load_2addr_b64 v[4:7], v19 offset0:1 offset1:2
	ds_load_2addr_b64 v[0:3], v20 offset0:2 offset1:3
	s_waitcnt lgkmcnt(1)
	v_add_nc_u32_e32 v28, v5, v4
	s_delay_alu instid0(VALU_DEP_1) | instskip(SKIP_1) | instid1(VALU_DEP_1)
	v_add3_u32 v28, v28, v6, v7
	s_waitcnt lgkmcnt(0)
	v_add3_u32 v28, v28, v0, v1
	s_delay_alu instid0(VALU_DEP_1) | instskip(NEXT) | instid1(VALU_DEP_1)
	v_add3_u32 v3, v28, v2, v3
	v_mov_b32_dpp v28, v3 row_shr:1 row_mask:0xf bank_mask:0xf
	s_delay_alu instid0(VALU_DEP_1) | instskip(NEXT) | instid1(VALU_DEP_1)
	v_cndmask_b32_e64 v28, v28, 0, s0
	v_add_nc_u32_e32 v3, v28, v3
	s_delay_alu instid0(VALU_DEP_1) | instskip(NEXT) | instid1(VALU_DEP_1)
	v_mov_b32_dpp v28, v3 row_shr:2 row_mask:0xf bank_mask:0xf
	v_cndmask_b32_e64 v28, 0, v28, s1
	s_delay_alu instid0(VALU_DEP_1) | instskip(NEXT) | instid1(VALU_DEP_1)
	v_add_nc_u32_e32 v3, v3, v28
	v_mov_b32_dpp v28, v3 row_shr:4 row_mask:0xf bank_mask:0xf
	s_delay_alu instid0(VALU_DEP_1) | instskip(NEXT) | instid1(VALU_DEP_1)
	v_cndmask_b32_e64 v28, 0, v28, s2
	v_add_nc_u32_e32 v3, v3, v28
	s_delay_alu instid0(VALU_DEP_1) | instskip(NEXT) | instid1(VALU_DEP_1)
	v_mov_b32_dpp v28, v3 row_shr:8 row_mask:0xf bank_mask:0xf
	v_cndmask_b32_e64 v28, 0, v28, s3
	s_delay_alu instid0(VALU_DEP_1) | instskip(SKIP_3) | instid1(VALU_DEP_1)
	v_add_nc_u32_e32 v3, v3, v28
	ds_swizzle_b32 v28, v3 offset:swizzle(BROADCAST,32,15)
	s_waitcnt lgkmcnt(0)
	v_cndmask_b32_e64 v28, v28, 0, s4
	v_add_nc_u32_e32 v3, v3, v28
	s_and_saveexec_b32 s10, s9
	s_cbranch_execz .LBB145_54
; %bb.53:                               ;   in Loop: Header=BB145_2 Depth=1
	ds_store_b32 v21, v3
.LBB145_54:                             ;   in Loop: Header=BB145_2 Depth=1
	s_or_b32 exec_lo, exec_lo, s10
	s_waitcnt lgkmcnt(0)
	s_barrier
	buffer_gl0_inv
	s_and_saveexec_b32 s10, s5
	s_cbranch_execz .LBB145_56
; %bb.55:                               ;   in Loop: Header=BB145_2 Depth=1
	ds_load_b32 v28, v23
	s_waitcnt lgkmcnt(0)
	v_mov_b32_dpp v29, v28 row_shr:1 row_mask:0xf bank_mask:0xf
	s_delay_alu instid0(VALU_DEP_1) | instskip(NEXT) | instid1(VALU_DEP_1)
	v_cndmask_b32_e64 v29, v29, 0, s8
	v_add_nc_u32_e32 v28, v29, v28
	ds_store_b32 v23, v28
.LBB145_56:                             ;   in Loop: Header=BB145_2 Depth=1
	s_or_b32 exec_lo, exec_lo, s10
	v_mov_b32_e32 v28, 0
	s_waitcnt lgkmcnt(0)
	s_barrier
	buffer_gl0_inv
	s_and_saveexec_b32 s10, s6
	s_cbranch_execz .LBB145_58
; %bb.57:                               ;   in Loop: Header=BB145_2 Depth=1
	ds_load_b32 v28, v24
.LBB145_58:                             ;   in Loop: Header=BB145_2 Depth=1
	s_or_b32 exec_lo, exec_lo, s10
	s_waitcnt lgkmcnt(0)
	v_add_nc_u32_e32 v3, v28, v3
	ds_bpermute_b32 v3, v22, v3
	s_waitcnt lgkmcnt(0)
	v_cndmask_b32_e32 v3, v3, v28, vcc_lo
	s_delay_alu instid0(VALU_DEP_1) | instskip(NEXT) | instid1(VALU_DEP_1)
	v_cndmask_b32_e64 v3, v3, 0, s7
	v_add_nc_u32_e32 v4, v3, v4
	s_delay_alu instid0(VALU_DEP_1) | instskip(NEXT) | instid1(VALU_DEP_1)
	v_add_nc_u32_e32 v5, v4, v5
	v_add_nc_u32_e32 v6, v5, v6
	s_delay_alu instid0(VALU_DEP_1) | instskip(NEXT) | instid1(VALU_DEP_1)
	v_add_nc_u32_e32 v28, v6, v7
	;; [unrolled: 3-line block ×3, first 2 shown]
	v_add_nc_u32_e32 v1, v0, v2
	ds_store_2addr_b64 v19, v[3:4], v[5:6] offset0:1 offset1:2
	ds_store_2addr_b64 v20, v[28:29], v[0:1] offset0:2 offset1:3
	s_waitcnt lgkmcnt(0)
	s_barrier
	buffer_gl0_inv
	ds_load_b32 v0, v18
	v_lshlrev_b32_e32 v1, 3, v17
	s_waitcnt lgkmcnt(0)
	s_barrier
	buffer_gl0_inv
	v_lshl_add_u32 v0, v0, 3, v1
	ds_store_b64 v0, v[13:14]
	s_waitcnt lgkmcnt(0)
	s_barrier
	buffer_gl0_inv
	ds_load_b64 v[13:14], v25
	s_waitcnt lgkmcnt(0)
	s_barrier
	buffer_gl0_inv
	ds_store_b64 v0, v[15:16]
	s_waitcnt lgkmcnt(0)
	s_barrier
	buffer_gl0_inv
	v_bfe_u32 v1, v13, 24, 1
	v_lshrrev_b32_e32 v5, 24, v13
	s_delay_alu instid0(VALU_DEP_2) | instskip(NEXT) | instid1(VALU_DEP_1)
	v_add_co_u32 v1, s10, v1, -1
	v_cndmask_b32_e64 v2, 0, 1, s10
	s_delay_alu instid0(VALU_DEP_3)
	v_lshlrev_b32_e32 v3, 30, v5
	v_lshlrev_b32_e32 v4, 29, v5
	;; [unrolled: 1-line block ×4, first 2 shown]
	v_cmp_ne_u32_e64 s10, 0, v2
	v_not_b32_e32 v2, v3
	v_cmp_gt_i32_e64 s11, 0, v3
	v_not_b32_e32 v3, v4
	v_lshlrev_b32_e32 v17, 26, v5
	v_xor_b32_e32 v1, s10, v1
	v_ashrrev_i32_e32 v2, 31, v2
	v_cmp_gt_i32_e64 s10, 0, v4
	v_not_b32_e32 v4, v6
	v_ashrrev_i32_e32 v3, 31, v3
	v_and_b32_e32 v1, exec_lo, v1
	v_xor_b32_e32 v2, s11, v2
	v_cmp_gt_i32_e64 s11, 0, v6
	v_not_b32_e32 v6, v7
	v_ashrrev_i32_e32 v4, 31, v4
	v_xor_b32_e32 v3, s10, v3
	v_and_b32_e32 v1, v1, v2
	v_lshlrev_b32_e32 v18, 25, v5
	v_cmp_gt_i32_e64 s10, 0, v7
	v_not_b32_e32 v2, v17
	v_ashrrev_i32_e32 v6, 31, v6
	v_xor_b32_e32 v4, s11, v4
	v_and_b32_e32 v1, v1, v3
	v_cmp_gt_i32_e64 s11, 0, v17
	v_not_b32_e32 v3, v18
	v_ashrrev_i32_e32 v2, 31, v2
	v_xor_b32_e32 v6, s10, v6
	v_and_b32_e32 v1, v1, v4
	v_not_b32_e32 v4, v13
	v_cmp_gt_i32_e64 s10, 0, v18
	v_ashrrev_i32_e32 v3, 31, v3
	v_xor_b32_e32 v2, s11, v2
	v_and_b32_e32 v1, v1, v6
	v_cmp_gt_i32_e64 s11, 0, v13
	v_ashrrev_i32_e32 v4, 31, v4
	v_xor_b32_e32 v3, s10, v3
	ds_load_b64 v[17:18], v25
	v_and_b32_e32 v1, v1, v2
	s_waitcnt lgkmcnt(0)
	v_xor_b32_e32 v0, s11, v4
	s_barrier
	buffer_gl0_inv
	v_and_b32_e32 v3, v1, v3
	v_dual_mov_b32 v1, s20 :: v_dual_mov_b32 v2, s21
	s_delay_alu instid0(VALU_DEP_2)
	v_dual_mov_b32 v3, s16 :: v_dual_and_b32 v0, v3, v0
	v_mov_b32_e32 v4, s17
	ds_store_2addr_b64 v19, v[1:2], v[3:4] offset0:1 offset1:2
	ds_store_2addr_b64 v20, v[1:2], v[3:4] offset0:2 offset1:3
	v_mbcnt_lo_u32_b32 v15, v0, 0
	v_lshl_add_u32 v1, v5, 1, v26
	v_cmp_ne_u32_e64 s11, 0, v0
	s_waitcnt lgkmcnt(0)
	s_barrier
	v_cmp_eq_u32_e64 s10, 0, v15
	v_lshl_add_u32 v16, v1, 2, 8
	buffer_gl0_inv
	; wave barrier
	s_and_b32 s11, s11, s10
	s_delay_alu instid0(SALU_CYCLE_1)
	s_and_saveexec_b32 s10, s11
	s_cbranch_execz .LBB145_60
; %bb.59:                               ;   in Loop: Header=BB145_2 Depth=1
	v_bcnt_u32_b32 v0, v0, 0
	ds_store_b32 v16, v0
.LBB145_60:                             ;   in Loop: Header=BB145_2 Depth=1
	s_or_b32 exec_lo, exec_lo, s10
	; wave barrier
	s_waitcnt lgkmcnt(0)
	s_barrier
	buffer_gl0_inv
	ds_load_2addr_b64 v[4:7], v19 offset0:1 offset1:2
	ds_load_2addr_b64 v[0:3], v20 offset0:2 offset1:3
	s_waitcnt lgkmcnt(1)
	v_add_nc_u32_e32 v28, v5, v4
	s_delay_alu instid0(VALU_DEP_1) | instskip(SKIP_1) | instid1(VALU_DEP_1)
	v_add3_u32 v28, v28, v6, v7
	s_waitcnt lgkmcnt(0)
	v_add3_u32 v28, v28, v0, v1
	s_delay_alu instid0(VALU_DEP_1) | instskip(NEXT) | instid1(VALU_DEP_1)
	v_add3_u32 v3, v28, v2, v3
	v_mov_b32_dpp v28, v3 row_shr:1 row_mask:0xf bank_mask:0xf
	s_delay_alu instid0(VALU_DEP_1) | instskip(NEXT) | instid1(VALU_DEP_1)
	v_cndmask_b32_e64 v28, v28, 0, s0
	v_add_nc_u32_e32 v3, v28, v3
	s_delay_alu instid0(VALU_DEP_1) | instskip(NEXT) | instid1(VALU_DEP_1)
	v_mov_b32_dpp v28, v3 row_shr:2 row_mask:0xf bank_mask:0xf
	v_cndmask_b32_e64 v28, 0, v28, s1
	s_delay_alu instid0(VALU_DEP_1) | instskip(NEXT) | instid1(VALU_DEP_1)
	v_add_nc_u32_e32 v3, v3, v28
	v_mov_b32_dpp v28, v3 row_shr:4 row_mask:0xf bank_mask:0xf
	s_delay_alu instid0(VALU_DEP_1) | instskip(NEXT) | instid1(VALU_DEP_1)
	v_cndmask_b32_e64 v28, 0, v28, s2
	v_add_nc_u32_e32 v3, v3, v28
	s_delay_alu instid0(VALU_DEP_1) | instskip(NEXT) | instid1(VALU_DEP_1)
	v_mov_b32_dpp v28, v3 row_shr:8 row_mask:0xf bank_mask:0xf
	v_cndmask_b32_e64 v28, 0, v28, s3
	s_delay_alu instid0(VALU_DEP_1) | instskip(SKIP_3) | instid1(VALU_DEP_1)
	v_add_nc_u32_e32 v3, v3, v28
	ds_swizzle_b32 v28, v3 offset:swizzle(BROADCAST,32,15)
	s_waitcnt lgkmcnt(0)
	v_cndmask_b32_e64 v28, v28, 0, s4
	v_add_nc_u32_e32 v3, v3, v28
	s_and_saveexec_b32 s10, s9
	s_cbranch_execz .LBB145_62
; %bb.61:                               ;   in Loop: Header=BB145_2 Depth=1
	ds_store_b32 v21, v3
.LBB145_62:                             ;   in Loop: Header=BB145_2 Depth=1
	s_or_b32 exec_lo, exec_lo, s10
	s_waitcnt lgkmcnt(0)
	s_barrier
	buffer_gl0_inv
	s_and_saveexec_b32 s10, s5
	s_cbranch_execz .LBB145_64
; %bb.63:                               ;   in Loop: Header=BB145_2 Depth=1
	ds_load_b32 v28, v23
	s_waitcnt lgkmcnt(0)
	v_mov_b32_dpp v29, v28 row_shr:1 row_mask:0xf bank_mask:0xf
	s_delay_alu instid0(VALU_DEP_1) | instskip(NEXT) | instid1(VALU_DEP_1)
	v_cndmask_b32_e64 v29, v29, 0, s8
	v_add_nc_u32_e32 v28, v29, v28
	ds_store_b32 v23, v28
.LBB145_64:                             ;   in Loop: Header=BB145_2 Depth=1
	s_or_b32 exec_lo, exec_lo, s10
	v_mov_b32_e32 v28, 0
	s_waitcnt lgkmcnt(0)
	s_barrier
	buffer_gl0_inv
	s_and_saveexec_b32 s10, s6
	s_cbranch_execz .LBB145_1
; %bb.65:                               ;   in Loop: Header=BB145_2 Depth=1
	ds_load_b32 v28, v24
	s_branch .LBB145_1
.LBB145_66:
	s_waitcnt lgkmcnt(0)
	v_add3_u32 v0, v13, v15, 0x80000000
	v_add3_u32 v1, v14, v16, 0x80000000
	v_lshlrev_b32_e32 v2, 3, v8
	s_add_u32 s0, s18, s14
	s_addc_u32 s1, s19, s15
	global_store_b64 v2, v[0:1], s[0:1]
	s_nop 0
	s_sendmsg sendmsg(MSG_DEALLOC_VGPRS)
	s_endpgm
	.section	.rodata,"a",@progbits
	.p2align	6, 0x0
	.amdhsa_kernel _Z17sort_pairs_kernelI22helper_blocked_blockedN15benchmark_utils11custom_typeIiiEELj64ELj1ELj10EEvPKT0_PS4_
		.amdhsa_group_segment_fixed_size 2064
		.amdhsa_private_segment_fixed_size 0
		.amdhsa_kernarg_size 272
		.amdhsa_user_sgpr_count 15
		.amdhsa_user_sgpr_dispatch_ptr 0
		.amdhsa_user_sgpr_queue_ptr 0
		.amdhsa_user_sgpr_kernarg_segment_ptr 1
		.amdhsa_user_sgpr_dispatch_id 0
		.amdhsa_user_sgpr_private_segment_size 0
		.amdhsa_wavefront_size32 1
		.amdhsa_uses_dynamic_stack 0
		.amdhsa_enable_private_segment 0
		.amdhsa_system_sgpr_workgroup_id_x 1
		.amdhsa_system_sgpr_workgroup_id_y 0
		.amdhsa_system_sgpr_workgroup_id_z 0
		.amdhsa_system_sgpr_workgroup_info 0
		.amdhsa_system_vgpr_workitem_id 2
		.amdhsa_next_free_vgpr 30
		.amdhsa_next_free_sgpr 22
		.amdhsa_reserve_vcc 1
		.amdhsa_float_round_mode_32 0
		.amdhsa_float_round_mode_16_64 0
		.amdhsa_float_denorm_mode_32 3
		.amdhsa_float_denorm_mode_16_64 3
		.amdhsa_dx10_clamp 1
		.amdhsa_ieee_mode 1
		.amdhsa_fp16_overflow 0
		.amdhsa_workgroup_processor_mode 1
		.amdhsa_memory_ordered 1
		.amdhsa_forward_progress 0
		.amdhsa_shared_vgpr_count 0
		.amdhsa_exception_fp_ieee_invalid_op 0
		.amdhsa_exception_fp_denorm_src 0
		.amdhsa_exception_fp_ieee_div_zero 0
		.amdhsa_exception_fp_ieee_overflow 0
		.amdhsa_exception_fp_ieee_underflow 0
		.amdhsa_exception_fp_ieee_inexact 0
		.amdhsa_exception_int_div_zero 0
	.end_amdhsa_kernel
	.section	.text._Z17sort_pairs_kernelI22helper_blocked_blockedN15benchmark_utils11custom_typeIiiEELj64ELj1ELj10EEvPKT0_PS4_,"axG",@progbits,_Z17sort_pairs_kernelI22helper_blocked_blockedN15benchmark_utils11custom_typeIiiEELj64ELj1ELj10EEvPKT0_PS4_,comdat
.Lfunc_end145:
	.size	_Z17sort_pairs_kernelI22helper_blocked_blockedN15benchmark_utils11custom_typeIiiEELj64ELj1ELj10EEvPKT0_PS4_, .Lfunc_end145-_Z17sort_pairs_kernelI22helper_blocked_blockedN15benchmark_utils11custom_typeIiiEELj64ELj1ELj10EEvPKT0_PS4_
                                        ; -- End function
	.section	.AMDGPU.csdata,"",@progbits
; Kernel info:
; codeLenInByte = 8084
; NumSgprs: 24
; NumVgprs: 30
; ScratchSize: 0
; MemoryBound: 0
; FloatMode: 240
; IeeeMode: 1
; LDSByteSize: 2064 bytes/workgroup (compile time only)
; SGPRBlocks: 2
; VGPRBlocks: 3
; NumSGPRsForWavesPerEU: 24
; NumVGPRsForWavesPerEU: 30
; Occupancy: 16
; WaveLimiterHint : 0
; COMPUTE_PGM_RSRC2:SCRATCH_EN: 0
; COMPUTE_PGM_RSRC2:USER_SGPR: 15
; COMPUTE_PGM_RSRC2:TRAP_HANDLER: 0
; COMPUTE_PGM_RSRC2:TGID_X_EN: 1
; COMPUTE_PGM_RSRC2:TGID_Y_EN: 0
; COMPUTE_PGM_RSRC2:TGID_Z_EN: 0
; COMPUTE_PGM_RSRC2:TIDIG_COMP_CNT: 2
	.section	.text._Z16sort_keys_kernelI22helper_blocked_blockedN15benchmark_utils11custom_typeIiiEELj64ELj3ELj10EEvPKT0_PS4_,"axG",@progbits,_Z16sort_keys_kernelI22helper_blocked_blockedN15benchmark_utils11custom_typeIiiEELj64ELj3ELj10EEvPKT0_PS4_,comdat
	.protected	_Z16sort_keys_kernelI22helper_blocked_blockedN15benchmark_utils11custom_typeIiiEELj64ELj3ELj10EEvPKT0_PS4_ ; -- Begin function _Z16sort_keys_kernelI22helper_blocked_blockedN15benchmark_utils11custom_typeIiiEELj64ELj3ELj10EEvPKT0_PS4_
	.globl	_Z16sort_keys_kernelI22helper_blocked_blockedN15benchmark_utils11custom_typeIiiEELj64ELj3ELj10EEvPKT0_PS4_
	.p2align	8
	.type	_Z16sort_keys_kernelI22helper_blocked_blockedN15benchmark_utils11custom_typeIiiEELj64ELj3ELj10EEvPKT0_PS4_,@function
_Z16sort_keys_kernelI22helper_blocked_blockedN15benchmark_utils11custom_typeIiiEELj64ELj3ELj10EEvPKT0_PS4_: ; @_Z16sort_keys_kernelI22helper_blocked_blockedN15benchmark_utils11custom_typeIiiEELj64ELj3ELj10EEvPKT0_PS4_
; %bb.0:
	s_clause 0x1
	s_load_b128 s[16:19], s[0:1], 0x0
	s_load_b32 s2, s[0:1], 0x1c
	s_mov_b32 s21, 0
	s_mul_i32 s20, s15, 0xc0
	v_bfe_u32 v9, v0, 10, 10
	s_lshl_b64 s[14:15], s[20:21], 3
	s_mov_b32 s20, s21
	v_and_b32_e32 v8, 0x3ff, v0
	v_bfe_u32 v0, v0, 20, 10
	v_mbcnt_lo_u32_b32 v12, -1, 0
	s_mov_b32 s12, s21
	s_mov_b32 s13, s21
	v_lshlrev_b32_e32 v5, 3, v8
	v_lshrrev_b32_e32 v7, 5, v8
	v_cmp_eq_u32_e64 s8, 0, v12
	s_delay_alu instid0(VALU_DEP_2)
	v_mul_u32_u24_e32 v11, 0x60, v7
	v_lshlrev_b32_e32 v25, 2, v7
	s_waitcnt lgkmcnt(0)
	s_add_u32 s0, s16, s14
	s_addc_u32 s1, s17, s15
	s_clause 0x2
	global_load_b64 v[1:2], v5, s[0:1]
	global_load_b64 v[3:4], v5, s[0:1] offset:512
	global_load_b64 v[5:6], v5, s[0:1] offset:1024
	s_lshr_b32 s0, s2, 16
	v_lshlrev_b32_e32 v13, 3, v11
	v_mad_u32_u24 v0, v0, s0, v9
	s_and_b32 s0, s2, 0xffff
	v_add_nc_u32_e32 v27, -4, v25
	s_delay_alu instid0(VALU_DEP_3) | instskip(NEXT) | instid1(VALU_DEP_3)
	v_mad_u32_u24 v20, v12, 24, v13
	v_mad_u64_u32 v[9:10], null, v0, s0, v[8:9]
	v_or_b32_e32 v0, v12, v11
	v_add_nc_u32_e32 v11, -1, v12
	v_and_b32_e32 v10, 15, v12
	s_delay_alu instid0(VALU_DEP_3)
	v_lshlrev_b32_e32 v21, 3, v0
	v_lshrrev_b32_e32 v23, 5, v9
	v_and_b32_e32 v9, 16, v12
	v_cmp_gt_i32_e32 vcc_lo, 0, v11
	v_cmp_eq_u32_e64 s0, 0, v10
	v_cmp_lt_u32_e64 s1, 1, v10
	v_cmp_lt_u32_e64 s2, 3, v10
	v_cmp_eq_u32_e64 s4, 0, v9
	v_cndmask_b32_e32 v9, v11, v12, vcc_lo
	v_cmp_lt_u32_e64 s3, 7, v10
	s_delay_alu instid0(VALU_DEP_2) | instskip(SKIP_1) | instid1(VALU_DEP_1)
	v_lshlrev_b32_e32 v24, 2, v9
	v_and_b32_e32 v9, 1, v12
	v_cmp_eq_u32_e64 s10, 0, v9
	v_dual_mov_b32 v9, s20 :: v_dual_and_b32 v0, 32, v8
	v_lshlrev_b32_e32 v19, 5, v8
	v_cmp_gt_u32_e64 s6, 2, v8
	v_cmp_lt_u32_e64 s7, 31, v8
	v_cmp_eq_u32_e64 s9, 0, v8
	v_or_b32_e32 v13, 31, v0
	v_mul_u32_u24_e32 v0, 3, v0
	v_mad_i32_i24 v26, 0xffffffe4, v8, v19
	v_or_b32_e32 v22, 8, v19
	v_mov_b32_e32 v10, s21
	v_cmp_eq_u32_e64 s5, v13, v8
	v_or_b32_e32 v0, v12, v0
	v_dual_mov_b32 v11, s12 :: v_dual_mov_b32 v12, s13
	s_delay_alu instid0(VALU_DEP_2) | instskip(SKIP_1) | instid1(VALU_DEP_1)
	v_lshlrev_b32_e32 v28, 3, v0
	v_mul_u32_u24_e32 v0, 20, v8
	v_add_nc_u32_e32 v29, v26, v0
	s_branch .LBB146_2
.LBB146_1:                              ;   in Loop: Header=BB146_2 Depth=1
	s_barrier
	buffer_gl0_inv
	ds_store_b64 v6, v[13:14]
	ds_store_b64 v7, v[17:18]
	;; [unrolled: 1-line block ×3, first 2 shown]
	s_waitcnt lgkmcnt(0)
	s_barrier
	buffer_gl0_inv
	ds_load_2addr_b64 v[1:4], v29 offset1:1
	ds_load_b64 v[5:6], v29 offset:16
	s_add_i32 s21, s21, 1
	s_delay_alu instid0(SALU_CYCLE_1)
	s_cmp_eq_u32 s21, 10
	s_waitcnt lgkmcnt(1)
	v_xor_b32_e32 v1, 0x80000000, v1
	v_xor_b32_e32 v2, 0x80000000, v2
	;; [unrolled: 1-line block ×4, first 2 shown]
	s_waitcnt lgkmcnt(0)
	v_xor_b32_e32 v5, 0x80000000, v5
	v_xor_b32_e32 v6, 0x80000000, v6
	s_cbranch_scc1 .LBB146_18
.LBB146_2:                              ; =>This Loop Header: Depth=1
                                        ;     Child Loop BB146_4 Depth 2
	s_waitcnt vmcnt(2)
	v_xor_b32_e32 v2, 0x80000000, v2
	v_xor_b32_e32 v1, 0x80000000, v1
	s_waitcnt vmcnt(1)
	v_xor_b32_e32 v4, 0x80000000, v4
	v_xor_b32_e32 v3, 0x80000000, v3
	;; [unrolled: 3-line block ×3, first 2 shown]
	ds_store_2addr_b64 v20, v[1:2], v[3:4] offset1:1
	ds_store_b64 v20, v[5:6] offset:16
	; wave barrier
	ds_load_2addr_b64 v[0:3], v21 offset1:32
	ds_load_b64 v[4:5], v21 offset:512
	s_mov_b32 s16, 8
	s_mov_b32 s17, 32
	;; [unrolled: 1-line block ×3, first 2 shown]
	s_waitcnt lgkmcnt(0)
	s_barrier
	buffer_gl0_inv
	; wave barrier
	s_barrier
	s_branch .LBB146_4
.LBB146_3:                              ;   in Loop: Header=BB146_4 Depth=2
	s_barrier
	buffer_gl0_inv
	ds_store_b64 v6, v[13:14]
	ds_store_b64 v7, v[17:18]
	;; [unrolled: 1-line block ×3, first 2 shown]
	s_waitcnt lgkmcnt(0)
	s_barrier
	buffer_gl0_inv
	ds_load_2addr_b64 v[0:3], v28 offset1:32
	ds_load_b64 v[4:5], v28 offset:512
	s_add_i32 s17, s17, -8
	s_add_i32 s16, s16, 8
	s_add_i32 s20, s20, 8
	s_waitcnt lgkmcnt(0)
	s_barrier
	s_cbranch_execz .LBB146_1
.LBB146_4:                              ;   Parent Loop BB146_2 Depth=1
                                        ; =>  This Inner Loop Header: Depth=2
	s_min_i32 s12, s16, 32
	s_cmp_lt_u32 s20, 32
	v_dual_mov_b32 v14, v1 :: v_dual_mov_b32 v13, v0
	s_cselect_b32 vcc_lo, -1, 0
	s_cmp_gt_u32 s20, 24
	buffer_gl0_inv
	s_cselect_b32 s11, -1, 0
	s_sub_i32 s12, s12, 32
	v_lshrrev_b32_e32 v1, s20, v14
	s_add_i32 s13, s12, s17
	ds_store_2addr_b64 v19, v[9:10], v[11:12] offset0:1 offset1:2
	ds_store_2addr_b64 v22, v[9:10], v[11:12] offset0:2 offset1:3
	s_lshl_b32 s13, -1, s13
	s_waitcnt lgkmcnt(0)
	s_not_b32 s13, s13
	s_cmp_lg_u32 s12, s20
	s_barrier
	s_cselect_b32 s22, s13, -1
	s_max_i32 s23, s17, 0
	s_max_i32 s12, s20, 32
	v_and_b32_e32 v1, s22, v1
	s_sub_i32 s13, s12, s23
	s_sub_i32 s24, s12, 32
	s_sub_i32 s13, s13, 24
	v_lshrrev_b32_e32 v0, s24, v13
	s_min_i32 s12, s13, 32
	buffer_gl0_inv
	s_sub_i32 s12, s12, s24
	s_delay_alu instid0(SALU_CYCLE_1) | instskip(NEXT) | instid1(SALU_CYCLE_1)
	s_lshl_b32 s13, -1, s12
	; wave barrier
	s_not_b32 s13, s13
	s_cmp_lg_u32 s12, 32
	v_cndmask_b32_e32 v1, 0, v1, vcc_lo
	s_cselect_b32 s25, s13, -1
	s_delay_alu instid0(SALU_CYCLE_1) | instskip(NEXT) | instid1(VALU_DEP_1)
	v_and_b32_e32 v0, s25, v0
	v_lshlrev_b32_e32 v0, s23, v0
	s_delay_alu instid0(VALU_DEP_1) | instskip(NEXT) | instid1(VALU_DEP_1)
	v_cndmask_b32_e64 v0, 0, v0, s11
	v_or_b32_e32 v1, v1, v0
	s_delay_alu instid0(VALU_DEP_1)
	v_and_b32_e32 v0, 1, v1
	v_lshlrev_b32_e32 v6, 30, v1
	v_lshlrev_b32_e32 v7, 29, v1
	v_lshlrev_b32_e32 v15, 28, v1
	v_lshlrev_b32_e32 v17, 27, v1
	v_add_co_u32 v0, s12, v0, -1
	s_delay_alu instid0(VALU_DEP_1)
	v_cndmask_b32_e64 v16, 0, 1, s12
	v_not_b32_e32 v31, v6
	v_cmp_gt_i32_e64 s13, 0, v6
	v_not_b32_e32 v6, v7
	v_lshlrev_b32_e32 v18, 26, v1
	v_cmp_ne_u32_e64 s12, 0, v16
	v_ashrrev_i32_e32 v31, 31, v31
	v_lshlrev_b32_e32 v30, 25, v1
	v_ashrrev_i32_e32 v6, 31, v6
	v_lshlrev_b32_e32 v16, 24, v1
	v_xor_b32_e32 v0, s12, v0
	v_cmp_gt_i32_e64 s12, 0, v7
	v_not_b32_e32 v7, v15
	v_xor_b32_e32 v31, s13, v31
	v_cmp_gt_i32_e64 s13, 0, v15
	v_and_b32_e32 v0, exec_lo, v0
	v_not_b32_e32 v15, v17
	v_ashrrev_i32_e32 v7, 31, v7
	v_xor_b32_e32 v6, s12, v6
	v_cmp_gt_i32_e64 s12, 0, v17
	v_and_b32_e32 v0, v0, v31
	v_not_b32_e32 v17, v18
	v_ashrrev_i32_e32 v15, 31, v15
	v_xor_b32_e32 v7, s13, v7
	v_cmp_gt_i32_e64 s13, 0, v18
	v_and_b32_e32 v0, v0, v6
	;; [unrolled: 5-line block ×4, first 2 shown]
	v_mov_b32_e32 v16, v5
	v_ashrrev_i32_e32 v7, 31, v7
	v_xor_b32_e32 v6, s12, v6
	v_lshl_add_u32 v1, v1, 1, v23
	v_and_b32_e32 v0, v0, v17
	v_mov_b32_e32 v18, v3
	v_xor_b32_e32 v7, s13, v7
	v_mov_b32_e32 v17, v2
	v_mov_b32_e32 v15, v4
	v_and_b32_e32 v0, v0, v6
	v_lshl_add_u32 v31, v1, 2, 8
	s_delay_alu instid0(VALU_DEP_2) | instskip(NEXT) | instid1(VALU_DEP_1)
	v_and_b32_e32 v0, v0, v7
	v_mbcnt_lo_u32_b32 v30, v0, 0
	v_cmp_ne_u32_e64 s13, 0, v0
	s_delay_alu instid0(VALU_DEP_2) | instskip(NEXT) | instid1(VALU_DEP_1)
	v_cmp_eq_u32_e64 s12, 0, v30
	s_and_b32 s13, s12, s13
	s_delay_alu instid0(SALU_CYCLE_1)
	s_and_saveexec_b32 s12, s13
	s_cbranch_execz .LBB146_6
; %bb.5:                                ;   in Loop: Header=BB146_4 Depth=2
	v_bcnt_u32_b32 v0, v0, 0
	ds_store_b32 v31, v0
.LBB146_6:                              ;   in Loop: Header=BB146_4 Depth=2
	s_or_b32 exec_lo, exec_lo, s12
	v_lshrrev_b32_e32 v0, s24, v17
	v_lshrrev_b32_e32 v1, s20, v18
	; wave barrier
	s_delay_alu instid0(VALU_DEP_1) | instskip(NEXT) | instid1(VALU_DEP_1)
	v_and_b32_e32 v1, s22, v1
	v_dual_cndmask_b32 v1, 0, v1 :: v_dual_and_b32 v0, s25, v0
	s_delay_alu instid0(VALU_DEP_1) | instskip(NEXT) | instid1(VALU_DEP_1)
	v_lshlrev_b32_e32 v0, s23, v0
	v_cndmask_b32_e64 v0, 0, v0, s11
	s_delay_alu instid0(VALU_DEP_1) | instskip(NEXT) | instid1(VALU_DEP_1)
	v_or_b32_e32 v0, v1, v0
	v_and_b32_e32 v1, 1, v0
	v_lshlrev_b32_e32 v2, 30, v0
	v_lshlrev_b32_e32 v3, 29, v0
	;; [unrolled: 1-line block ×4, first 2 shown]
	v_add_co_u32 v1, s12, v1, -1
	s_delay_alu instid0(VALU_DEP_1)
	v_cndmask_b32_e64 v5, 0, 1, s12
	v_not_b32_e32 v33, v2
	v_cmp_gt_i32_e64 s13, 0, v2
	v_not_b32_e32 v2, v3
	v_lshlrev_b32_e32 v7, 26, v0
	v_cmp_ne_u32_e64 s12, 0, v5
	v_ashrrev_i32_e32 v33, 31, v33
	v_lshlrev_b32_e32 v32, 25, v0
	v_ashrrev_i32_e32 v2, 31, v2
	v_lshlrev_b32_e32 v5, 24, v0
	v_xor_b32_e32 v1, s12, v1
	v_cmp_gt_i32_e64 s12, 0, v3
	v_not_b32_e32 v3, v4
	v_xor_b32_e32 v33, s13, v33
	v_cmp_gt_i32_e64 s13, 0, v4
	v_and_b32_e32 v1, exec_lo, v1
	v_not_b32_e32 v4, v6
	v_ashrrev_i32_e32 v3, 31, v3
	v_xor_b32_e32 v2, s12, v2
	v_cmp_gt_i32_e64 s12, 0, v6
	v_and_b32_e32 v1, v1, v33
	v_not_b32_e32 v6, v7
	v_ashrrev_i32_e32 v4, 31, v4
	v_xor_b32_e32 v3, s13, v3
	v_cmp_gt_i32_e64 s13, 0, v7
	v_and_b32_e32 v1, v1, v2
	;; [unrolled: 5-line block ×3, first 2 shown]
	v_not_b32_e32 v3, v5
	v_ashrrev_i32_e32 v2, 31, v2
	v_xor_b32_e32 v6, s13, v6
	v_lshlrev_b32_e32 v0, 1, v0
	v_and_b32_e32 v1, v1, v4
	v_cmp_gt_i32_e64 s13, 0, v5
	v_ashrrev_i32_e32 v3, 31, v3
	v_xor_b32_e32 v2, s12, v2
	v_add_lshl_u32 v4, v0, v23, 2
	v_and_b32_e32 v1, v1, v6
	s_delay_alu instid0(VALU_DEP_4) | instskip(SKIP_3) | instid1(VALU_DEP_2)
	v_xor_b32_e32 v0, s13, v3
	ds_load_b32 v32, v4 offset:8
	v_and_b32_e32 v1, v1, v2
	v_add_nc_u32_e32 v34, 8, v4
	; wave barrier
	v_and_b32_e32 v0, v1, v0
	s_delay_alu instid0(VALU_DEP_1) | instskip(SKIP_1) | instid1(VALU_DEP_2)
	v_mbcnt_lo_u32_b32 v33, v0, 0
	v_cmp_ne_u32_e64 s13, 0, v0
	v_cmp_eq_u32_e64 s12, 0, v33
	s_delay_alu instid0(VALU_DEP_1) | instskip(NEXT) | instid1(SALU_CYCLE_1)
	s_and_b32 s13, s12, s13
	s_and_saveexec_b32 s12, s13
	s_cbranch_execz .LBB146_8
; %bb.7:                                ;   in Loop: Header=BB146_4 Depth=2
	s_waitcnt lgkmcnt(0)
	v_bcnt_u32_b32 v0, v0, v32
	ds_store_b32 v34, v0
.LBB146_8:                              ;   in Loop: Header=BB146_4 Depth=2
	s_or_b32 exec_lo, exec_lo, s12
	v_lshrrev_b32_e32 v0, s24, v15
	v_lshrrev_b32_e32 v1, s20, v16
	; wave barrier
	s_delay_alu instid0(VALU_DEP_1) | instskip(NEXT) | instid1(VALU_DEP_1)
	v_and_b32_e32 v1, s22, v1
	v_dual_cndmask_b32 v1, 0, v1 :: v_dual_and_b32 v0, s25, v0
	s_delay_alu instid0(VALU_DEP_1) | instskip(NEXT) | instid1(VALU_DEP_1)
	v_lshlrev_b32_e32 v0, s23, v0
	v_cndmask_b32_e64 v0, 0, v0, s11
	s_delay_alu instid0(VALU_DEP_1) | instskip(NEXT) | instid1(VALU_DEP_1)
	v_or_b32_e32 v0, v1, v0
	v_and_b32_e32 v1, 1, v0
	v_lshlrev_b32_e32 v2, 30, v0
	v_lshlrev_b32_e32 v3, 29, v0
	;; [unrolled: 1-line block ×4, first 2 shown]
	v_add_co_u32 v1, s11, v1, -1
	s_delay_alu instid0(VALU_DEP_1)
	v_cndmask_b32_e64 v5, 0, 1, s11
	v_not_b32_e32 v36, v2
	v_cmp_gt_i32_e64 s11, 0, v2
	v_not_b32_e32 v2, v3
	v_lshlrev_b32_e32 v7, 26, v0
	v_cmp_ne_u32_e32 vcc_lo, 0, v5
	v_ashrrev_i32_e32 v36, 31, v36
	v_lshlrev_b32_e32 v35, 25, v0
	v_ashrrev_i32_e32 v2, 31, v2
	v_lshlrev_b32_e32 v5, 24, v0
	v_xor_b32_e32 v1, vcc_lo, v1
	v_cmp_gt_i32_e32 vcc_lo, 0, v3
	v_not_b32_e32 v3, v4
	v_xor_b32_e32 v36, s11, v36
	v_cmp_gt_i32_e64 s11, 0, v4
	v_and_b32_e32 v1, exec_lo, v1
	v_not_b32_e32 v4, v6
	v_ashrrev_i32_e32 v3, 31, v3
	v_xor_b32_e32 v2, vcc_lo, v2
	v_cmp_gt_i32_e32 vcc_lo, 0, v6
	v_and_b32_e32 v1, v1, v36
	v_not_b32_e32 v6, v7
	v_ashrrev_i32_e32 v4, 31, v4
	v_xor_b32_e32 v3, s11, v3
	v_cmp_gt_i32_e64 s11, 0, v7
	v_and_b32_e32 v1, v1, v2
	v_not_b32_e32 v2, v35
	v_ashrrev_i32_e32 v6, 31, v6
	v_xor_b32_e32 v4, vcc_lo, v4
	v_cmp_gt_i32_e32 vcc_lo, 0, v35
	v_and_b32_e32 v1, v1, v3
	v_not_b32_e32 v3, v5
	v_ashrrev_i32_e32 v2, 31, v2
	v_xor_b32_e32 v6, s11, v6
	v_lshlrev_b32_e32 v0, 1, v0
	v_and_b32_e32 v1, v1, v4
	v_cmp_gt_i32_e64 s11, 0, v5
	v_ashrrev_i32_e32 v3, 31, v3
	v_xor_b32_e32 v2, vcc_lo, v2
	v_add_lshl_u32 v4, v0, v23, 2
	v_and_b32_e32 v1, v1, v6
	s_delay_alu instid0(VALU_DEP_4) | instskip(SKIP_3) | instid1(VALU_DEP_2)
	v_xor_b32_e32 v0, s11, v3
	ds_load_b32 v35, v4 offset:8
	v_and_b32_e32 v1, v1, v2
	v_add_nc_u32_e32 v37, 8, v4
	; wave barrier
	v_and_b32_e32 v0, v1, v0
	s_delay_alu instid0(VALU_DEP_1) | instskip(SKIP_1) | instid1(VALU_DEP_2)
	v_mbcnt_lo_u32_b32 v36, v0, 0
	v_cmp_ne_u32_e64 s11, 0, v0
	v_cmp_eq_u32_e32 vcc_lo, 0, v36
	s_delay_alu instid0(VALU_DEP_2) | instskip(NEXT) | instid1(SALU_CYCLE_1)
	s_and_b32 s12, vcc_lo, s11
	s_and_saveexec_b32 s11, s12
	s_cbranch_execz .LBB146_10
; %bb.9:                                ;   in Loop: Header=BB146_4 Depth=2
	s_waitcnt lgkmcnt(0)
	v_bcnt_u32_b32 v0, v0, v35
	ds_store_b32 v37, v0
.LBB146_10:                             ;   in Loop: Header=BB146_4 Depth=2
	s_or_b32 exec_lo, exec_lo, s11
	; wave barrier
	s_waitcnt lgkmcnt(0)
	s_barrier
	buffer_gl0_inv
	ds_load_2addr_b64 v[4:7], v19 offset0:1 offset1:2
	ds_load_2addr_b64 v[0:3], v22 offset0:2 offset1:3
	s_waitcnt lgkmcnt(1)
	v_add_nc_u32_e32 v38, v5, v4
	s_delay_alu instid0(VALU_DEP_1) | instskip(SKIP_1) | instid1(VALU_DEP_1)
	v_add3_u32 v38, v38, v6, v7
	s_waitcnt lgkmcnt(0)
	v_add3_u32 v38, v38, v0, v1
	s_delay_alu instid0(VALU_DEP_1) | instskip(NEXT) | instid1(VALU_DEP_1)
	v_add3_u32 v3, v38, v2, v3
	v_mov_b32_dpp v38, v3 row_shr:1 row_mask:0xf bank_mask:0xf
	s_delay_alu instid0(VALU_DEP_1) | instskip(NEXT) | instid1(VALU_DEP_1)
	v_cndmask_b32_e64 v38, v38, 0, s0
	v_add_nc_u32_e32 v3, v38, v3
	s_delay_alu instid0(VALU_DEP_1) | instskip(NEXT) | instid1(VALU_DEP_1)
	v_mov_b32_dpp v38, v3 row_shr:2 row_mask:0xf bank_mask:0xf
	v_cndmask_b32_e64 v38, 0, v38, s1
	s_delay_alu instid0(VALU_DEP_1) | instskip(NEXT) | instid1(VALU_DEP_1)
	v_add_nc_u32_e32 v3, v3, v38
	v_mov_b32_dpp v38, v3 row_shr:4 row_mask:0xf bank_mask:0xf
	s_delay_alu instid0(VALU_DEP_1) | instskip(NEXT) | instid1(VALU_DEP_1)
	v_cndmask_b32_e64 v38, 0, v38, s2
	v_add_nc_u32_e32 v3, v3, v38
	s_delay_alu instid0(VALU_DEP_1) | instskip(NEXT) | instid1(VALU_DEP_1)
	v_mov_b32_dpp v38, v3 row_shr:8 row_mask:0xf bank_mask:0xf
	v_cndmask_b32_e64 v38, 0, v38, s3
	s_delay_alu instid0(VALU_DEP_1) | instskip(SKIP_3) | instid1(VALU_DEP_1)
	v_add_nc_u32_e32 v3, v3, v38
	ds_swizzle_b32 v38, v3 offset:swizzle(BROADCAST,32,15)
	s_waitcnt lgkmcnt(0)
	v_cndmask_b32_e64 v38, v38, 0, s4
	v_add_nc_u32_e32 v3, v3, v38
	s_and_saveexec_b32 s11, s5
	s_cbranch_execz .LBB146_12
; %bb.11:                               ;   in Loop: Header=BB146_4 Depth=2
	ds_store_b32 v25, v3
.LBB146_12:                             ;   in Loop: Header=BB146_4 Depth=2
	s_or_b32 exec_lo, exec_lo, s11
	s_waitcnt lgkmcnt(0)
	s_barrier
	buffer_gl0_inv
	s_and_saveexec_b32 s11, s6
	s_cbranch_execz .LBB146_14
; %bb.13:                               ;   in Loop: Header=BB146_4 Depth=2
	ds_load_b32 v38, v26
	s_waitcnt lgkmcnt(0)
	v_mov_b32_dpp v39, v38 row_shr:1 row_mask:0xf bank_mask:0xf
	s_delay_alu instid0(VALU_DEP_1) | instskip(NEXT) | instid1(VALU_DEP_1)
	v_cndmask_b32_e64 v39, v39, 0, s10
	v_add_nc_u32_e32 v38, v39, v38
	ds_store_b32 v26, v38
.LBB146_14:                             ;   in Loop: Header=BB146_4 Depth=2
	s_or_b32 exec_lo, exec_lo, s11
	v_mov_b32_e32 v38, 0
	s_waitcnt lgkmcnt(0)
	s_barrier
	buffer_gl0_inv
	s_and_saveexec_b32 s11, s7
	s_cbranch_execz .LBB146_16
; %bb.15:                               ;   in Loop: Header=BB146_4 Depth=2
	ds_load_b32 v38, v27
.LBB146_16:                             ;   in Loop: Header=BB146_4 Depth=2
	s_or_b32 exec_lo, exec_lo, s11
	s_waitcnt lgkmcnt(0)
	v_add_nc_u32_e32 v3, v38, v3
	s_cmp_gt_u32 s20, 55
	ds_bpermute_b32 v3, v24, v3
	s_waitcnt lgkmcnt(0)
	v_cndmask_b32_e64 v3, v3, v38, s8
	s_delay_alu instid0(VALU_DEP_1) | instskip(NEXT) | instid1(VALU_DEP_1)
	v_cndmask_b32_e64 v3, v3, 0, s9
	v_add_nc_u32_e32 v4, v3, v4
	s_delay_alu instid0(VALU_DEP_1) | instskip(NEXT) | instid1(VALU_DEP_1)
	v_add_nc_u32_e32 v5, v4, v5
	v_add_nc_u32_e32 v6, v5, v6
	s_delay_alu instid0(VALU_DEP_1) | instskip(NEXT) | instid1(VALU_DEP_1)
	v_add_nc_u32_e32 v38, v6, v7
	v_add_nc_u32_e32 v39, v38, v0
	s_delay_alu instid0(VALU_DEP_1) | instskip(NEXT) | instid1(VALU_DEP_1)
	v_add_nc_u32_e32 v0, v39, v1
	v_add_nc_u32_e32 v1, v0, v2
	ds_store_2addr_b64 v19, v[3:4], v[5:6] offset0:1 offset1:2
	ds_store_2addr_b64 v22, v[38:39], v[0:1] offset0:2 offset1:3
	s_waitcnt lgkmcnt(0)
	s_barrier
	buffer_gl0_inv
	ds_load_b32 v0, v34
	ds_load_b32 v1, v37
	;; [unrolled: 1-line block ×3, first 2 shown]
	v_lshlrev_b32_e32 v3, 3, v30
	v_lshlrev_b32_e32 v4, 3, v33
	v_lshlrev_b32_e32 v5, 3, v32
	v_lshlrev_b32_e32 v30, 3, v36
	v_lshlrev_b32_e32 v31, 3, v35
	s_waitcnt lgkmcnt(0)
	v_lshlrev_b32_e32 v0, 3, v0
	v_lshlrev_b32_e32 v1, 3, v1
	v_lshl_add_u32 v6, v2, 3, v3
	s_delay_alu instid0(VALU_DEP_3) | instskip(NEXT) | instid1(VALU_DEP_3)
	v_add3_u32 v7, v4, v5, v0
	v_add3_u32 v30, v30, v31, v1
	s_cbranch_scc0 .LBB146_3
; %bb.17:                               ;   in Loop: Header=BB146_2 Depth=1
                                        ; implicit-def: $sgpr20
                                        ; implicit-def: $vgpr0_vgpr1
                                        ; implicit-def: $vgpr4_vgpr5
                                        ; implicit-def: $sgpr17
                                        ; implicit-def: $sgpr16
	s_branch .LBB146_1
.LBB146_18:
	v_lshlrev_b32_e32 v0, 3, v8
	s_add_u32 s0, s18, s14
	s_addc_u32 s1, s19, s15
	s_clause 0x2
	global_store_b64 v0, v[1:2], s[0:1]
	global_store_b64 v0, v[3:4], s[0:1] offset:512
	global_store_b64 v0, v[5:6], s[0:1] offset:1024
	s_nop 0
	s_sendmsg sendmsg(MSG_DEALLOC_VGPRS)
	s_endpgm
	.section	.rodata,"a",@progbits
	.p2align	6, 0x0
	.amdhsa_kernel _Z16sort_keys_kernelI22helper_blocked_blockedN15benchmark_utils11custom_typeIiiEELj64ELj3ELj10EEvPKT0_PS4_
		.amdhsa_group_segment_fixed_size 2064
		.amdhsa_private_segment_fixed_size 0
		.amdhsa_kernarg_size 272
		.amdhsa_user_sgpr_count 15
		.amdhsa_user_sgpr_dispatch_ptr 0
		.amdhsa_user_sgpr_queue_ptr 0
		.amdhsa_user_sgpr_kernarg_segment_ptr 1
		.amdhsa_user_sgpr_dispatch_id 0
		.amdhsa_user_sgpr_private_segment_size 0
		.amdhsa_wavefront_size32 1
		.amdhsa_uses_dynamic_stack 0
		.amdhsa_enable_private_segment 0
		.amdhsa_system_sgpr_workgroup_id_x 1
		.amdhsa_system_sgpr_workgroup_id_y 0
		.amdhsa_system_sgpr_workgroup_id_z 0
		.amdhsa_system_sgpr_workgroup_info 0
		.amdhsa_system_vgpr_workitem_id 2
		.amdhsa_next_free_vgpr 40
		.amdhsa_next_free_sgpr 26
		.amdhsa_reserve_vcc 1
		.amdhsa_float_round_mode_32 0
		.amdhsa_float_round_mode_16_64 0
		.amdhsa_float_denorm_mode_32 3
		.amdhsa_float_denorm_mode_16_64 3
		.amdhsa_dx10_clamp 1
		.amdhsa_ieee_mode 1
		.amdhsa_fp16_overflow 0
		.amdhsa_workgroup_processor_mode 1
		.amdhsa_memory_ordered 1
		.amdhsa_forward_progress 0
		.amdhsa_shared_vgpr_count 0
		.amdhsa_exception_fp_ieee_invalid_op 0
		.amdhsa_exception_fp_denorm_src 0
		.amdhsa_exception_fp_ieee_div_zero 0
		.amdhsa_exception_fp_ieee_overflow 0
		.amdhsa_exception_fp_ieee_underflow 0
		.amdhsa_exception_fp_ieee_inexact 0
		.amdhsa_exception_int_div_zero 0
	.end_amdhsa_kernel
	.section	.text._Z16sort_keys_kernelI22helper_blocked_blockedN15benchmark_utils11custom_typeIiiEELj64ELj3ELj10EEvPKT0_PS4_,"axG",@progbits,_Z16sort_keys_kernelI22helper_blocked_blockedN15benchmark_utils11custom_typeIiiEELj64ELj3ELj10EEvPKT0_PS4_,comdat
.Lfunc_end146:
	.size	_Z16sort_keys_kernelI22helper_blocked_blockedN15benchmark_utils11custom_typeIiiEELj64ELj3ELj10EEvPKT0_PS4_, .Lfunc_end146-_Z16sort_keys_kernelI22helper_blocked_blockedN15benchmark_utils11custom_typeIiiEELj64ELj3ELj10EEvPKT0_PS4_
                                        ; -- End function
	.section	.AMDGPU.csdata,"",@progbits
; Kernel info:
; codeLenInByte = 2620
; NumSgprs: 28
; NumVgprs: 40
; ScratchSize: 0
; MemoryBound: 0
; FloatMode: 240
; IeeeMode: 1
; LDSByteSize: 2064 bytes/workgroup (compile time only)
; SGPRBlocks: 3
; VGPRBlocks: 4
; NumSGPRsForWavesPerEU: 28
; NumVGPRsForWavesPerEU: 40
; Occupancy: 16
; WaveLimiterHint : 1
; COMPUTE_PGM_RSRC2:SCRATCH_EN: 0
; COMPUTE_PGM_RSRC2:USER_SGPR: 15
; COMPUTE_PGM_RSRC2:TRAP_HANDLER: 0
; COMPUTE_PGM_RSRC2:TGID_X_EN: 1
; COMPUTE_PGM_RSRC2:TGID_Y_EN: 0
; COMPUTE_PGM_RSRC2:TGID_Z_EN: 0
; COMPUTE_PGM_RSRC2:TIDIG_COMP_CNT: 2
	.section	.text._Z17sort_pairs_kernelI22helper_blocked_blockedN15benchmark_utils11custom_typeIiiEELj64ELj3ELj10EEvPKT0_PS4_,"axG",@progbits,_Z17sort_pairs_kernelI22helper_blocked_blockedN15benchmark_utils11custom_typeIiiEELj64ELj3ELj10EEvPKT0_PS4_,comdat
	.protected	_Z17sort_pairs_kernelI22helper_blocked_blockedN15benchmark_utils11custom_typeIiiEELj64ELj3ELj10EEvPKT0_PS4_ ; -- Begin function _Z17sort_pairs_kernelI22helper_blocked_blockedN15benchmark_utils11custom_typeIiiEELj64ELj3ELj10EEvPKT0_PS4_
	.globl	_Z17sort_pairs_kernelI22helper_blocked_blockedN15benchmark_utils11custom_typeIiiEELj64ELj3ELj10EEvPKT0_PS4_
	.p2align	8
	.type	_Z17sort_pairs_kernelI22helper_blocked_blockedN15benchmark_utils11custom_typeIiiEELj64ELj3ELj10EEvPKT0_PS4_,@function
_Z17sort_pairs_kernelI22helper_blocked_blockedN15benchmark_utils11custom_typeIiiEELj64ELj3ELj10EEvPKT0_PS4_: ; @_Z17sort_pairs_kernelI22helper_blocked_blockedN15benchmark_utils11custom_typeIiiEELj64ELj3ELj10EEvPKT0_PS4_
; %bb.0:
	s_clause 0x1
	s_load_b128 s[16:19], s[0:1], 0x0
	s_load_b32 s10, s[0:1], 0x1c
	s_mov_b32 s21, 0
	s_mul_i32 s20, s15, 0xc0
	v_mbcnt_lo_u32_b32 v5, -1, 0
	s_lshl_b64 s[14:15], s[20:21], 3
	s_mov_b32 s20, s21
	s_delay_alu instid0(SALU_CYCLE_1) | instskip(NEXT) | instid1(VALU_DEP_2)
	v_dual_mov_b32 v9, s20 :: v_dual_and_b32 v8, 0x3ff, v0
	v_dual_mov_b32 v10, s21 :: v_dual_and_b32 v11, 1, v5
	s_mov_b32 s12, s21
	s_delay_alu instid0(VALU_DEP_2)
	v_lshlrev_b32_e32 v3, 3, v8
	v_lshrrev_b32_e32 v12, 5, v8
	s_mov_b32 s13, s21
	v_cmp_eq_u32_e64 s9, 0, v11
	v_add_nc_u32_e32 v7, -1, v5
	v_and_b32_e32 v4, 15, v5
	v_mul_u32_u24_e32 v11, 0x60, v12
	v_lshlrev_b32_e32 v32, 2, v12
	s_waitcnt lgkmcnt(0)
	s_add_u32 s0, s16, s14
	s_addc_u32 s1, s17, s15
	v_and_b32_e32 v6, 16, v5
	s_clause 0x2
	global_load_b64 v[1:2], v3, s[0:1]
	global_load_b64 v[15:16], v3, s[0:1] offset:512
	global_load_b64 v[13:14], v3, s[0:1] offset:1024
	v_lshlrev_b32_e32 v12, 3, v11
	v_or_b32_e32 v11, v5, v11
	v_bfe_u32 v3, v0, 10, 10
	v_bfe_u32 v0, v0, 20, 10
	v_cmp_eq_u32_e64 s5, 0, v6
	v_mad_u32_u24 v36, v5, 24, v12
	v_lshlrev_b32_e32 v37, 3, v11
	v_dual_mov_b32 v11, s12 :: v_dual_mov_b32 v12, s13
	v_cmp_gt_i32_e32 vcc_lo, 0, v7
	v_lshlrev_b32_e32 v29, 5, v8
	v_cmp_eq_u32_e64 s1, 0, v4
	v_cmp_lt_u32_e64 s2, 1, v4
	v_cmp_lt_u32_e64 s3, 3, v4
	v_cndmask_b32_e32 v6, v7, v5, vcc_lo
	v_cmp_lt_u32_e64 s4, 7, v4
	v_and_b32_e32 v4, 32, v8
	s_lshr_b32 s11, s10, 16
	s_and_b32 s10, s10, 0xffff
	v_mad_u32_u24 v0, v0, s11, v3
	v_lshlrev_b32_e32 v31, 2, v6
	v_mul_u32_u24_e32 v6, 3, v4
	v_or_b32_e32 v17, 31, v4
	v_mul_u32_u24_e32 v7, 20, v8
	v_mad_u64_u32 v[3:4], null, v0, s10, v[8:9]
	v_mad_i32_i24 v33, 0xffffffe4, v8, v29
	v_or_b32_e32 v0, v5, v6
	v_cmp_eq_u32_e64 s0, 0, v5
	v_cmp_gt_u32_e64 s6, 2, v8
	v_cmp_lt_u32_e64 s7, 31, v8
	v_cmp_eq_u32_e64 s8, 0, v8
	v_or_b32_e32 v30, 8, v29
	v_cmp_eq_u32_e64 s10, v17, v8
	v_add_nc_u32_e32 v34, -4, v32
	v_add_nc_u32_e32 v35, v33, v7
	v_lshlrev_b32_e32 v38, 3, v0
	v_lshrrev_b32_e32 v39, 5, v3
	s_waitcnt vmcnt(2)
	v_add_nc_u32_e32 v5, 1, v2
	v_add_nc_u32_e32 v4, 1, v1
	s_waitcnt vmcnt(1)
	v_add_nc_u32_e32 v7, 1, v16
	v_add_nc_u32_e32 v6, 1, v15
	;; [unrolled: 3-line block ×3, first 2 shown]
	s_branch .LBB147_2
.LBB147_1:                              ;   in Loop: Header=BB147_2 Depth=1
	s_barrier
	buffer_gl0_inv
	ds_store_b64 v40, v[13:14]
	ds_store_b64 v41, v[23:24]
	ds_store_b64 v42, v[21:22]
	s_waitcnt lgkmcnt(0)
	s_barrier
	buffer_gl0_inv
	ds_load_2addr_b64 v[21:24], v35 offset1:1
	ds_load_b64 v[13:14], v35 offset:16
	s_waitcnt lgkmcnt(0)
	s_barrier
	buffer_gl0_inv
	ds_store_b64 v40, v[17:18]
	ds_store_b64 v41, v[15:16]
	;; [unrolled: 1-line block ×3, first 2 shown]
	s_waitcnt lgkmcnt(0)
	s_barrier
	buffer_gl0_inv
	ds_load_2addr_b64 v[4:7], v35 offset1:1
	ds_load_b64 v[17:18], v35 offset:16
	s_add_i32 s21, s21, 1
	s_delay_alu instid0(SALU_CYCLE_1)
	s_cmp_lg_u32 s21, 10
	v_xor_b32_e32 v1, 0x80000000, v21
	v_xor_b32_e32 v2, 0x80000000, v22
	;; [unrolled: 1-line block ×6, first 2 shown]
	s_cbranch_scc0 .LBB147_18
.LBB147_2:                              ; =>This Loop Header: Depth=1
                                        ;     Child Loop BB147_4 Depth 2
	v_xor_b32_e32 v2, 0x80000000, v2
	v_xor_b32_e32 v1, 0x80000000, v1
	v_xor_b32_e32 v16, 0x80000000, v16
	v_xor_b32_e32 v15, 0x80000000, v15
	v_xor_b32_e32 v14, 0x80000000, v14
	v_xor_b32_e32 v13, 0x80000000, v13
	ds_store_2addr_b64 v36, v[1:2], v[15:16] offset1:1
	ds_store_b64 v36, v[13:14] offset:16
	; wave barrier
	ds_load_2addr_b64 v[0:3], v37 offset1:32
	ds_load_b64 v[25:26], v37 offset:512
	; wave barrier
	s_waitcnt lgkmcnt(5)
	ds_store_2addr_b64 v36, v[4:5], v[6:7] offset1:1
	s_waitcnt lgkmcnt(5)
	ds_store_b64 v36, v[17:18] offset:16
	; wave barrier
	ds_load_2addr_b64 v[4:7], v37 offset1:32
	ds_load_b64 v[27:28], v37 offset:512
	s_mov_b32 s16, 8
	s_mov_b32 s17, 32
	s_mov_b32 s20, 0
	s_waitcnt lgkmcnt(0)
	s_barrier
	s_branch .LBB147_4
.LBB147_3:                              ;   in Loop: Header=BB147_4 Depth=2
	s_barrier
	buffer_gl0_inv
	ds_store_b64 v40, v[13:14]
	ds_store_b64 v41, v[23:24]
	;; [unrolled: 1-line block ×3, first 2 shown]
	s_waitcnt lgkmcnt(0)
	s_barrier
	buffer_gl0_inv
	ds_load_2addr_b64 v[0:3], v38 offset1:32
	ds_load_b64 v[25:26], v38 offset:512
	s_waitcnt lgkmcnt(0)
	s_barrier
	buffer_gl0_inv
	ds_store_b64 v40, v[17:18]
	ds_store_b64 v41, v[15:16]
	;; [unrolled: 1-line block ×3, first 2 shown]
	s_waitcnt lgkmcnt(0)
	s_barrier
	buffer_gl0_inv
	ds_load_2addr_b64 v[4:7], v38 offset1:32
	ds_load_b64 v[27:28], v38 offset:512
	s_add_i32 s17, s17, -8
	s_add_i32 s16, s16, 8
	s_add_i32 s20, s20, 8
	s_waitcnt lgkmcnt(0)
	s_barrier
	s_cbranch_execz .LBB147_1
.LBB147_4:                              ;   Parent Loop BB147_2 Depth=1
                                        ; =>  This Inner Loop Header: Depth=2
	s_min_i32 s12, s16, 32
	s_cmp_lt_u32 s20, 32
	v_dual_mov_b32 v14, v1 :: v_dual_mov_b32 v13, v0
	s_cselect_b32 vcc_lo, -1, 0
	s_cmp_gt_u32 s20, 24
	buffer_gl0_inv
	s_cselect_b32 s11, -1, 0
	s_sub_i32 s12, s12, 32
	v_lshrrev_b32_e32 v1, s20, v14
	s_add_i32 s13, s12, s17
	ds_store_2addr_b64 v29, v[9:10], v[11:12] offset0:1 offset1:2
	ds_store_2addr_b64 v30, v[9:10], v[11:12] offset0:2 offset1:3
	s_lshl_b32 s13, -1, s13
	s_waitcnt lgkmcnt(0)
	s_not_b32 s13, s13
	s_cmp_lg_u32 s12, s20
	s_barrier
	s_cselect_b32 s22, s13, -1
	s_max_i32 s23, s17, 0
	s_max_i32 s12, s20, 32
	v_and_b32_e32 v1, s22, v1
	s_sub_i32 s13, s12, s23
	s_sub_i32 s24, s12, 32
	;; [unrolled: 1-line block ×3, first 2 shown]
	v_lshrrev_b32_e32 v0, s24, v13
	s_min_i32 s12, s13, 32
	buffer_gl0_inv
	s_sub_i32 s12, s12, s24
	s_delay_alu instid0(SALU_CYCLE_1) | instskip(NEXT) | instid1(SALU_CYCLE_1)
	s_lshl_b32 s13, -1, s12
	; wave barrier
	s_not_b32 s13, s13
	s_cmp_lg_u32 s12, 32
	v_cndmask_b32_e32 v1, 0, v1, vcc_lo
	s_cselect_b32 s25, s13, -1
	v_mov_b32_e32 v24, v3
	v_dual_mov_b32 v23, v2 :: v_dual_and_b32 v0, s25, v0
	s_delay_alu instid0(VALU_DEP_1) | instskip(NEXT) | instid1(VALU_DEP_1)
	v_lshlrev_b32_e32 v0, s23, v0
	v_cndmask_b32_e64 v0, 0, v0, s11
	s_delay_alu instid0(VALU_DEP_1) | instskip(NEXT) | instid1(VALU_DEP_1)
	v_or_b32_e32 v1, v1, v0
	v_and_b32_e32 v0, 1, v1
	v_lshlrev_b32_e32 v15, 30, v1
	v_lshlrev_b32_e32 v16, 29, v1
	;; [unrolled: 1-line block ×4, first 2 shown]
	v_add_co_u32 v0, s12, v0, -1
	s_delay_alu instid0(VALU_DEP_1)
	v_cndmask_b32_e64 v18, 0, 1, s12
	v_not_b32_e32 v22, v15
	v_cmp_gt_i32_e64 s13, 0, v15
	v_not_b32_e32 v15, v16
	v_lshlrev_b32_e32 v20, 26, v1
	v_cmp_ne_u32_e64 s12, 0, v18
	v_ashrrev_i32_e32 v22, 31, v22
	v_lshlrev_b32_e32 v21, 25, v1
	v_ashrrev_i32_e32 v15, 31, v15
	v_lshlrev_b32_e32 v18, 24, v1
	v_xor_b32_e32 v0, s12, v0
	v_cmp_gt_i32_e64 s12, 0, v16
	v_not_b32_e32 v16, v17
	v_xor_b32_e32 v22, s13, v22
	v_cmp_gt_i32_e64 s13, 0, v17
	v_and_b32_e32 v0, exec_lo, v0
	v_not_b32_e32 v17, v19
	v_ashrrev_i32_e32 v16, 31, v16
	v_xor_b32_e32 v15, s12, v15
	v_cmp_gt_i32_e64 s12, 0, v19
	v_and_b32_e32 v0, v0, v22
	v_not_b32_e32 v19, v20
	v_ashrrev_i32_e32 v17, 31, v17
	v_xor_b32_e32 v16, s13, v16
	v_cmp_gt_i32_e64 s13, 0, v20
	v_and_b32_e32 v0, v0, v15
	v_not_b32_e32 v15, v21
	v_ashrrev_i32_e32 v19, 31, v19
	v_xor_b32_e32 v17, s12, v17
	v_cmp_gt_i32_e64 s12, 0, v21
	v_dual_mov_b32 v21, v25 :: v_dual_and_b32 v0, v0, v16
	v_not_b32_e32 v16, v18
	v_ashrrev_i32_e32 v15, 31, v15
	v_xor_b32_e32 v19, s13, v19
	v_cmp_gt_i32_e64 s13, 0, v18
	v_and_b32_e32 v0, v0, v17
	v_ashrrev_i32_e32 v16, 31, v16
	v_xor_b32_e32 v15, s12, v15
	v_mov_b32_e32 v22, v26
	v_lshl_add_u32 v1, v1, 1, v39
	v_and_b32_e32 v0, v0, v19
	v_xor_b32_e32 v19, s13, v16
	v_dual_mov_b32 v18, v5 :: v_dual_mov_b32 v17, v4
	s_delay_alu instid0(VALU_DEP_4) | instskip(NEXT) | instid1(VALU_DEP_4)
	v_lshl_add_u32 v26, v1, 2, 8
	v_and_b32_e32 v0, v0, v15
	v_dual_mov_b32 v16, v7 :: v_dual_mov_b32 v15, v6
	s_delay_alu instid0(VALU_DEP_2) | instskip(SKIP_1) | instid1(VALU_DEP_2)
	v_dual_mov_b32 v19, v27 :: v_dual_and_b32 v0, v0, v19
	v_mov_b32_e32 v20, v28
	v_mbcnt_lo_u32_b32 v25, v0, 0
	v_cmp_ne_u32_e64 s13, 0, v0
	s_delay_alu instid0(VALU_DEP_2) | instskip(NEXT) | instid1(VALU_DEP_1)
	v_cmp_eq_u32_e64 s12, 0, v25
	s_and_b32 s13, s12, s13
	s_delay_alu instid0(SALU_CYCLE_1)
	s_and_saveexec_b32 s12, s13
	s_cbranch_execz .LBB147_6
; %bb.5:                                ;   in Loop: Header=BB147_4 Depth=2
	v_bcnt_u32_b32 v0, v0, 0
	ds_store_b32 v26, v0
.LBB147_6:                              ;   in Loop: Header=BB147_4 Depth=2
	s_or_b32 exec_lo, exec_lo, s12
	v_lshrrev_b32_e32 v0, s24, v23
	v_lshrrev_b32_e32 v1, s20, v24
	; wave barrier
	s_delay_alu instid0(VALU_DEP_1) | instskip(NEXT) | instid1(VALU_DEP_1)
	v_and_b32_e32 v1, s22, v1
	v_dual_cndmask_b32 v1, 0, v1 :: v_dual_and_b32 v0, s25, v0
	s_delay_alu instid0(VALU_DEP_1) | instskip(NEXT) | instid1(VALU_DEP_1)
	v_lshlrev_b32_e32 v0, s23, v0
	v_cndmask_b32_e64 v0, 0, v0, s11
	s_delay_alu instid0(VALU_DEP_1) | instskip(NEXT) | instid1(VALU_DEP_1)
	v_or_b32_e32 v0, v1, v0
	v_and_b32_e32 v1, 1, v0
	v_lshlrev_b32_e32 v2, 30, v0
	v_lshlrev_b32_e32 v3, 29, v0
	;; [unrolled: 1-line block ×4, first 2 shown]
	v_add_co_u32 v1, s12, v1, -1
	s_delay_alu instid0(VALU_DEP_1)
	v_cndmask_b32_e64 v5, 0, 1, s12
	v_not_b32_e32 v28, v2
	v_cmp_gt_i32_e64 s13, 0, v2
	v_not_b32_e32 v2, v3
	v_lshlrev_b32_e32 v7, 26, v0
	v_cmp_ne_u32_e64 s12, 0, v5
	v_ashrrev_i32_e32 v28, 31, v28
	v_lshlrev_b32_e32 v27, 25, v0
	v_ashrrev_i32_e32 v2, 31, v2
	v_lshlrev_b32_e32 v5, 24, v0
	v_xor_b32_e32 v1, s12, v1
	v_cmp_gt_i32_e64 s12, 0, v3
	v_not_b32_e32 v3, v4
	v_xor_b32_e32 v28, s13, v28
	v_cmp_gt_i32_e64 s13, 0, v4
	v_and_b32_e32 v1, exec_lo, v1
	v_not_b32_e32 v4, v6
	v_ashrrev_i32_e32 v3, 31, v3
	v_xor_b32_e32 v2, s12, v2
	v_cmp_gt_i32_e64 s12, 0, v6
	v_and_b32_e32 v1, v1, v28
	v_not_b32_e32 v6, v7
	v_ashrrev_i32_e32 v4, 31, v4
	v_xor_b32_e32 v3, s13, v3
	v_cmp_gt_i32_e64 s13, 0, v7
	v_and_b32_e32 v1, v1, v2
	v_not_b32_e32 v2, v27
	v_ashrrev_i32_e32 v6, 31, v6
	v_xor_b32_e32 v4, s12, v4
	v_cmp_gt_i32_e64 s12, 0, v27
	v_and_b32_e32 v1, v1, v3
	v_not_b32_e32 v3, v5
	v_ashrrev_i32_e32 v2, 31, v2
	v_xor_b32_e32 v6, s13, v6
	v_lshlrev_b32_e32 v0, 1, v0
	v_and_b32_e32 v1, v1, v4
	v_cmp_gt_i32_e64 s13, 0, v5
	v_ashrrev_i32_e32 v3, 31, v3
	v_xor_b32_e32 v2, s12, v2
	v_add_lshl_u32 v4, v0, v39, 2
	v_and_b32_e32 v1, v1, v6
	s_delay_alu instid0(VALU_DEP_4) | instskip(SKIP_3) | instid1(VALU_DEP_2)
	v_xor_b32_e32 v0, s13, v3
	ds_load_b32 v27, v4 offset:8
	v_and_b32_e32 v1, v1, v2
	v_add_nc_u32_e32 v40, 8, v4
	; wave barrier
	v_and_b32_e32 v0, v1, v0
	s_delay_alu instid0(VALU_DEP_1) | instskip(SKIP_1) | instid1(VALU_DEP_2)
	v_mbcnt_lo_u32_b32 v28, v0, 0
	v_cmp_ne_u32_e64 s13, 0, v0
	v_cmp_eq_u32_e64 s12, 0, v28
	s_delay_alu instid0(VALU_DEP_1) | instskip(NEXT) | instid1(SALU_CYCLE_1)
	s_and_b32 s13, s12, s13
	s_and_saveexec_b32 s12, s13
	s_cbranch_execz .LBB147_8
; %bb.7:                                ;   in Loop: Header=BB147_4 Depth=2
	s_waitcnt lgkmcnt(0)
	v_bcnt_u32_b32 v0, v0, v27
	ds_store_b32 v40, v0
.LBB147_8:                              ;   in Loop: Header=BB147_4 Depth=2
	s_or_b32 exec_lo, exec_lo, s12
	v_lshrrev_b32_e32 v0, s24, v21
	v_lshrrev_b32_e32 v1, s20, v22
	; wave barrier
	s_delay_alu instid0(VALU_DEP_1) | instskip(NEXT) | instid1(VALU_DEP_1)
	v_and_b32_e32 v1, s22, v1
	v_dual_cndmask_b32 v1, 0, v1 :: v_dual_and_b32 v0, s25, v0
	s_delay_alu instid0(VALU_DEP_1) | instskip(NEXT) | instid1(VALU_DEP_1)
	v_lshlrev_b32_e32 v0, s23, v0
	v_cndmask_b32_e64 v0, 0, v0, s11
	s_delay_alu instid0(VALU_DEP_1) | instskip(NEXT) | instid1(VALU_DEP_1)
	v_or_b32_e32 v0, v1, v0
	v_and_b32_e32 v1, 1, v0
	v_lshlrev_b32_e32 v2, 30, v0
	v_lshlrev_b32_e32 v3, 29, v0
	;; [unrolled: 1-line block ×4, first 2 shown]
	v_add_co_u32 v1, s11, v1, -1
	s_delay_alu instid0(VALU_DEP_1)
	v_cndmask_b32_e64 v5, 0, 1, s11
	v_not_b32_e32 v42, v2
	v_cmp_gt_i32_e64 s11, 0, v2
	v_not_b32_e32 v2, v3
	v_lshlrev_b32_e32 v7, 26, v0
	v_cmp_ne_u32_e32 vcc_lo, 0, v5
	v_ashrrev_i32_e32 v42, 31, v42
	v_lshlrev_b32_e32 v41, 25, v0
	v_ashrrev_i32_e32 v2, 31, v2
	v_lshlrev_b32_e32 v5, 24, v0
	v_xor_b32_e32 v1, vcc_lo, v1
	v_cmp_gt_i32_e32 vcc_lo, 0, v3
	v_not_b32_e32 v3, v4
	v_xor_b32_e32 v42, s11, v42
	v_cmp_gt_i32_e64 s11, 0, v4
	v_and_b32_e32 v1, exec_lo, v1
	v_not_b32_e32 v4, v6
	v_ashrrev_i32_e32 v3, 31, v3
	v_xor_b32_e32 v2, vcc_lo, v2
	v_cmp_gt_i32_e32 vcc_lo, 0, v6
	v_and_b32_e32 v1, v1, v42
	v_not_b32_e32 v6, v7
	v_ashrrev_i32_e32 v4, 31, v4
	v_xor_b32_e32 v3, s11, v3
	v_cmp_gt_i32_e64 s11, 0, v7
	v_and_b32_e32 v1, v1, v2
	v_not_b32_e32 v2, v41
	v_ashrrev_i32_e32 v6, 31, v6
	v_xor_b32_e32 v4, vcc_lo, v4
	v_cmp_gt_i32_e32 vcc_lo, 0, v41
	v_and_b32_e32 v1, v1, v3
	v_not_b32_e32 v3, v5
	v_ashrrev_i32_e32 v2, 31, v2
	v_xor_b32_e32 v6, s11, v6
	v_lshlrev_b32_e32 v0, 1, v0
	v_and_b32_e32 v1, v1, v4
	v_cmp_gt_i32_e64 s11, 0, v5
	v_ashrrev_i32_e32 v3, 31, v3
	v_xor_b32_e32 v2, vcc_lo, v2
	v_add_lshl_u32 v4, v0, v39, 2
	v_and_b32_e32 v1, v1, v6
	s_delay_alu instid0(VALU_DEP_4) | instskip(SKIP_3) | instid1(VALU_DEP_2)
	v_xor_b32_e32 v0, s11, v3
	ds_load_b32 v41, v4 offset:8
	v_and_b32_e32 v1, v1, v2
	v_add_nc_u32_e32 v43, 8, v4
	; wave barrier
	v_and_b32_e32 v0, v1, v0
	s_delay_alu instid0(VALU_DEP_1) | instskip(SKIP_1) | instid1(VALU_DEP_2)
	v_mbcnt_lo_u32_b32 v42, v0, 0
	v_cmp_ne_u32_e64 s11, 0, v0
	v_cmp_eq_u32_e32 vcc_lo, 0, v42
	s_delay_alu instid0(VALU_DEP_2) | instskip(NEXT) | instid1(SALU_CYCLE_1)
	s_and_b32 s12, vcc_lo, s11
	s_and_saveexec_b32 s11, s12
	s_cbranch_execz .LBB147_10
; %bb.9:                                ;   in Loop: Header=BB147_4 Depth=2
	s_waitcnt lgkmcnt(0)
	v_bcnt_u32_b32 v0, v0, v41
	ds_store_b32 v43, v0
.LBB147_10:                             ;   in Loop: Header=BB147_4 Depth=2
	s_or_b32 exec_lo, exec_lo, s11
	; wave barrier
	s_waitcnt lgkmcnt(0)
	s_barrier
	buffer_gl0_inv
	ds_load_2addr_b64 v[4:7], v29 offset0:1 offset1:2
	ds_load_2addr_b64 v[0:3], v30 offset0:2 offset1:3
	s_waitcnt lgkmcnt(1)
	v_add_nc_u32_e32 v44, v5, v4
	s_delay_alu instid0(VALU_DEP_1) | instskip(SKIP_1) | instid1(VALU_DEP_1)
	v_add3_u32 v44, v44, v6, v7
	s_waitcnt lgkmcnt(0)
	v_add3_u32 v44, v44, v0, v1
	s_delay_alu instid0(VALU_DEP_1) | instskip(NEXT) | instid1(VALU_DEP_1)
	v_add3_u32 v3, v44, v2, v3
	v_mov_b32_dpp v44, v3 row_shr:1 row_mask:0xf bank_mask:0xf
	s_delay_alu instid0(VALU_DEP_1) | instskip(NEXT) | instid1(VALU_DEP_1)
	v_cndmask_b32_e64 v44, v44, 0, s1
	v_add_nc_u32_e32 v3, v44, v3
	s_delay_alu instid0(VALU_DEP_1) | instskip(NEXT) | instid1(VALU_DEP_1)
	v_mov_b32_dpp v44, v3 row_shr:2 row_mask:0xf bank_mask:0xf
	v_cndmask_b32_e64 v44, 0, v44, s2
	s_delay_alu instid0(VALU_DEP_1) | instskip(NEXT) | instid1(VALU_DEP_1)
	v_add_nc_u32_e32 v3, v3, v44
	v_mov_b32_dpp v44, v3 row_shr:4 row_mask:0xf bank_mask:0xf
	s_delay_alu instid0(VALU_DEP_1) | instskip(NEXT) | instid1(VALU_DEP_1)
	v_cndmask_b32_e64 v44, 0, v44, s3
	v_add_nc_u32_e32 v3, v3, v44
	s_delay_alu instid0(VALU_DEP_1) | instskip(NEXT) | instid1(VALU_DEP_1)
	v_mov_b32_dpp v44, v3 row_shr:8 row_mask:0xf bank_mask:0xf
	v_cndmask_b32_e64 v44, 0, v44, s4
	s_delay_alu instid0(VALU_DEP_1) | instskip(SKIP_3) | instid1(VALU_DEP_1)
	v_add_nc_u32_e32 v3, v3, v44
	ds_swizzle_b32 v44, v3 offset:swizzle(BROADCAST,32,15)
	s_waitcnt lgkmcnt(0)
	v_cndmask_b32_e64 v44, v44, 0, s5
	v_add_nc_u32_e32 v3, v3, v44
	s_and_saveexec_b32 s11, s10
	s_cbranch_execz .LBB147_12
; %bb.11:                               ;   in Loop: Header=BB147_4 Depth=2
	ds_store_b32 v32, v3
.LBB147_12:                             ;   in Loop: Header=BB147_4 Depth=2
	s_or_b32 exec_lo, exec_lo, s11
	s_waitcnt lgkmcnt(0)
	s_barrier
	buffer_gl0_inv
	s_and_saveexec_b32 s11, s6
	s_cbranch_execz .LBB147_14
; %bb.13:                               ;   in Loop: Header=BB147_4 Depth=2
	ds_load_b32 v44, v33
	s_waitcnt lgkmcnt(0)
	v_mov_b32_dpp v45, v44 row_shr:1 row_mask:0xf bank_mask:0xf
	s_delay_alu instid0(VALU_DEP_1) | instskip(NEXT) | instid1(VALU_DEP_1)
	v_cndmask_b32_e64 v45, v45, 0, s9
	v_add_nc_u32_e32 v44, v45, v44
	ds_store_b32 v33, v44
.LBB147_14:                             ;   in Loop: Header=BB147_4 Depth=2
	s_or_b32 exec_lo, exec_lo, s11
	v_mov_b32_e32 v44, 0
	s_waitcnt lgkmcnt(0)
	s_barrier
	buffer_gl0_inv
	s_and_saveexec_b32 s11, s7
	s_cbranch_execz .LBB147_16
; %bb.15:                               ;   in Loop: Header=BB147_4 Depth=2
	ds_load_b32 v44, v34
.LBB147_16:                             ;   in Loop: Header=BB147_4 Depth=2
	s_or_b32 exec_lo, exec_lo, s11
	s_waitcnt lgkmcnt(0)
	v_add_nc_u32_e32 v3, v44, v3
	s_cmp_gt_u32 s20, 55
	ds_bpermute_b32 v3, v31, v3
	s_waitcnt lgkmcnt(0)
	v_cndmask_b32_e64 v3, v3, v44, s0
	s_delay_alu instid0(VALU_DEP_1) | instskip(NEXT) | instid1(VALU_DEP_1)
	v_cndmask_b32_e64 v3, v3, 0, s8
	v_add_nc_u32_e32 v4, v3, v4
	s_delay_alu instid0(VALU_DEP_1) | instskip(NEXT) | instid1(VALU_DEP_1)
	v_add_nc_u32_e32 v5, v4, v5
	v_add_nc_u32_e32 v6, v5, v6
	s_delay_alu instid0(VALU_DEP_1) | instskip(SKIP_1) | instid1(VALU_DEP_2)
	v_add_nc_u32_e32 v44, v6, v7
	v_lshlrev_b32_e32 v7, 3, v41
	v_add_nc_u32_e32 v45, v44, v0
	s_delay_alu instid0(VALU_DEP_1) | instskip(NEXT) | instid1(VALU_DEP_1)
	v_add_nc_u32_e32 v0, v45, v1
	v_add_nc_u32_e32 v1, v0, v2
	ds_store_2addr_b64 v29, v[3:4], v[5:6] offset0:1 offset1:2
	ds_store_2addr_b64 v30, v[44:45], v[0:1] offset0:2 offset1:3
	s_waitcnt lgkmcnt(0)
	s_barrier
	buffer_gl0_inv
	ds_load_b32 v0, v40
	ds_load_b32 v1, v43
	;; [unrolled: 1-line block ×3, first 2 shown]
	v_lshlrev_b32_e32 v3, 3, v25
	v_lshlrev_b32_e32 v4, 3, v28
	;; [unrolled: 1-line block ×4, first 2 shown]
	s_waitcnt lgkmcnt(0)
	v_lshlrev_b32_e32 v0, 3, v0
	v_lshlrev_b32_e32 v1, 3, v1
	v_lshl_add_u32 v40, v2, 3, v3
	s_delay_alu instid0(VALU_DEP_3) | instskip(NEXT) | instid1(VALU_DEP_3)
	v_add3_u32 v41, v4, v5, v0
	v_add3_u32 v42, v6, v7, v1
	s_cbranch_scc0 .LBB147_3
; %bb.17:                               ;   in Loop: Header=BB147_2 Depth=1
                                        ; implicit-def: $sgpr20
                                        ; implicit-def: $vgpr4_vgpr5
                                        ; implicit-def: $vgpr27_vgpr28
                                        ; implicit-def: $vgpr0_vgpr1
                                        ; implicit-def: $vgpr25_vgpr26
                                        ; implicit-def: $sgpr17
                                        ; implicit-def: $sgpr16
	s_branch .LBB147_1
.LBB147_18:
	s_waitcnt lgkmcnt(1)
	v_add_nc_u32_e32 v0, v1, v4
	v_add_nc_u32_e32 v1, v2, v5
	;; [unrolled: 1-line block ×3, first 2 shown]
	v_lshlrev_b32_e32 v6, 3, v8
	v_add_nc_u32_e32 v3, v16, v7
	s_waitcnt lgkmcnt(0)
	v_add_nc_u32_e32 v4, v13, v17
	v_add_nc_u32_e32 v5, v14, v18
	s_add_u32 s0, s18, s14
	s_addc_u32 s1, s19, s15
	s_clause 0x2
	global_store_b64 v6, v[0:1], s[0:1]
	global_store_b64 v6, v[2:3], s[0:1] offset:512
	global_store_b64 v6, v[4:5], s[0:1] offset:1024
	s_nop 0
	s_sendmsg sendmsg(MSG_DEALLOC_VGPRS)
	s_endpgm
	.section	.rodata,"a",@progbits
	.p2align	6, 0x0
	.amdhsa_kernel _Z17sort_pairs_kernelI22helper_blocked_blockedN15benchmark_utils11custom_typeIiiEELj64ELj3ELj10EEvPKT0_PS4_
		.amdhsa_group_segment_fixed_size 2064
		.amdhsa_private_segment_fixed_size 0
		.amdhsa_kernarg_size 272
		.amdhsa_user_sgpr_count 15
		.amdhsa_user_sgpr_dispatch_ptr 0
		.amdhsa_user_sgpr_queue_ptr 0
		.amdhsa_user_sgpr_kernarg_segment_ptr 1
		.amdhsa_user_sgpr_dispatch_id 0
		.amdhsa_user_sgpr_private_segment_size 0
		.amdhsa_wavefront_size32 1
		.amdhsa_uses_dynamic_stack 0
		.amdhsa_enable_private_segment 0
		.amdhsa_system_sgpr_workgroup_id_x 1
		.amdhsa_system_sgpr_workgroup_id_y 0
		.amdhsa_system_sgpr_workgroup_id_z 0
		.amdhsa_system_sgpr_workgroup_info 0
		.amdhsa_system_vgpr_workitem_id 2
		.amdhsa_next_free_vgpr 46
		.amdhsa_next_free_sgpr 26
		.amdhsa_reserve_vcc 1
		.amdhsa_float_round_mode_32 0
		.amdhsa_float_round_mode_16_64 0
		.amdhsa_float_denorm_mode_32 3
		.amdhsa_float_denorm_mode_16_64 3
		.amdhsa_dx10_clamp 1
		.amdhsa_ieee_mode 1
		.amdhsa_fp16_overflow 0
		.amdhsa_workgroup_processor_mode 1
		.amdhsa_memory_ordered 1
		.amdhsa_forward_progress 0
		.amdhsa_shared_vgpr_count 0
		.amdhsa_exception_fp_ieee_invalid_op 0
		.amdhsa_exception_fp_denorm_src 0
		.amdhsa_exception_fp_ieee_div_zero 0
		.amdhsa_exception_fp_ieee_overflow 0
		.amdhsa_exception_fp_ieee_underflow 0
		.amdhsa_exception_fp_ieee_inexact 0
		.amdhsa_exception_int_div_zero 0
	.end_amdhsa_kernel
	.section	.text._Z17sort_pairs_kernelI22helper_blocked_blockedN15benchmark_utils11custom_typeIiiEELj64ELj3ELj10EEvPKT0_PS4_,"axG",@progbits,_Z17sort_pairs_kernelI22helper_blocked_blockedN15benchmark_utils11custom_typeIiiEELj64ELj3ELj10EEvPKT0_PS4_,comdat
.Lfunc_end147:
	.size	_Z17sort_pairs_kernelI22helper_blocked_blockedN15benchmark_utils11custom_typeIiiEELj64ELj3ELj10EEvPKT0_PS4_, .Lfunc_end147-_Z17sort_pairs_kernelI22helper_blocked_blockedN15benchmark_utils11custom_typeIiiEELj64ELj3ELj10EEvPKT0_PS4_
                                        ; -- End function
	.section	.AMDGPU.csdata,"",@progbits
; Kernel info:
; codeLenInByte = 2852
; NumSgprs: 28
; NumVgprs: 46
; ScratchSize: 0
; MemoryBound: 0
; FloatMode: 240
; IeeeMode: 1
; LDSByteSize: 2064 bytes/workgroup (compile time only)
; SGPRBlocks: 3
; VGPRBlocks: 5
; NumSGPRsForWavesPerEU: 28
; NumVGPRsForWavesPerEU: 46
; Occupancy: 16
; WaveLimiterHint : 1
; COMPUTE_PGM_RSRC2:SCRATCH_EN: 0
; COMPUTE_PGM_RSRC2:USER_SGPR: 15
; COMPUTE_PGM_RSRC2:TRAP_HANDLER: 0
; COMPUTE_PGM_RSRC2:TGID_X_EN: 1
; COMPUTE_PGM_RSRC2:TGID_Y_EN: 0
; COMPUTE_PGM_RSRC2:TGID_Z_EN: 0
; COMPUTE_PGM_RSRC2:TIDIG_COMP_CNT: 2
	.section	.text._Z16sort_keys_kernelI22helper_blocked_blockedN15benchmark_utils11custom_typeIiiEELj64ELj4ELj10EEvPKT0_PS4_,"axG",@progbits,_Z16sort_keys_kernelI22helper_blocked_blockedN15benchmark_utils11custom_typeIiiEELj64ELj4ELj10EEvPKT0_PS4_,comdat
	.protected	_Z16sort_keys_kernelI22helper_blocked_blockedN15benchmark_utils11custom_typeIiiEELj64ELj4ELj10EEvPKT0_PS4_ ; -- Begin function _Z16sort_keys_kernelI22helper_blocked_blockedN15benchmark_utils11custom_typeIiiEELj64ELj4ELj10EEvPKT0_PS4_
	.globl	_Z16sort_keys_kernelI22helper_blocked_blockedN15benchmark_utils11custom_typeIiiEELj64ELj4ELj10EEvPKT0_PS4_
	.p2align	8
	.type	_Z16sort_keys_kernelI22helper_blocked_blockedN15benchmark_utils11custom_typeIiiEELj64ELj4ELj10EEvPKT0_PS4_,@function
_Z16sort_keys_kernelI22helper_blocked_blockedN15benchmark_utils11custom_typeIiiEELj64ELj4ELj10EEvPKT0_PS4_: ; @_Z16sort_keys_kernelI22helper_blocked_blockedN15benchmark_utils11custom_typeIiiEELj64ELj4ELj10EEvPKT0_PS4_
; %bb.0:
	s_clause 0x1
	s_load_b128 s[16:19], s[0:1], 0x0
	s_load_b32 s3, s[0:1], 0x1c
	s_mov_b32 s23, 0
	s_lshl_b32 s22, s15, 8
	v_mbcnt_lo_u32_b32 v7, -1, 0
	s_lshl_b64 s[20:21], s[22:23], 3
	s_mov_b32 s22, s23
	v_and_b32_e32 v8, 0x3ff, v0
	v_bfe_u32 v9, v0, 10, 10
	v_bfe_u32 v0, v0, 20, 10
	v_and_b32_e32 v11, 3, v7
	v_cmp_eq_u32_e64 s12, 0, v7
	v_lshlrev_b32_e32 v1, 3, v8
	s_delay_alu instid0(VALU_DEP_3)
	v_cmp_eq_u32_e64 s2, 2, v11
	s_waitcnt lgkmcnt(0)
	s_add_u32 s0, s16, s20
	s_addc_u32 s1, s17, s21
	s_mov_b32 s16, s23
	s_clause 0x3
	global_load_b64 v[5:6], v1, s[0:1]
	global_load_b64 v[13:14], v1, s[0:1] offset:512
	global_load_b64 v[3:4], v1, s[0:1] offset:1024
	;; [unrolled: 1-line block ×3, first 2 shown]
	s_lshr_b32 s1, s3, 16
	s_and_b32 s3, s3, 0xffff
	v_mad_u32_u24 v0, v0, s1, v9
	v_cmp_eq_u32_e64 s0, 0, v11
	v_cmp_eq_u32_e64 s1, 1, v11
	s_mov_b32 s17, s23
	v_and_b32_e32 v21, 28, v7
	v_mad_u64_u32 v[9:10], null, v0, s3, v[8:9]
	v_cmp_eq_u32_e64 s3, 3, v11
	v_add_nc_u32_e32 v11, -1, v7
	v_and_b32_e32 v0, 15, v7
	v_or_b32_e32 v10, 31, v8
	s_delay_alu instid0(VALU_DEP_3)
	v_cmp_gt_i32_e32 vcc_lo, 0, v11
	v_lshrrev_b32_e32 v27, 5, v9
	v_and_b32_e32 v9, 16, v7
	v_cmp_eq_u32_e64 s4, 0, v0
	v_cmp_lt_u32_e64 s5, 1, v0
	v_cmp_lt_u32_e64 s6, 3, v0
	;; [unrolled: 1-line block ×3, first 2 shown]
	v_cmp_eq_u32_e64 s8, 0, v9
	v_cmp_eq_u32_e64 s9, v10, v8
	v_cndmask_b32_e32 v0, v11, v7, vcc_lo
	v_lshrrev_b32_e32 v9, 3, v8
	v_dual_mov_b32 v11, s16 :: v_dual_lshlrev_b32 v10, 2, v8
	v_mov_b32_e32 v12, s17
	s_delay_alu instid0(VALU_DEP_4) | instskip(SKIP_4) | instid1(VALU_DEP_4)
	v_lshlrev_b32_e32 v28, 2, v0
	v_and_b32_e32 v0, 1, v7
	v_and_b32_e32 v29, 4, v9
	v_and_or_b32 v7, 0x80, v10, v7
	v_dual_mov_b32 v9, s22 :: v_dual_lshlrev_b32 v22, 5, v8
	v_cmp_eq_u32_e64 s14, 0, v0
	v_mul_u32_u24_e32 v0, 28, v8
	v_or_b32_e32 v23, 32, v21
	v_or_b32_e32 v24, 64, v21
	v_mad_i32_i24 v30, 0xffffffe4, v8, v22
	v_or_b32_e32 v25, 0x60, v21
	v_or_b32_e32 v26, 8, v22
	v_cmp_gt_u32_e64 s10, 2, v8
	v_cmp_lt_u32_e64 s11, 31, v8
	v_cmp_eq_u32_e64 s13, 0, v8
	v_add_nc_u32_e32 v31, -4, v29
	v_lshlrev_b32_e32 v32, 3, v7
	v_dual_mov_b32 v10, s23 :: v_dual_add_nc_u32 v33, v30, v0
	s_branch .LBB148_2
.LBB148_1:                              ;   in Loop: Header=BB148_2 Depth=1
	s_barrier
	buffer_gl0_inv
	ds_store_b64 v34, v[13:14]
	ds_store_b64 v35, v[19:20]
	;; [unrolled: 1-line block ×4, first 2 shown]
	s_waitcnt lgkmcnt(0)
	s_barrier
	buffer_gl0_inv
	ds_load_2addr_b64 v[0:3], v33 offset1:1
	ds_load_2addr_b64 v[15:18], v33 offset0:2 offset1:3
	s_add_i32 s23, s23, 1
	s_delay_alu instid0(SALU_CYCLE_1)
	s_cmp_eq_u32 s23, 10
	s_waitcnt lgkmcnt(1)
	v_xor_b32_e32 v5, 0x80000000, v0
	v_xor_b32_e32 v6, 0x80000000, v1
	;; [unrolled: 1-line block ×4, first 2 shown]
	s_waitcnt lgkmcnt(0)
	v_xor_b32_e32 v3, 0x80000000, v15
	v_xor_b32_e32 v4, 0x80000000, v16
	;; [unrolled: 1-line block ×4, first 2 shown]
	s_cbranch_scc1 .LBB148_20
.LBB148_2:                              ; =>This Loop Header: Depth=1
                                        ;     Child Loop BB148_4 Depth 2
	s_waitcnt vmcnt(3)
	v_xor_b32_e32 v0, 0x80000000, v6
	v_xor_b32_e32 v5, 0x80000000, v5
	s_waitcnt vmcnt(2)
	v_xor_b32_e32 v6, 0x80000000, v13
	v_xor_b32_e32 v7, 0x80000000, v14
	s_waitcnt vmcnt(1)
	v_xor_b32_e32 v3, 0x80000000, v3
	ds_bpermute_b32 v13, v21, v0
	ds_bpermute_b32 v14, v21, v5
	s_waitcnt vmcnt(0)
	v_xor_b32_e32 v15, 0x80000000, v1
	ds_bpermute_b32 v1, v21, v7
	ds_bpermute_b32 v16, v21, v6
	v_xor_b32_e32 v4, 0x80000000, v4
	ds_bpermute_b32 v17, v23, v0
	ds_bpermute_b32 v20, v21, v3
	;; [unrolled: 3-line block ×3, first 2 shown]
	ds_bpermute_b32 v34, v21, v15
	ds_bpermute_b32 v35, v23, v7
	;; [unrolled: 1-line block ×9, first 2 shown]
	s_waitcnt lgkmcnt(16)
	v_cndmask_b32_e64 v13, 0, v13, s0
	s_waitcnt lgkmcnt(15)
	v_cndmask_b32_e64 v14, 0, v14, s0
	ds_bpermute_b32 v42, v24, v6
	ds_bpermute_b32 v43, v24, v7
	;; [unrolled: 1-line block ×3, first 2 shown]
	s_waitcnt lgkmcnt(17)
	v_cndmask_b32_e64 v1, v13, v1, s1
	s_waitcnt lgkmcnt(16)
	v_cndmask_b32_e64 v13, v14, v16, s1
	ds_bpermute_b32 v14, v25, v0
	s_waitcnt lgkmcnt(16)
	v_cndmask_b32_e64 v0, 0, v17, s0
	ds_bpermute_b32 v6, v25, v6
	s_waitcnt lgkmcnt(15)
	v_cndmask_b32_e64 v16, 0, v18, s0
	v_cndmask_b32_e64 v13, v13, v20, s2
	s_waitcnt lgkmcnt(14)
	v_cndmask_b32_e64 v1, v1, v19, s2
	s_waitcnt lgkmcnt(12)
	v_cndmask_b32_e64 v17, v0, v35, s1
	ds_bpermute_b32 v18, v24, v4
	ds_bpermute_b32 v19, v24, v3
	v_cndmask_b32_e64 v0, v13, v34, s3
	ds_bpermute_b32 v13, v23, v2
	ds_bpermute_b32 v4, v25, v4
	;; [unrolled: 1-line block ×3, first 2 shown]
	s_waitcnt lgkmcnt(16)
	v_cndmask_b32_e64 v16, v16, v36, s1
	s_waitcnt lgkmcnt(15)
	v_cndmask_b32_e64 v1, v1, v37, s3
	ds_bpermute_b32 v34, v23, v15
	ds_bpermute_b32 v35, v24, v2
	;; [unrolled: 1-line block ×5, first 2 shown]
	s_waitcnt lgkmcnt(19)
	v_cndmask_b32_e64 v2, v17, v39, s2
	s_waitcnt lgkmcnt(17)
	v_cndmask_b32_e64 v3, 0, v41, s0
	v_cndmask_b32_e64 v17, 0, v40, s0
	s_waitcnt lgkmcnt(11)
	v_cndmask_b32_e64 v14, 0, v14, s0
	v_cndmask_b32_e64 v5, 0, v5, s0
	;; [unrolled: 1-line block ×6, first 2 shown]
	s_waitcnt lgkmcnt(10)
	v_cndmask_b32_e64 v5, v5, v6, s1
	s_waitcnt lgkmcnt(7)
	v_cndmask_b32_e64 v3, v2, v13, s3
	v_cndmask_b32_e64 v6, v38, v18, s2
	;; [unrolled: 1-line block ×3, first 2 shown]
	s_waitcnt lgkmcnt(6)
	v_cndmask_b32_e64 v7, v7, v4, s2
	s_waitcnt lgkmcnt(5)
	v_cndmask_b32_e64 v14, v5, v20, s2
	;; [unrolled: 2-line block ×7, first 2 shown]
	s_mov_b32 s22, 8
	s_mov_b32 s24, 32
	;; [unrolled: 1-line block ×3, first 2 shown]
	s_barrier
	s_branch .LBB148_4
.LBB148_3:                              ;   in Loop: Header=BB148_4 Depth=2
	s_barrier
	buffer_gl0_inv
	ds_store_b64 v34, v[13:14]
	ds_store_b64 v35, v[19:20]
	;; [unrolled: 1-line block ×4, first 2 shown]
	s_waitcnt lgkmcnt(0)
	s_barrier
	buffer_gl0_inv
	ds_load_2addr_b64 v[0:3], v32 offset1:32
	ds_load_2addr_b64 v[4:7], v32 offset0:64 offset1:96
	s_add_i32 s24, s24, -8
	s_add_i32 s22, s22, 8
	s_add_i32 s25, s25, 8
	s_waitcnt lgkmcnt(0)
	s_barrier
	s_cbranch_execz .LBB148_1
.LBB148_4:                              ;   Parent Loop BB148_2 Depth=1
                                        ; =>  This Inner Loop Header: Depth=2
	s_min_i32 s16, s22, 32
	s_cmp_lt_u32 s25, 32
	v_dual_mov_b32 v14, v1 :: v_dual_mov_b32 v13, v0
	s_cselect_b32 vcc_lo, -1, 0
	s_cmp_gt_u32 s25, 24
	buffer_gl0_inv
	s_cselect_b32 s15, -1, 0
	s_sub_i32 s16, s16, 32
	v_lshrrev_b32_e32 v1, s25, v14
	s_add_i32 s17, s16, s24
	ds_store_2addr_b64 v22, v[9:10], v[11:12] offset0:1 offset1:2
	ds_store_2addr_b64 v26, v[9:10], v[11:12] offset0:2 offset1:3
	s_lshl_b32 s17, -1, s17
	s_waitcnt lgkmcnt(0)
	s_not_b32 s17, s17
	s_cmp_lg_u32 s16, s25
	s_barrier
	s_cselect_b32 s26, s17, -1
	s_max_i32 s27, s24, 0
	s_max_i32 s16, s25, 32
	v_and_b32_e32 v1, s26, v1
	s_sub_i32 s17, s16, s27
	s_sub_i32 s28, s16, 32
	;; [unrolled: 1-line block ×3, first 2 shown]
	v_lshrrev_b32_e32 v0, s28, v13
	s_min_i32 s16, s17, 32
	buffer_gl0_inv
	s_sub_i32 s16, s16, s28
	s_delay_alu instid0(SALU_CYCLE_1) | instskip(NEXT) | instid1(SALU_CYCLE_1)
	s_lshl_b32 s17, -1, s16
	; wave barrier
	s_not_b32 s17, s17
	s_cmp_lg_u32 s16, 32
	v_cndmask_b32_e32 v1, 0, v1, vcc_lo
	s_cselect_b32 s29, s17, -1
	s_delay_alu instid0(SALU_CYCLE_1) | instskip(NEXT) | instid1(VALU_DEP_1)
	v_and_b32_e32 v0, s29, v0
	v_lshlrev_b32_e32 v0, s27, v0
	s_delay_alu instid0(VALU_DEP_1) | instskip(NEXT) | instid1(VALU_DEP_1)
	v_cndmask_b32_e64 v0, 0, v0, s15
	v_or_b32_e32 v1, v1, v0
	s_delay_alu instid0(VALU_DEP_1)
	v_and_b32_e32 v0, 1, v1
	v_lshlrev_b32_e32 v15, 30, v1
	v_lshlrev_b32_e32 v16, 29, v1
	;; [unrolled: 1-line block ×4, first 2 shown]
	v_add_co_u32 v0, s16, v0, -1
	s_delay_alu instid0(VALU_DEP_1)
	v_cndmask_b32_e64 v18, 0, 1, s16
	v_not_b32_e32 v35, v15
	v_cmp_gt_i32_e64 s17, 0, v15
	v_not_b32_e32 v15, v16
	v_lshlrev_b32_e32 v20, 26, v1
	v_cmp_ne_u32_e64 s16, 0, v18
	v_ashrrev_i32_e32 v35, 31, v35
	v_lshlrev_b32_e32 v34, 25, v1
	v_ashrrev_i32_e32 v15, 31, v15
	v_lshlrev_b32_e32 v18, 24, v1
	v_xor_b32_e32 v0, s16, v0
	v_cmp_gt_i32_e64 s16, 0, v16
	v_not_b32_e32 v16, v17
	v_xor_b32_e32 v35, s17, v35
	v_cmp_gt_i32_e64 s17, 0, v17
	v_and_b32_e32 v0, exec_lo, v0
	v_not_b32_e32 v17, v19
	v_ashrrev_i32_e32 v16, 31, v16
	v_xor_b32_e32 v15, s16, v15
	v_cmp_gt_i32_e64 s16, 0, v19
	v_and_b32_e32 v0, v0, v35
	v_not_b32_e32 v19, v20
	v_ashrrev_i32_e32 v17, 31, v17
	v_xor_b32_e32 v16, s17, v16
	v_cmp_gt_i32_e64 s17, 0, v20
	v_and_b32_e32 v0, v0, v15
	;; [unrolled: 5-line block ×4, first 2 shown]
	v_ashrrev_i32_e32 v16, 31, v16
	v_xor_b32_e32 v15, s16, v15
	v_lshl_add_u32 v1, v1, 1, v27
	v_mov_b32_e32 v18, v5
	v_and_b32_e32 v0, v0, v19
	v_xor_b32_e32 v16, s17, v16
	v_dual_mov_b32 v20, v3 :: v_dual_mov_b32 v19, v2
	v_mov_b32_e32 v17, v4
	s_delay_alu instid0(VALU_DEP_4) | instskip(SKIP_1) | instid1(VALU_DEP_2)
	v_and_b32_e32 v0, v0, v15
	v_lshl_add_u32 v35, v1, 2, 8
	v_and_b32_e32 v0, v0, v16
	v_dual_mov_b32 v16, v7 :: v_dual_mov_b32 v15, v6
	s_delay_alu instid0(VALU_DEP_2) | instskip(SKIP_1) | instid1(VALU_DEP_2)
	v_mbcnt_lo_u32_b32 v34, v0, 0
	v_cmp_ne_u32_e64 s17, 0, v0
	v_cmp_eq_u32_e64 s16, 0, v34
	s_delay_alu instid0(VALU_DEP_1) | instskip(NEXT) | instid1(SALU_CYCLE_1)
	s_and_b32 s17, s16, s17
	s_and_saveexec_b32 s16, s17
	s_cbranch_execz .LBB148_6
; %bb.5:                                ;   in Loop: Header=BB148_4 Depth=2
	v_bcnt_u32_b32 v0, v0, 0
	ds_store_b32 v35, v0
.LBB148_6:                              ;   in Loop: Header=BB148_4 Depth=2
	s_or_b32 exec_lo, exec_lo, s16
	v_lshrrev_b32_e32 v0, s28, v19
	v_lshrrev_b32_e32 v1, s25, v20
	; wave barrier
	s_delay_alu instid0(VALU_DEP_1) | instskip(NEXT) | instid1(VALU_DEP_1)
	v_and_b32_e32 v1, s26, v1
	v_dual_cndmask_b32 v1, 0, v1 :: v_dual_and_b32 v0, s29, v0
	s_delay_alu instid0(VALU_DEP_1) | instskip(NEXT) | instid1(VALU_DEP_1)
	v_lshlrev_b32_e32 v0, s27, v0
	v_cndmask_b32_e64 v0, 0, v0, s15
	s_delay_alu instid0(VALU_DEP_1) | instskip(NEXT) | instid1(VALU_DEP_1)
	v_or_b32_e32 v0, v1, v0
	v_and_b32_e32 v1, 1, v0
	v_lshlrev_b32_e32 v2, 30, v0
	v_lshlrev_b32_e32 v3, 29, v0
	;; [unrolled: 1-line block ×4, first 2 shown]
	v_add_co_u32 v1, s16, v1, -1
	s_delay_alu instid0(VALU_DEP_1)
	v_cndmask_b32_e64 v5, 0, 1, s16
	v_not_b32_e32 v37, v2
	v_cmp_gt_i32_e64 s17, 0, v2
	v_not_b32_e32 v2, v3
	v_lshlrev_b32_e32 v7, 26, v0
	v_cmp_ne_u32_e64 s16, 0, v5
	v_ashrrev_i32_e32 v37, 31, v37
	v_lshlrev_b32_e32 v36, 25, v0
	v_ashrrev_i32_e32 v2, 31, v2
	v_lshlrev_b32_e32 v5, 24, v0
	v_xor_b32_e32 v1, s16, v1
	v_cmp_gt_i32_e64 s16, 0, v3
	v_not_b32_e32 v3, v4
	v_xor_b32_e32 v37, s17, v37
	v_cmp_gt_i32_e64 s17, 0, v4
	v_and_b32_e32 v1, exec_lo, v1
	v_not_b32_e32 v4, v6
	v_ashrrev_i32_e32 v3, 31, v3
	v_xor_b32_e32 v2, s16, v2
	v_cmp_gt_i32_e64 s16, 0, v6
	v_and_b32_e32 v1, v1, v37
	v_not_b32_e32 v6, v7
	v_ashrrev_i32_e32 v4, 31, v4
	v_xor_b32_e32 v3, s17, v3
	v_cmp_gt_i32_e64 s17, 0, v7
	v_and_b32_e32 v1, v1, v2
	;; [unrolled: 5-line block ×3, first 2 shown]
	v_not_b32_e32 v3, v5
	v_ashrrev_i32_e32 v2, 31, v2
	v_xor_b32_e32 v6, s17, v6
	v_lshlrev_b32_e32 v0, 1, v0
	v_and_b32_e32 v1, v1, v4
	v_cmp_gt_i32_e64 s17, 0, v5
	v_ashrrev_i32_e32 v3, 31, v3
	v_xor_b32_e32 v2, s16, v2
	v_add_lshl_u32 v4, v0, v27, 2
	v_and_b32_e32 v1, v1, v6
	s_delay_alu instid0(VALU_DEP_4) | instskip(SKIP_3) | instid1(VALU_DEP_2)
	v_xor_b32_e32 v0, s17, v3
	ds_load_b32 v36, v4 offset:8
	v_and_b32_e32 v1, v1, v2
	v_add_nc_u32_e32 v38, 8, v4
	; wave barrier
	v_and_b32_e32 v0, v1, v0
	s_delay_alu instid0(VALU_DEP_1) | instskip(SKIP_1) | instid1(VALU_DEP_2)
	v_mbcnt_lo_u32_b32 v37, v0, 0
	v_cmp_ne_u32_e64 s17, 0, v0
	v_cmp_eq_u32_e64 s16, 0, v37
	s_delay_alu instid0(VALU_DEP_1) | instskip(NEXT) | instid1(SALU_CYCLE_1)
	s_and_b32 s17, s16, s17
	s_and_saveexec_b32 s16, s17
	s_cbranch_execz .LBB148_8
; %bb.7:                                ;   in Loop: Header=BB148_4 Depth=2
	s_waitcnt lgkmcnt(0)
	v_bcnt_u32_b32 v0, v0, v36
	ds_store_b32 v38, v0
.LBB148_8:                              ;   in Loop: Header=BB148_4 Depth=2
	s_or_b32 exec_lo, exec_lo, s16
	v_lshrrev_b32_e32 v0, s28, v17
	v_lshrrev_b32_e32 v1, s25, v18
	; wave barrier
	s_delay_alu instid0(VALU_DEP_1) | instskip(NEXT) | instid1(VALU_DEP_1)
	v_and_b32_e32 v1, s26, v1
	v_dual_cndmask_b32 v1, 0, v1 :: v_dual_and_b32 v0, s29, v0
	s_delay_alu instid0(VALU_DEP_1) | instskip(NEXT) | instid1(VALU_DEP_1)
	v_lshlrev_b32_e32 v0, s27, v0
	v_cndmask_b32_e64 v0, 0, v0, s15
	s_delay_alu instid0(VALU_DEP_1) | instskip(NEXT) | instid1(VALU_DEP_1)
	v_or_b32_e32 v0, v1, v0
	v_and_b32_e32 v1, 1, v0
	v_lshlrev_b32_e32 v2, 30, v0
	v_lshlrev_b32_e32 v3, 29, v0
	;; [unrolled: 1-line block ×4, first 2 shown]
	v_add_co_u32 v1, s16, v1, -1
	s_delay_alu instid0(VALU_DEP_1)
	v_cndmask_b32_e64 v5, 0, 1, s16
	v_not_b32_e32 v40, v2
	v_cmp_gt_i32_e64 s17, 0, v2
	v_not_b32_e32 v2, v3
	v_lshlrev_b32_e32 v7, 26, v0
	v_cmp_ne_u32_e64 s16, 0, v5
	v_ashrrev_i32_e32 v40, 31, v40
	v_lshlrev_b32_e32 v39, 25, v0
	v_ashrrev_i32_e32 v2, 31, v2
	v_lshlrev_b32_e32 v5, 24, v0
	v_xor_b32_e32 v1, s16, v1
	v_cmp_gt_i32_e64 s16, 0, v3
	v_not_b32_e32 v3, v4
	v_xor_b32_e32 v40, s17, v40
	v_cmp_gt_i32_e64 s17, 0, v4
	v_and_b32_e32 v1, exec_lo, v1
	v_not_b32_e32 v4, v6
	v_ashrrev_i32_e32 v3, 31, v3
	v_xor_b32_e32 v2, s16, v2
	v_cmp_gt_i32_e64 s16, 0, v6
	v_and_b32_e32 v1, v1, v40
	v_not_b32_e32 v6, v7
	v_ashrrev_i32_e32 v4, 31, v4
	v_xor_b32_e32 v3, s17, v3
	v_cmp_gt_i32_e64 s17, 0, v7
	v_and_b32_e32 v1, v1, v2
	;; [unrolled: 5-line block ×3, first 2 shown]
	v_not_b32_e32 v3, v5
	v_ashrrev_i32_e32 v2, 31, v2
	v_xor_b32_e32 v6, s17, v6
	v_lshlrev_b32_e32 v0, 1, v0
	v_and_b32_e32 v1, v1, v4
	v_cmp_gt_i32_e64 s17, 0, v5
	v_ashrrev_i32_e32 v3, 31, v3
	v_xor_b32_e32 v2, s16, v2
	v_add_lshl_u32 v4, v0, v27, 2
	v_and_b32_e32 v1, v1, v6
	s_delay_alu instid0(VALU_DEP_4) | instskip(SKIP_3) | instid1(VALU_DEP_2)
	v_xor_b32_e32 v0, s17, v3
	ds_load_b32 v39, v4 offset:8
	v_and_b32_e32 v1, v1, v2
	v_add_nc_u32_e32 v41, 8, v4
	; wave barrier
	v_and_b32_e32 v0, v1, v0
	s_delay_alu instid0(VALU_DEP_1) | instskip(SKIP_1) | instid1(VALU_DEP_2)
	v_mbcnt_lo_u32_b32 v40, v0, 0
	v_cmp_ne_u32_e64 s17, 0, v0
	v_cmp_eq_u32_e64 s16, 0, v40
	s_delay_alu instid0(VALU_DEP_1) | instskip(NEXT) | instid1(SALU_CYCLE_1)
	s_and_b32 s17, s16, s17
	s_and_saveexec_b32 s16, s17
	s_cbranch_execz .LBB148_10
; %bb.9:                                ;   in Loop: Header=BB148_4 Depth=2
	s_waitcnt lgkmcnt(0)
	v_bcnt_u32_b32 v0, v0, v39
	ds_store_b32 v41, v0
.LBB148_10:                             ;   in Loop: Header=BB148_4 Depth=2
	s_or_b32 exec_lo, exec_lo, s16
	v_lshrrev_b32_e32 v0, s28, v15
	v_lshrrev_b32_e32 v1, s25, v16
	; wave barrier
	s_delay_alu instid0(VALU_DEP_1) | instskip(NEXT) | instid1(VALU_DEP_1)
	v_and_b32_e32 v1, s26, v1
	v_dual_cndmask_b32 v1, 0, v1 :: v_dual_and_b32 v0, s29, v0
	s_delay_alu instid0(VALU_DEP_1) | instskip(NEXT) | instid1(VALU_DEP_1)
	v_lshlrev_b32_e32 v0, s27, v0
	v_cndmask_b32_e64 v0, 0, v0, s15
	s_delay_alu instid0(VALU_DEP_1) | instskip(NEXT) | instid1(VALU_DEP_1)
	v_or_b32_e32 v0, v1, v0
	v_and_b32_e32 v1, 1, v0
	v_lshlrev_b32_e32 v2, 30, v0
	v_lshlrev_b32_e32 v3, 29, v0
	;; [unrolled: 1-line block ×4, first 2 shown]
	v_add_co_u32 v1, s15, v1, -1
	s_delay_alu instid0(VALU_DEP_1)
	v_cndmask_b32_e64 v5, 0, 1, s15
	v_not_b32_e32 v43, v2
	v_cmp_gt_i32_e64 s15, 0, v2
	v_not_b32_e32 v2, v3
	v_lshlrev_b32_e32 v7, 26, v0
	v_cmp_ne_u32_e32 vcc_lo, 0, v5
	v_ashrrev_i32_e32 v43, 31, v43
	v_lshlrev_b32_e32 v42, 25, v0
	v_ashrrev_i32_e32 v2, 31, v2
	v_lshlrev_b32_e32 v5, 24, v0
	v_xor_b32_e32 v1, vcc_lo, v1
	v_cmp_gt_i32_e32 vcc_lo, 0, v3
	v_not_b32_e32 v3, v4
	v_xor_b32_e32 v43, s15, v43
	v_cmp_gt_i32_e64 s15, 0, v4
	v_and_b32_e32 v1, exec_lo, v1
	v_not_b32_e32 v4, v6
	v_ashrrev_i32_e32 v3, 31, v3
	v_xor_b32_e32 v2, vcc_lo, v2
	v_cmp_gt_i32_e32 vcc_lo, 0, v6
	v_and_b32_e32 v1, v1, v43
	v_not_b32_e32 v6, v7
	v_ashrrev_i32_e32 v4, 31, v4
	v_xor_b32_e32 v3, s15, v3
	v_cmp_gt_i32_e64 s15, 0, v7
	v_and_b32_e32 v1, v1, v2
	v_not_b32_e32 v2, v42
	v_ashrrev_i32_e32 v6, 31, v6
	v_xor_b32_e32 v4, vcc_lo, v4
	v_cmp_gt_i32_e32 vcc_lo, 0, v42
	v_and_b32_e32 v1, v1, v3
	v_not_b32_e32 v3, v5
	v_ashrrev_i32_e32 v2, 31, v2
	v_xor_b32_e32 v6, s15, v6
	v_lshlrev_b32_e32 v0, 1, v0
	v_and_b32_e32 v1, v1, v4
	v_cmp_gt_i32_e64 s15, 0, v5
	v_ashrrev_i32_e32 v3, 31, v3
	v_xor_b32_e32 v2, vcc_lo, v2
	v_add_lshl_u32 v4, v0, v27, 2
	v_and_b32_e32 v1, v1, v6
	s_delay_alu instid0(VALU_DEP_4) | instskip(SKIP_3) | instid1(VALU_DEP_2)
	v_xor_b32_e32 v0, s15, v3
	ds_load_b32 v42, v4 offset:8
	v_and_b32_e32 v1, v1, v2
	v_add_nc_u32_e32 v44, 8, v4
	; wave barrier
	v_and_b32_e32 v0, v1, v0
	s_delay_alu instid0(VALU_DEP_1) | instskip(SKIP_1) | instid1(VALU_DEP_2)
	v_mbcnt_lo_u32_b32 v43, v0, 0
	v_cmp_ne_u32_e64 s15, 0, v0
	v_cmp_eq_u32_e32 vcc_lo, 0, v43
	s_delay_alu instid0(VALU_DEP_2) | instskip(NEXT) | instid1(SALU_CYCLE_1)
	s_and_b32 s16, vcc_lo, s15
	s_and_saveexec_b32 s15, s16
	s_cbranch_execz .LBB148_12
; %bb.11:                               ;   in Loop: Header=BB148_4 Depth=2
	s_waitcnt lgkmcnt(0)
	v_bcnt_u32_b32 v0, v0, v42
	ds_store_b32 v44, v0
.LBB148_12:                             ;   in Loop: Header=BB148_4 Depth=2
	s_or_b32 exec_lo, exec_lo, s15
	; wave barrier
	s_waitcnt lgkmcnt(0)
	s_barrier
	buffer_gl0_inv
	ds_load_2addr_b64 v[4:7], v22 offset0:1 offset1:2
	ds_load_2addr_b64 v[0:3], v26 offset0:2 offset1:3
	s_waitcnt lgkmcnt(1)
	v_add_nc_u32_e32 v45, v5, v4
	s_delay_alu instid0(VALU_DEP_1) | instskip(SKIP_1) | instid1(VALU_DEP_1)
	v_add3_u32 v45, v45, v6, v7
	s_waitcnt lgkmcnt(0)
	v_add3_u32 v45, v45, v0, v1
	s_delay_alu instid0(VALU_DEP_1) | instskip(NEXT) | instid1(VALU_DEP_1)
	v_add3_u32 v3, v45, v2, v3
	v_mov_b32_dpp v45, v3 row_shr:1 row_mask:0xf bank_mask:0xf
	s_delay_alu instid0(VALU_DEP_1) | instskip(NEXT) | instid1(VALU_DEP_1)
	v_cndmask_b32_e64 v45, v45, 0, s4
	v_add_nc_u32_e32 v3, v45, v3
	s_delay_alu instid0(VALU_DEP_1) | instskip(NEXT) | instid1(VALU_DEP_1)
	v_mov_b32_dpp v45, v3 row_shr:2 row_mask:0xf bank_mask:0xf
	v_cndmask_b32_e64 v45, 0, v45, s5
	s_delay_alu instid0(VALU_DEP_1) | instskip(NEXT) | instid1(VALU_DEP_1)
	v_add_nc_u32_e32 v3, v3, v45
	v_mov_b32_dpp v45, v3 row_shr:4 row_mask:0xf bank_mask:0xf
	s_delay_alu instid0(VALU_DEP_1) | instskip(NEXT) | instid1(VALU_DEP_1)
	v_cndmask_b32_e64 v45, 0, v45, s6
	v_add_nc_u32_e32 v3, v3, v45
	s_delay_alu instid0(VALU_DEP_1) | instskip(NEXT) | instid1(VALU_DEP_1)
	v_mov_b32_dpp v45, v3 row_shr:8 row_mask:0xf bank_mask:0xf
	v_cndmask_b32_e64 v45, 0, v45, s7
	s_delay_alu instid0(VALU_DEP_1) | instskip(SKIP_3) | instid1(VALU_DEP_1)
	v_add_nc_u32_e32 v3, v3, v45
	ds_swizzle_b32 v45, v3 offset:swizzle(BROADCAST,32,15)
	s_waitcnt lgkmcnt(0)
	v_cndmask_b32_e64 v45, v45, 0, s8
	v_add_nc_u32_e32 v3, v3, v45
	s_and_saveexec_b32 s15, s9
	s_cbranch_execz .LBB148_14
; %bb.13:                               ;   in Loop: Header=BB148_4 Depth=2
	ds_store_b32 v29, v3
.LBB148_14:                             ;   in Loop: Header=BB148_4 Depth=2
	s_or_b32 exec_lo, exec_lo, s15
	s_waitcnt lgkmcnt(0)
	s_barrier
	buffer_gl0_inv
	s_and_saveexec_b32 s15, s10
	s_cbranch_execz .LBB148_16
; %bb.15:                               ;   in Loop: Header=BB148_4 Depth=2
	ds_load_b32 v45, v30
	s_waitcnt lgkmcnt(0)
	v_mov_b32_dpp v46, v45 row_shr:1 row_mask:0xf bank_mask:0xf
	s_delay_alu instid0(VALU_DEP_1) | instskip(NEXT) | instid1(VALU_DEP_1)
	v_cndmask_b32_e64 v46, v46, 0, s14
	v_add_nc_u32_e32 v45, v46, v45
	ds_store_b32 v30, v45
.LBB148_16:                             ;   in Loop: Header=BB148_4 Depth=2
	s_or_b32 exec_lo, exec_lo, s15
	v_mov_b32_e32 v45, 0
	s_waitcnt lgkmcnt(0)
	s_barrier
	buffer_gl0_inv
	s_and_saveexec_b32 s15, s11
	s_cbranch_execz .LBB148_18
; %bb.17:                               ;   in Loop: Header=BB148_4 Depth=2
	ds_load_b32 v45, v31
.LBB148_18:                             ;   in Loop: Header=BB148_4 Depth=2
	s_or_b32 exec_lo, exec_lo, s15
	s_waitcnt lgkmcnt(0)
	v_add_nc_u32_e32 v3, v45, v3
	s_cmp_gt_u32 s25, 55
	ds_bpermute_b32 v3, v28, v3
	s_waitcnt lgkmcnt(0)
	v_cndmask_b32_e64 v3, v3, v45, s12
	s_delay_alu instid0(VALU_DEP_1) | instskip(NEXT) | instid1(VALU_DEP_1)
	v_cndmask_b32_e64 v3, v3, 0, s13
	v_add_nc_u32_e32 v4, v3, v4
	s_delay_alu instid0(VALU_DEP_1) | instskip(NEXT) | instid1(VALU_DEP_1)
	v_add_nc_u32_e32 v5, v4, v5
	v_add_nc_u32_e32 v6, v5, v6
	s_delay_alu instid0(VALU_DEP_1) | instskip(SKIP_1) | instid1(VALU_DEP_2)
	v_add_nc_u32_e32 v45, v6, v7
	v_lshlrev_b32_e32 v7, 3, v40
	v_add_nc_u32_e32 v46, v45, v0
	s_delay_alu instid0(VALU_DEP_1) | instskip(NEXT) | instid1(VALU_DEP_1)
	v_add_nc_u32_e32 v0, v46, v1
	v_add_nc_u32_e32 v1, v0, v2
	ds_store_2addr_b64 v22, v[3:4], v[5:6] offset0:1 offset1:2
	ds_store_2addr_b64 v26, v[45:46], v[0:1] offset0:2 offset1:3
	s_waitcnt lgkmcnt(0)
	s_barrier
	buffer_gl0_inv
	ds_load_b32 v0, v38
	ds_load_b32 v1, v41
	;; [unrolled: 1-line block ×4, first 2 shown]
	v_lshlrev_b32_e32 v4, 3, v34
	v_lshlrev_b32_e32 v5, 3, v37
	;; [unrolled: 1-line block ×6, first 2 shown]
	s_waitcnt lgkmcnt(0)
	v_lshlrev_b32_e32 v0, 3, v0
	v_lshlrev_b32_e32 v1, 3, v1
	;; [unrolled: 1-line block ×3, first 2 shown]
	v_lshl_add_u32 v34, v3, 3, v4
	s_delay_alu instid0(VALU_DEP_4) | instskip(NEXT) | instid1(VALU_DEP_4)
	v_add3_u32 v35, v5, v6, v0
	v_add3_u32 v36, v7, v36, v1
	s_delay_alu instid0(VALU_DEP_4)
	v_add3_u32 v37, v37, v38, v2
	s_cbranch_scc0 .LBB148_3
; %bb.19:                               ;   in Loop: Header=BB148_2 Depth=1
                                        ; implicit-def: $sgpr25
                                        ; implicit-def: $vgpr0_vgpr1
                                        ; implicit-def: $vgpr4_vgpr5
                                        ; implicit-def: $sgpr24
                                        ; implicit-def: $sgpr22
	s_branch .LBB148_1
.LBB148_20:
	v_lshlrev_b32_e32 v0, 3, v8
	s_add_u32 s0, s18, s20
	s_addc_u32 s1, s19, s21
	s_clause 0x3
	global_store_b64 v0, v[5:6], s[0:1]
	global_store_b64 v0, v[13:14], s[0:1] offset:512
	global_store_b64 v0, v[3:4], s[0:1] offset:1024
	;; [unrolled: 1-line block ×3, first 2 shown]
	s_nop 0
	s_sendmsg sendmsg(MSG_DEALLOC_VGPRS)
	s_endpgm
	.section	.rodata,"a",@progbits
	.p2align	6, 0x0
	.amdhsa_kernel _Z16sort_keys_kernelI22helper_blocked_blockedN15benchmark_utils11custom_typeIiiEELj64ELj4ELj10EEvPKT0_PS4_
		.amdhsa_group_segment_fixed_size 2064
		.amdhsa_private_segment_fixed_size 0
		.amdhsa_kernarg_size 272
		.amdhsa_user_sgpr_count 15
		.amdhsa_user_sgpr_dispatch_ptr 0
		.amdhsa_user_sgpr_queue_ptr 0
		.amdhsa_user_sgpr_kernarg_segment_ptr 1
		.amdhsa_user_sgpr_dispatch_id 0
		.amdhsa_user_sgpr_private_segment_size 0
		.amdhsa_wavefront_size32 1
		.amdhsa_uses_dynamic_stack 0
		.amdhsa_enable_private_segment 0
		.amdhsa_system_sgpr_workgroup_id_x 1
		.amdhsa_system_sgpr_workgroup_id_y 0
		.amdhsa_system_sgpr_workgroup_id_z 0
		.amdhsa_system_sgpr_workgroup_info 0
		.amdhsa_system_vgpr_workitem_id 2
		.amdhsa_next_free_vgpr 47
		.amdhsa_next_free_sgpr 30
		.amdhsa_reserve_vcc 1
		.amdhsa_float_round_mode_32 0
		.amdhsa_float_round_mode_16_64 0
		.amdhsa_float_denorm_mode_32 3
		.amdhsa_float_denorm_mode_16_64 3
		.amdhsa_dx10_clamp 1
		.amdhsa_ieee_mode 1
		.amdhsa_fp16_overflow 0
		.amdhsa_workgroup_processor_mode 1
		.amdhsa_memory_ordered 1
		.amdhsa_forward_progress 0
		.amdhsa_shared_vgpr_count 0
		.amdhsa_exception_fp_ieee_invalid_op 0
		.amdhsa_exception_fp_denorm_src 0
		.amdhsa_exception_fp_ieee_div_zero 0
		.amdhsa_exception_fp_ieee_overflow 0
		.amdhsa_exception_fp_ieee_underflow 0
		.amdhsa_exception_fp_ieee_inexact 0
		.amdhsa_exception_int_div_zero 0
	.end_amdhsa_kernel
	.section	.text._Z16sort_keys_kernelI22helper_blocked_blockedN15benchmark_utils11custom_typeIiiEELj64ELj4ELj10EEvPKT0_PS4_,"axG",@progbits,_Z16sort_keys_kernelI22helper_blocked_blockedN15benchmark_utils11custom_typeIiiEELj64ELj4ELj10EEvPKT0_PS4_,comdat
.Lfunc_end148:
	.size	_Z16sort_keys_kernelI22helper_blocked_blockedN15benchmark_utils11custom_typeIiiEELj64ELj4ELj10EEvPKT0_PS4_, .Lfunc_end148-_Z16sort_keys_kernelI22helper_blocked_blockedN15benchmark_utils11custom_typeIiiEELj64ELj4ELj10EEvPKT0_PS4_
                                        ; -- End function
	.section	.AMDGPU.csdata,"",@progbits
; Kernel info:
; codeLenInByte = 3680
; NumSgprs: 32
; NumVgprs: 47
; ScratchSize: 0
; MemoryBound: 0
; FloatMode: 240
; IeeeMode: 1
; LDSByteSize: 2064 bytes/workgroup (compile time only)
; SGPRBlocks: 3
; VGPRBlocks: 5
; NumSGPRsForWavesPerEU: 32
; NumVGPRsForWavesPerEU: 47
; Occupancy: 16
; WaveLimiterHint : 1
; COMPUTE_PGM_RSRC2:SCRATCH_EN: 0
; COMPUTE_PGM_RSRC2:USER_SGPR: 15
; COMPUTE_PGM_RSRC2:TRAP_HANDLER: 0
; COMPUTE_PGM_RSRC2:TGID_X_EN: 1
; COMPUTE_PGM_RSRC2:TGID_Y_EN: 0
; COMPUTE_PGM_RSRC2:TGID_Z_EN: 0
; COMPUTE_PGM_RSRC2:TIDIG_COMP_CNT: 2
	.section	.text._Z17sort_pairs_kernelI22helper_blocked_blockedN15benchmark_utils11custom_typeIiiEELj64ELj4ELj10EEvPKT0_PS4_,"axG",@progbits,_Z17sort_pairs_kernelI22helper_blocked_blockedN15benchmark_utils11custom_typeIiiEELj64ELj4ELj10EEvPKT0_PS4_,comdat
	.protected	_Z17sort_pairs_kernelI22helper_blocked_blockedN15benchmark_utils11custom_typeIiiEELj64ELj4ELj10EEvPKT0_PS4_ ; -- Begin function _Z17sort_pairs_kernelI22helper_blocked_blockedN15benchmark_utils11custom_typeIiiEELj64ELj4ELj10EEvPKT0_PS4_
	.globl	_Z17sort_pairs_kernelI22helper_blocked_blockedN15benchmark_utils11custom_typeIiiEELj64ELj4ELj10EEvPKT0_PS4_
	.p2align	8
	.type	_Z17sort_pairs_kernelI22helper_blocked_blockedN15benchmark_utils11custom_typeIiiEELj64ELj4ELj10EEvPKT0_PS4_,@function
_Z17sort_pairs_kernelI22helper_blocked_blockedN15benchmark_utils11custom_typeIiiEELj64ELj4ELj10EEvPKT0_PS4_: ; @_Z17sort_pairs_kernelI22helper_blocked_blockedN15benchmark_utils11custom_typeIiiEELj64ELj4ELj10EEvPKT0_PS4_
; %bb.0:
	s_clause 0x1
	s_load_b128 s[16:19], s[0:1], 0x0
	s_load_b32 s14, s[0:1], 0x1c
	v_mbcnt_lo_u32_b32 v9, -1, 0
	s_mov_b32 s23, 0
	s_lshl_b32 s22, s15, 8
	v_bfe_u32 v8, v0, 10, 10
	s_lshl_b64 s[20:21], s[22:23], 3
	v_add_nc_u32_e32 v14, -1, v9
	v_and_b32_e32 v11, 16, v9
	v_and_b32_e32 v15, 1, v9
	;; [unrolled: 1-line block ×4, first 2 shown]
	v_cmp_gt_i32_e32 vcc_lo, 0, v14
	v_and_b32_e32 v18, 0x3ff, v0
	v_cmp_eq_u32_e64 s9, 0, v11
	v_bfe_u32 v0, v0, 20, 10
	v_cmp_eq_u32_e64 s13, 0, v15
	v_cndmask_b32_e32 v11, v14, v9, vcc_lo
	v_lshlrev_b32_e32 v3, 3, v18
	v_mul_u32_u24_e32 v19, 28, v18
	s_waitcnt lgkmcnt(0)
	s_add_u32 s0, s16, s20
	s_addc_u32 s1, s17, s21
	s_lshr_b32 s15, s14, 16
	s_clause 0x3
	global_load_b64 v[1:2], v3, s[0:1]
	global_load_b64 v[12:13], v3, s[0:1] offset:512
	global_load_b64 v[5:6], v3, s[0:1] offset:1024
	;; [unrolled: 1-line block ×3, first 2 shown]
	v_mad_u32_u24 v0, v0, s15, v8
	v_lshlrev_b32_e32 v37, 5, v18
	v_lshrrev_b32_e32 v14, 3, v18
	v_lshlrev_b32_e32 v15, 2, v18
	s_and_b32 s14, s14, 0xffff
	v_cmp_eq_u32_e64 s1, 0, v7
	v_cmp_eq_u32_e64 s2, 1, v7
	;; [unrolled: 1-line block ×4, first 2 shown]
	v_mad_u64_u32 v[7:8], null, v0, s14, v[18:19]
	v_and_b32_e32 v33, 28, v9
	v_cmp_eq_u32_e64 s5, 0, v10
	v_cmp_lt_u32_e64 s6, 1, v10
	v_cmp_lt_u32_e64 s7, 3, v10
	;; [unrolled: 1-line block ×3, first 2 shown]
	v_or_b32_e32 v10, 31, v18
	v_and_b32_e32 v39, 4, v14
	v_and_or_b32 v0, 0x80, v15, v9
	v_mad_i32_i24 v41, 0xffffffe4, v18, v37
	v_cmp_eq_u32_e64 s0, 0, v9
	v_or_b32_e32 v34, 32, v33
	v_or_b32_e32 v35, 64, v33
	;; [unrolled: 1-line block ×3, first 2 shown]
	v_cmp_gt_u32_e64 s10, 2, v18
	v_cmp_lt_u32_e64 s11, 31, v18
	v_cmp_eq_u32_e64 s12, 0, v18
	v_or_b32_e32 v38, 8, v37
	v_cmp_eq_u32_e64 s14, v10, v18
	v_lshlrev_b32_e32 v40, 2, v11
	v_add_nc_u32_e32 v42, -4, v39
	v_lshlrev_b32_e32 v43, 3, v0
	v_lshrrev_b32_e32 v44, 5, v7
	v_add_nc_u32_e32 v45, v41, v19
	s_mov_b32 s22, s23
	s_mov_b32 s24, s23
	;; [unrolled: 1-line block ×4, first 2 shown]
	s_waitcnt vmcnt(3)
	v_add_nc_u32_e32 v15, 1, v2
	v_add_nc_u32_e32 v14, 1, v1
	s_waitcnt vmcnt(2)
	v_add_nc_u32_e32 v17, 1, v13
	v_add_nc_u32_e32 v16, 1, v12
	;; [unrolled: 3-line block ×4, first 2 shown]
	s_branch .LBB149_2
.LBB149_1:                              ;   in Loop: Header=BB149_2 Depth=1
	s_barrier
	buffer_gl0_inv
	ds_store_b64 v46, v[16:17]
	ds_store_b64 v47, v[27:28]
	;; [unrolled: 1-line block ×4, first 2 shown]
	s_waitcnt lgkmcnt(0)
	s_barrier
	buffer_gl0_inv
	ds_load_2addr_b64 v[1:4], v45 offset1:1
	ds_load_2addr_b64 v[27:30], v45 offset0:2 offset1:3
	s_waitcnt lgkmcnt(0)
	s_barrier
	buffer_gl0_inv
	ds_store_b64 v46, v[21:22]
	ds_store_b64 v47, v[19:20]
	;; [unrolled: 1-line block ×4, first 2 shown]
	s_waitcnt lgkmcnt(0)
	s_barrier
	buffer_gl0_inv
	ds_load_2addr_b64 v[14:17], v45 offset1:1
	ds_load_2addr_b64 v[8:11], v45 offset0:2 offset1:3
	s_add_i32 s26, s26, 1
	s_delay_alu instid0(SALU_CYCLE_1)
	s_cmp_lg_u32 s26, 10
	v_xor_b32_e32 v1, 0x80000000, v1
	v_xor_b32_e32 v2, 0x80000000, v2
	;; [unrolled: 1-line block ×8, first 2 shown]
	s_cbranch_scc0 .LBB149_20
.LBB149_2:                              ; =>This Loop Header: Depth=1
                                        ;     Child Loop BB149_4 Depth 2
	v_xor_b32_e32 v0, 0x80000000, v2
	v_xor_b32_e32 v2, 0x80000000, v1
	;; [unrolled: 1-line block ×5, first 2 shown]
	ds_bpermute_b32 v1, v33, v0
	ds_bpermute_b32 v3, v33, v2
	v_xor_b32_e32 v5, 0x80000000, v5
	ds_bpermute_b32 v19, v33, v12
	v_xor_b32_e32 v6, 0x80000000, v6
	ds_bpermute_b32 v20, v33, v7
	ds_bpermute_b32 v22, v34, v0
	v_xor_b32_e32 v4, 0x80000000, v4
	ds_bpermute_b32 v21, v33, v5
	ds_bpermute_b32 v23, v33, v6
	;; [unrolled: 1-line block ×12, first 2 shown]
	s_waitcnt lgkmcnt(16)
	v_cndmask_b32_e64 v1, 0, v1, s1
	ds_bpermute_b32 v48, v35, v12
	s_waitcnt lgkmcnt(16)
	v_cndmask_b32_e64 v3, 0, v3, s1
	ds_bpermute_b32 v46, v34, v13
	ds_bpermute_b32 v47, v34, v4
	s_waitcnt lgkmcnt(17)
	v_cndmask_b32_e64 v1, v1, v19, s2
	ds_bpermute_b32 v19, v35, v5
	ds_bpermute_b32 v50, v35, v6
	s_waitcnt lgkmcnt(17)
	v_cndmask_b32_e64 v22, 0, v22, s1
	v_cndmask_b32_e64 v3, v3, v20, s2
	s_waitcnt lgkmcnt(15)
	v_cndmask_b32_e64 v1, v1, v23, s3
	s_waitcnt lgkmcnt(14)
	v_cndmask_b32_e64 v20, 0, v25, s1
	ds_bpermute_b32 v23, v36, v0
	s_waitcnt lgkmcnt(14)
	v_cndmask_b32_e64 v0, v22, v27, s2
	v_cndmask_b32_e64 v3, v3, v21, s3
	s_waitcnt lgkmcnt(13)
	v_cndmask_b32_e64 v22, 0, v32, s1
	s_waitcnt lgkmcnt(11)
	;; [unrolled: 2-line block ×4, first 2 shown]
	v_cndmask_b32_e64 v21, 0, v31, s1
	ds_bpermute_b32 v25, v36, v2
	v_cndmask_b32_e64 v2, v0, v30, s3
	s_waitcnt lgkmcnt(8)
	v_cndmask_b32_e64 v22, v22, v49, s2
	v_cndmask_b32_e64 v0, v3, v24, s4
	ds_bpermute_b32 v12, v36, v12
	ds_bpermute_b32 v24, v33, v15
	;; [unrolled: 1-line block ×3, first 2 shown]
	s_waitcnt lgkmcnt(10)
	v_cndmask_b32_e64 v20, v20, v29, s3
	s_waitcnt lgkmcnt(9)
	v_cndmask_b32_e64 v21, v21, v48, s2
	;; [unrolled: 2-line block ×3, first 2 shown]
	ds_bpermute_b32 v22, v35, v4
	ds_bpermute_b32 v7, v36, v7
	;; [unrolled: 1-line block ×4, first 2 shown]
	v_cndmask_b32_e64 v3, v2, v47, s4
	v_cndmask_b32_e64 v2, v20, v46, s4
	s_waitcnt lgkmcnt(9)
	v_cndmask_b32_e64 v20, v21, v50, s3
	ds_bpermute_b32 v21, v35, v13
	ds_bpermute_b32 v6, v36, v6
	;; [unrolled: 1-line block ×7, first 2 shown]
	s_waitcnt lgkmcnt(15)
	v_cndmask_b32_e64 v23, 0, v23, s1
	ds_bpermute_b32 v30, v36, v4
	ds_bpermute_b32 v13, v36, v13
	;; [unrolled: 1-line block ×6, first 2 shown]
	s_waitcnt lgkmcnt(20)
	v_cndmask_b32_e64 v25, 0, v25, s1
	s_waitcnt lgkmcnt(19)
	v_cndmask_b32_e64 v4, v23, v12, s2
	;; [unrolled: 2-line block ×6, first 2 shown]
	ds_bpermute_b32 v25, v35, v17
	s_waitcnt lgkmcnt(15)
	v_cndmask_b32_e64 v12, v12, v27, s2
	s_waitcnt lgkmcnt(14)
	v_cndmask_b32_e64 v20, v23, v28, s2
	;; [unrolled: 2-line block ×3, first 2 shown]
	v_cndmask_b32_e64 v4, v19, v21, s4
	s_waitcnt lgkmcnt(11)
	v_cndmask_b32_e64 v19, v7, v29, s3
	s_waitcnt lgkmcnt(10)
	;; [unrolled: 2-line block ×11, first 2 shown]
	v_cndmask_b32_e64 v20, v22, v51, s2
	ds_bpermute_b32 v21, v34, v9
	ds_bpermute_b32 v22, v35, v15
	;; [unrolled: 1-line block ×19, first 2 shown]
	s_mov_b32 s27, 8
	s_waitcnt lgkmcnt(18)
	v_cndmask_b32_e64 v19, v19, v21, s3
	s_waitcnt lgkmcnt(17)
	v_cndmask_b32_e64 v21, 0, v22, s1
	;; [unrolled: 2-line block ×5, first 2 shown]
	s_mov_b32 s28, 32
	v_cndmask_b32_e64 v21, v21, v25, s2
	s_waitcnt lgkmcnt(13)
	v_cndmask_b32_e64 v22, v22, v26, s2
	s_waitcnt lgkmcnt(12)
	;; [unrolled: 2-line block ×14, first 2 shown]
	v_cndmask_b32_e64 v10, v21, v10, s4
	s_mov_b32 s29, 0
	s_barrier
	s_branch .LBB149_4
.LBB149_3:                              ;   in Loop: Header=BB149_4 Depth=2
	s_barrier
	buffer_gl0_inv
	ds_store_b64 v46, v[16:17]
	ds_store_b64 v47, v[27:28]
	;; [unrolled: 1-line block ×4, first 2 shown]
	s_waitcnt lgkmcnt(0)
	s_barrier
	buffer_gl0_inv
	ds_load_2addr_b64 v[0:3], v43 offset1:32
	ds_load_2addr_b64 v[4:7], v43 offset0:64 offset1:96
	s_waitcnt lgkmcnt(0)
	s_barrier
	buffer_gl0_inv
	ds_store_b64 v46, v[21:22]
	ds_store_b64 v47, v[19:20]
	;; [unrolled: 1-line block ×4, first 2 shown]
	s_waitcnt lgkmcnt(0)
	s_barrier
	buffer_gl0_inv
	ds_load_2addr_b64 v[12:15], v43 offset1:32
	ds_load_2addr_b64 v[8:11], v43 offset0:64 offset1:96
	s_add_i32 s28, s28, -8
	s_add_i32 s27, s27, 8
	s_add_i32 s29, s29, 8
	s_waitcnt lgkmcnt(0)
	s_barrier
	s_cbranch_execz .LBB149_1
.LBB149_4:                              ;   Parent Loop BB149_2 Depth=1
                                        ; =>  This Inner Loop Header: Depth=2
	s_min_i32 s16, s27, 32
	s_cmp_lt_u32 s29, 32
	v_dual_mov_b32 v17, v1 :: v_dual_mov_b32 v16, v0
	s_cselect_b32 vcc_lo, -1, 0
	s_cmp_gt_u32 s29, 24
	v_mov_b32_e32 v30, v7
	s_cselect_b32 s15, -1, 0
	s_sub_i32 s16, s16, 32
	v_lshrrev_b32_e32 v1, s29, v17
	s_add_i32 s17, s16, s28
	v_mov_b32_e32 v32, v5
	s_lshl_b32 s17, -1, s17
	buffer_gl0_inv
	s_not_b32 s17, s17
	s_cmp_lg_u32 s16, s29
	v_mov_b32_e32 v28, v3
	s_cselect_b32 s30, s17, -1
	s_max_i32 s31, s28, 0
	s_max_i32 s16, s29, 32
	v_and_b32_e32 v1, s30, v1
	s_sub_i32 s17, s16, s31
	s_sub_i32 s33, s16, 32
	;; [unrolled: 1-line block ×3, first 2 shown]
	v_lshrrev_b32_e32 v0, s33, v16
	s_min_i32 s16, s17, 32
	v_cndmask_b32_e32 v1, 0, v1, vcc_lo
	s_sub_i32 s16, s16, s33
	v_mov_b32_e32 v27, v2
	s_lshl_b32 s17, -1, s16
	v_mov_b32_e32 v29, v6
	s_not_b32 s17, s17
	s_cmp_lg_u32 s16, 32
	v_mov_b32_e32 v31, v4
	s_cselect_b32 s34, s17, -1
	s_delay_alu instid0(SALU_CYCLE_1) | instskip(NEXT) | instid1(VALU_DEP_1)
	v_and_b32_e32 v0, s34, v0
	v_lshlrev_b32_e32 v0, s31, v0
	s_delay_alu instid0(VALU_DEP_1) | instskip(NEXT) | instid1(VALU_DEP_1)
	v_cndmask_b32_e64 v0, 0, v0, s15
	v_or_b32_e32 v46, v1, v0
	s_delay_alu instid0(VALU_DEP_1)
	v_and_b32_e32 v0, 1, v46
	v_lshlrev_b32_e32 v1, 30, v46
	v_lshlrev_b32_e32 v19, 29, v46
	;; [unrolled: 1-line block ×4, first 2 shown]
	v_add_co_u32 v0, s16, v0, -1
	s_delay_alu instid0(VALU_DEP_1)
	v_cndmask_b32_e64 v21, 0, 1, s16
	v_not_b32_e32 v25, v1
	v_cmp_gt_i32_e64 s17, 0, v1
	v_lshlrev_b32_e32 v23, 26, v46
	v_lshlrev_b32_e32 v24, 25, v46
	v_cmp_ne_u32_e64 s16, 0, v21
	v_ashrrev_i32_e32 v25, 31, v25
	v_lshlrev_b32_e32 v21, 24, v46
	s_delay_alu instid0(VALU_DEP_3) | instskip(NEXT) | instid1(VALU_DEP_3)
	v_xor_b32_e32 v0, s16, v0
	v_xor_b32_e32 v25, s17, v25
	s_delay_alu instid0(VALU_DEP_2) | instskip(NEXT) | instid1(VALU_DEP_1)
	v_and_b32_e32 v0, exec_lo, v0
	v_and_b32_e32 v0, v0, v25
	v_mov_b32_e32 v26, v9
	v_not_b32_e32 v1, v19
	v_cmp_gt_i32_e64 s16, 0, v19
	v_mov_b32_e32 v25, v8
	v_not_b32_e32 v19, v20
	v_cmp_gt_i32_e64 s17, 0, v20
	v_ashrrev_i32_e32 v1, 31, v1
	v_not_b32_e32 v20, v22
	s_delay_alu instid0(VALU_DEP_4) | instskip(NEXT) | instid1(VALU_DEP_3)
	v_ashrrev_i32_e32 v19, 31, v19
	v_xor_b32_e32 v1, s16, v1
	v_cmp_gt_i32_e64 s16, 0, v22
	v_not_b32_e32 v22, v23
	v_ashrrev_i32_e32 v20, 31, v20
	v_xor_b32_e32 v19, s17, v19
	v_and_b32_e32 v0, v0, v1
	v_cmp_gt_i32_e64 s17, 0, v23
	v_not_b32_e32 v1, v24
	v_ashrrev_i32_e32 v22, 31, v22
	v_xor_b32_e32 v20, s16, v20
	v_and_b32_e32 v0, v0, v19
	v_cmp_gt_i32_e64 s16, 0, v24
	v_not_b32_e32 v19, v21
	v_ashrrev_i32_e32 v1, 31, v1
	v_xor_b32_e32 v22, s17, v22
	v_and_b32_e32 v0, v0, v20
	v_cmp_gt_i32_e64 s17, 0, v21
	v_ashrrev_i32_e32 v23, 31, v19
	v_xor_b32_e32 v1, s16, v1
	v_mov_b32_e32 v20, v15
	v_and_b32_e32 v0, v0, v22
	v_dual_mov_b32 v22, v13 :: v_dual_mov_b32 v21, v12
	v_xor_b32_e32 v12, s17, v23
	v_mov_b32_e32 v24, v11
	s_delay_alu instid0(VALU_DEP_4) | instskip(SKIP_2) | instid1(VALU_DEP_3)
	v_dual_mov_b32 v23, v10 :: v_dual_and_b32 v0, v0, v1
	v_mov_b32_e32 v1, s22
	v_dual_mov_b32 v9, s24 :: v_dual_mov_b32 v2, s23
	v_and_b32_e32 v0, v0, v12
	v_mov_b32_e32 v10, s25
	ds_store_2addr_b64 v37, v[1:2], v[9:10] offset0:1 offset1:2
	ds_store_2addr_b64 v38, v[1:2], v[9:10] offset0:2 offset1:3
	v_mbcnt_lo_u32_b32 v8, v0, 0
	v_lshl_add_u32 v1, v46, 1, v44
	v_cmp_ne_u32_e64 s17, 0, v0
	v_mov_b32_e32 v19, v14
	s_waitcnt lgkmcnt(0)
	v_cmp_eq_u32_e64 s16, 0, v8
	v_lshl_add_u32 v9, v1, 2, 8
	s_barrier
	buffer_gl0_inv
	s_and_b32 s17, s16, s17
	; wave barrier
	s_delay_alu instid0(SALU_CYCLE_1)
	s_and_saveexec_b32 s16, s17
	s_cbranch_execz .LBB149_6
; %bb.5:                                ;   in Loop: Header=BB149_4 Depth=2
	v_bcnt_u32_b32 v0, v0, 0
	ds_store_b32 v9, v0
.LBB149_6:                              ;   in Loop: Header=BB149_4 Depth=2
	s_or_b32 exec_lo, exec_lo, s16
	v_lshrrev_b32_e32 v0, s33, v27
	v_lshrrev_b32_e32 v1, s29, v28
	; wave barrier
	s_delay_alu instid0(VALU_DEP_1) | instskip(NEXT) | instid1(VALU_DEP_1)
	v_and_b32_e32 v1, s30, v1
	v_dual_cndmask_b32 v1, 0, v1 :: v_dual_and_b32 v0, s34, v0
	s_delay_alu instid0(VALU_DEP_1) | instskip(NEXT) | instid1(VALU_DEP_1)
	v_lshlrev_b32_e32 v0, s31, v0
	v_cndmask_b32_e64 v0, 0, v0, s15
	s_delay_alu instid0(VALU_DEP_1) | instskip(NEXT) | instid1(VALU_DEP_1)
	v_or_b32_e32 v0, v1, v0
	v_and_b32_e32 v1, 1, v0
	v_lshlrev_b32_e32 v2, 30, v0
	v_lshlrev_b32_e32 v3, 29, v0
	;; [unrolled: 1-line block ×4, first 2 shown]
	v_add_co_u32 v1, s16, v1, -1
	s_delay_alu instid0(VALU_DEP_1)
	v_cndmask_b32_e64 v5, 0, 1, s16
	v_not_b32_e32 v11, v2
	v_cmp_gt_i32_e64 s17, 0, v2
	v_not_b32_e32 v2, v3
	v_lshlrev_b32_e32 v7, 26, v0
	v_cmp_ne_u32_e64 s16, 0, v5
	v_ashrrev_i32_e32 v11, 31, v11
	v_lshlrev_b32_e32 v10, 25, v0
	v_ashrrev_i32_e32 v2, 31, v2
	v_lshlrev_b32_e32 v5, 24, v0
	v_xor_b32_e32 v1, s16, v1
	v_cmp_gt_i32_e64 s16, 0, v3
	v_not_b32_e32 v3, v4
	v_xor_b32_e32 v11, s17, v11
	v_cmp_gt_i32_e64 s17, 0, v4
	v_and_b32_e32 v1, exec_lo, v1
	v_not_b32_e32 v4, v6
	v_ashrrev_i32_e32 v3, 31, v3
	v_xor_b32_e32 v2, s16, v2
	v_cmp_gt_i32_e64 s16, 0, v6
	v_and_b32_e32 v1, v1, v11
	v_not_b32_e32 v6, v7
	v_ashrrev_i32_e32 v4, 31, v4
	v_xor_b32_e32 v3, s17, v3
	v_cmp_gt_i32_e64 s17, 0, v7
	v_and_b32_e32 v1, v1, v2
	;; [unrolled: 5-line block ×3, first 2 shown]
	v_not_b32_e32 v3, v5
	v_ashrrev_i32_e32 v2, 31, v2
	v_xor_b32_e32 v6, s17, v6
	v_lshlrev_b32_e32 v0, 1, v0
	v_and_b32_e32 v1, v1, v4
	v_cmp_gt_i32_e64 s17, 0, v5
	v_ashrrev_i32_e32 v3, 31, v3
	v_xor_b32_e32 v2, s16, v2
	v_add_lshl_u32 v4, v0, v44, 2
	v_and_b32_e32 v1, v1, v6
	s_delay_alu instid0(VALU_DEP_4) | instskip(SKIP_3) | instid1(VALU_DEP_2)
	v_xor_b32_e32 v0, s17, v3
	ds_load_b32 v10, v4 offset:8
	v_and_b32_e32 v1, v1, v2
	v_add_nc_u32_e32 v12, 8, v4
	; wave barrier
	v_and_b32_e32 v0, v1, v0
	s_delay_alu instid0(VALU_DEP_1) | instskip(SKIP_1) | instid1(VALU_DEP_2)
	v_mbcnt_lo_u32_b32 v11, v0, 0
	v_cmp_ne_u32_e64 s17, 0, v0
	v_cmp_eq_u32_e64 s16, 0, v11
	s_delay_alu instid0(VALU_DEP_1) | instskip(NEXT) | instid1(SALU_CYCLE_1)
	s_and_b32 s17, s16, s17
	s_and_saveexec_b32 s16, s17
	s_cbranch_execz .LBB149_8
; %bb.7:                                ;   in Loop: Header=BB149_4 Depth=2
	s_waitcnt lgkmcnt(0)
	v_bcnt_u32_b32 v0, v0, v10
	ds_store_b32 v12, v0
.LBB149_8:                              ;   in Loop: Header=BB149_4 Depth=2
	s_or_b32 exec_lo, exec_lo, s16
	v_lshrrev_b32_e32 v0, s33, v31
	v_lshrrev_b32_e32 v1, s29, v32
	; wave barrier
	s_delay_alu instid0(VALU_DEP_1) | instskip(NEXT) | instid1(VALU_DEP_1)
	v_and_b32_e32 v1, s30, v1
	v_dual_cndmask_b32 v1, 0, v1 :: v_dual_and_b32 v0, s34, v0
	s_delay_alu instid0(VALU_DEP_1) | instskip(NEXT) | instid1(VALU_DEP_1)
	v_lshlrev_b32_e32 v0, s31, v0
	v_cndmask_b32_e64 v0, 0, v0, s15
	s_delay_alu instid0(VALU_DEP_1) | instskip(NEXT) | instid1(VALU_DEP_1)
	v_or_b32_e32 v0, v1, v0
	v_and_b32_e32 v1, 1, v0
	v_lshlrev_b32_e32 v2, 30, v0
	v_lshlrev_b32_e32 v3, 29, v0
	v_lshlrev_b32_e32 v4, 28, v0
	v_lshlrev_b32_e32 v6, 27, v0
	v_add_co_u32 v1, s16, v1, -1
	s_delay_alu instid0(VALU_DEP_1)
	v_cndmask_b32_e64 v5, 0, 1, s16
	v_not_b32_e32 v14, v2
	v_cmp_gt_i32_e64 s17, 0, v2
	v_not_b32_e32 v2, v3
	v_lshlrev_b32_e32 v7, 26, v0
	v_cmp_ne_u32_e64 s16, 0, v5
	v_ashrrev_i32_e32 v14, 31, v14
	v_lshlrev_b32_e32 v13, 25, v0
	v_ashrrev_i32_e32 v2, 31, v2
	v_lshlrev_b32_e32 v5, 24, v0
	v_xor_b32_e32 v1, s16, v1
	v_cmp_gt_i32_e64 s16, 0, v3
	v_not_b32_e32 v3, v4
	v_xor_b32_e32 v14, s17, v14
	v_cmp_gt_i32_e64 s17, 0, v4
	v_and_b32_e32 v1, exec_lo, v1
	v_not_b32_e32 v4, v6
	v_ashrrev_i32_e32 v3, 31, v3
	v_xor_b32_e32 v2, s16, v2
	v_cmp_gt_i32_e64 s16, 0, v6
	v_and_b32_e32 v1, v1, v14
	v_not_b32_e32 v6, v7
	v_ashrrev_i32_e32 v4, 31, v4
	v_xor_b32_e32 v3, s17, v3
	v_cmp_gt_i32_e64 s17, 0, v7
	v_and_b32_e32 v1, v1, v2
	;; [unrolled: 5-line block ×3, first 2 shown]
	v_not_b32_e32 v3, v5
	v_ashrrev_i32_e32 v2, 31, v2
	v_xor_b32_e32 v6, s17, v6
	v_lshlrev_b32_e32 v0, 1, v0
	v_and_b32_e32 v1, v1, v4
	v_cmp_gt_i32_e64 s17, 0, v5
	v_ashrrev_i32_e32 v3, 31, v3
	v_xor_b32_e32 v2, s16, v2
	v_add_lshl_u32 v4, v0, v44, 2
	v_and_b32_e32 v1, v1, v6
	s_delay_alu instid0(VALU_DEP_4) | instskip(SKIP_3) | instid1(VALU_DEP_2)
	v_xor_b32_e32 v0, s17, v3
	ds_load_b32 v13, v4 offset:8
	v_and_b32_e32 v1, v1, v2
	v_add_nc_u32_e32 v15, 8, v4
	; wave barrier
	v_and_b32_e32 v0, v1, v0
	s_delay_alu instid0(VALU_DEP_1) | instskip(SKIP_1) | instid1(VALU_DEP_2)
	v_mbcnt_lo_u32_b32 v14, v0, 0
	v_cmp_ne_u32_e64 s17, 0, v0
	v_cmp_eq_u32_e64 s16, 0, v14
	s_delay_alu instid0(VALU_DEP_1) | instskip(NEXT) | instid1(SALU_CYCLE_1)
	s_and_b32 s17, s16, s17
	s_and_saveexec_b32 s16, s17
	s_cbranch_execz .LBB149_10
; %bb.9:                                ;   in Loop: Header=BB149_4 Depth=2
	s_waitcnt lgkmcnt(0)
	v_bcnt_u32_b32 v0, v0, v13
	ds_store_b32 v15, v0
.LBB149_10:                             ;   in Loop: Header=BB149_4 Depth=2
	s_or_b32 exec_lo, exec_lo, s16
	v_lshrrev_b32_e32 v0, s33, v29
	v_lshrrev_b32_e32 v1, s29, v30
	; wave barrier
	s_delay_alu instid0(VALU_DEP_1) | instskip(NEXT) | instid1(VALU_DEP_1)
	v_and_b32_e32 v1, s30, v1
	v_dual_cndmask_b32 v1, 0, v1 :: v_dual_and_b32 v0, s34, v0
	s_delay_alu instid0(VALU_DEP_1) | instskip(NEXT) | instid1(VALU_DEP_1)
	v_lshlrev_b32_e32 v0, s31, v0
	v_cndmask_b32_e64 v0, 0, v0, s15
	s_delay_alu instid0(VALU_DEP_1) | instskip(NEXT) | instid1(VALU_DEP_1)
	v_or_b32_e32 v0, v1, v0
	v_and_b32_e32 v1, 1, v0
	v_lshlrev_b32_e32 v2, 30, v0
	v_lshlrev_b32_e32 v3, 29, v0
	;; [unrolled: 1-line block ×4, first 2 shown]
	v_add_co_u32 v1, s15, v1, -1
	s_delay_alu instid0(VALU_DEP_1)
	v_cndmask_b32_e64 v5, 0, 1, s15
	v_not_b32_e32 v47, v2
	v_cmp_gt_i32_e64 s15, 0, v2
	v_not_b32_e32 v2, v3
	v_lshlrev_b32_e32 v7, 26, v0
	v_cmp_ne_u32_e32 vcc_lo, 0, v5
	v_ashrrev_i32_e32 v47, 31, v47
	v_lshlrev_b32_e32 v46, 25, v0
	v_ashrrev_i32_e32 v2, 31, v2
	v_lshlrev_b32_e32 v5, 24, v0
	v_xor_b32_e32 v1, vcc_lo, v1
	v_cmp_gt_i32_e32 vcc_lo, 0, v3
	v_not_b32_e32 v3, v4
	v_xor_b32_e32 v47, s15, v47
	v_cmp_gt_i32_e64 s15, 0, v4
	v_and_b32_e32 v1, exec_lo, v1
	v_not_b32_e32 v4, v6
	v_ashrrev_i32_e32 v3, 31, v3
	v_xor_b32_e32 v2, vcc_lo, v2
	v_cmp_gt_i32_e32 vcc_lo, 0, v6
	v_and_b32_e32 v1, v1, v47
	v_not_b32_e32 v6, v7
	v_ashrrev_i32_e32 v4, 31, v4
	v_xor_b32_e32 v3, s15, v3
	v_cmp_gt_i32_e64 s15, 0, v7
	v_and_b32_e32 v1, v1, v2
	v_not_b32_e32 v2, v46
	v_ashrrev_i32_e32 v6, 31, v6
	v_xor_b32_e32 v4, vcc_lo, v4
	v_cmp_gt_i32_e32 vcc_lo, 0, v46
	v_and_b32_e32 v1, v1, v3
	v_not_b32_e32 v3, v5
	v_ashrrev_i32_e32 v2, 31, v2
	v_xor_b32_e32 v6, s15, v6
	v_lshlrev_b32_e32 v0, 1, v0
	v_and_b32_e32 v1, v1, v4
	v_cmp_gt_i32_e64 s15, 0, v5
	v_ashrrev_i32_e32 v3, 31, v3
	v_xor_b32_e32 v2, vcc_lo, v2
	v_add_lshl_u32 v4, v0, v44, 2
	v_and_b32_e32 v1, v1, v6
	s_delay_alu instid0(VALU_DEP_4) | instskip(SKIP_3) | instid1(VALU_DEP_2)
	v_xor_b32_e32 v0, s15, v3
	ds_load_b32 v46, v4 offset:8
	v_and_b32_e32 v1, v1, v2
	v_add_nc_u32_e32 v48, 8, v4
	; wave barrier
	v_and_b32_e32 v0, v1, v0
	s_delay_alu instid0(VALU_DEP_1) | instskip(SKIP_1) | instid1(VALU_DEP_2)
	v_mbcnt_lo_u32_b32 v47, v0, 0
	v_cmp_ne_u32_e64 s15, 0, v0
	v_cmp_eq_u32_e32 vcc_lo, 0, v47
	s_delay_alu instid0(VALU_DEP_2) | instskip(NEXT) | instid1(SALU_CYCLE_1)
	s_and_b32 s16, vcc_lo, s15
	s_and_saveexec_b32 s15, s16
	s_cbranch_execz .LBB149_12
; %bb.11:                               ;   in Loop: Header=BB149_4 Depth=2
	s_waitcnt lgkmcnt(0)
	v_bcnt_u32_b32 v0, v0, v46
	ds_store_b32 v48, v0
.LBB149_12:                             ;   in Loop: Header=BB149_4 Depth=2
	s_or_b32 exec_lo, exec_lo, s15
	; wave barrier
	s_waitcnt lgkmcnt(0)
	s_barrier
	buffer_gl0_inv
	ds_load_2addr_b64 v[4:7], v37 offset0:1 offset1:2
	ds_load_2addr_b64 v[0:3], v38 offset0:2 offset1:3
	s_waitcnt lgkmcnt(1)
	v_add_nc_u32_e32 v49, v5, v4
	s_delay_alu instid0(VALU_DEP_1) | instskip(SKIP_1) | instid1(VALU_DEP_1)
	v_add3_u32 v49, v49, v6, v7
	s_waitcnt lgkmcnt(0)
	v_add3_u32 v49, v49, v0, v1
	s_delay_alu instid0(VALU_DEP_1) | instskip(NEXT) | instid1(VALU_DEP_1)
	v_add3_u32 v3, v49, v2, v3
	v_mov_b32_dpp v49, v3 row_shr:1 row_mask:0xf bank_mask:0xf
	s_delay_alu instid0(VALU_DEP_1) | instskip(NEXT) | instid1(VALU_DEP_1)
	v_cndmask_b32_e64 v49, v49, 0, s5
	v_add_nc_u32_e32 v3, v49, v3
	s_delay_alu instid0(VALU_DEP_1) | instskip(NEXT) | instid1(VALU_DEP_1)
	v_mov_b32_dpp v49, v3 row_shr:2 row_mask:0xf bank_mask:0xf
	v_cndmask_b32_e64 v49, 0, v49, s6
	s_delay_alu instid0(VALU_DEP_1) | instskip(NEXT) | instid1(VALU_DEP_1)
	v_add_nc_u32_e32 v3, v3, v49
	v_mov_b32_dpp v49, v3 row_shr:4 row_mask:0xf bank_mask:0xf
	s_delay_alu instid0(VALU_DEP_1) | instskip(NEXT) | instid1(VALU_DEP_1)
	v_cndmask_b32_e64 v49, 0, v49, s7
	v_add_nc_u32_e32 v3, v3, v49
	s_delay_alu instid0(VALU_DEP_1) | instskip(NEXT) | instid1(VALU_DEP_1)
	v_mov_b32_dpp v49, v3 row_shr:8 row_mask:0xf bank_mask:0xf
	v_cndmask_b32_e64 v49, 0, v49, s8
	s_delay_alu instid0(VALU_DEP_1) | instskip(SKIP_3) | instid1(VALU_DEP_1)
	v_add_nc_u32_e32 v3, v3, v49
	ds_swizzle_b32 v49, v3 offset:swizzle(BROADCAST,32,15)
	s_waitcnt lgkmcnt(0)
	v_cndmask_b32_e64 v49, v49, 0, s9
	v_add_nc_u32_e32 v3, v3, v49
	s_and_saveexec_b32 s15, s14
	s_cbranch_execz .LBB149_14
; %bb.13:                               ;   in Loop: Header=BB149_4 Depth=2
	ds_store_b32 v39, v3
.LBB149_14:                             ;   in Loop: Header=BB149_4 Depth=2
	s_or_b32 exec_lo, exec_lo, s15
	s_waitcnt lgkmcnt(0)
	s_barrier
	buffer_gl0_inv
	s_and_saveexec_b32 s15, s10
	s_cbranch_execz .LBB149_16
; %bb.15:                               ;   in Loop: Header=BB149_4 Depth=2
	ds_load_b32 v49, v41
	s_waitcnt lgkmcnt(0)
	v_mov_b32_dpp v50, v49 row_shr:1 row_mask:0xf bank_mask:0xf
	s_delay_alu instid0(VALU_DEP_1) | instskip(NEXT) | instid1(VALU_DEP_1)
	v_cndmask_b32_e64 v50, v50, 0, s13
	v_add_nc_u32_e32 v49, v50, v49
	ds_store_b32 v41, v49
.LBB149_16:                             ;   in Loop: Header=BB149_4 Depth=2
	s_or_b32 exec_lo, exec_lo, s15
	v_mov_b32_e32 v49, 0
	s_waitcnt lgkmcnt(0)
	s_barrier
	buffer_gl0_inv
	s_and_saveexec_b32 s15, s11
	s_cbranch_execz .LBB149_18
; %bb.17:                               ;   in Loop: Header=BB149_4 Depth=2
	ds_load_b32 v49, v42
.LBB149_18:                             ;   in Loop: Header=BB149_4 Depth=2
	s_or_b32 exec_lo, exec_lo, s15
	s_waitcnt lgkmcnt(0)
	v_add_nc_u32_e32 v3, v49, v3
	s_cmp_gt_u32 s29, 55
	ds_bpermute_b32 v3, v40, v3
	s_waitcnt lgkmcnt(0)
	v_cndmask_b32_e64 v3, v3, v49, s0
	s_delay_alu instid0(VALU_DEP_1) | instskip(NEXT) | instid1(VALU_DEP_1)
	v_cndmask_b32_e64 v3, v3, 0, s12
	v_add_nc_u32_e32 v4, v3, v4
	s_delay_alu instid0(VALU_DEP_1) | instskip(NEXT) | instid1(VALU_DEP_1)
	v_add_nc_u32_e32 v5, v4, v5
	v_add_nc_u32_e32 v6, v5, v6
	s_delay_alu instid0(VALU_DEP_1) | instskip(SKIP_1) | instid1(VALU_DEP_2)
	v_add_nc_u32_e32 v49, v6, v7
	v_lshlrev_b32_e32 v7, 3, v14
	v_add_nc_u32_e32 v50, v49, v0
	s_delay_alu instid0(VALU_DEP_1) | instskip(NEXT) | instid1(VALU_DEP_1)
	v_add_nc_u32_e32 v0, v50, v1
	v_add_nc_u32_e32 v1, v0, v2
	ds_store_2addr_b64 v37, v[3:4], v[5:6] offset0:1 offset1:2
	ds_store_2addr_b64 v38, v[49:50], v[0:1] offset0:2 offset1:3
	s_waitcnt lgkmcnt(0)
	s_barrier
	buffer_gl0_inv
	ds_load_b32 v0, v12
	ds_load_b32 v1, v15
	;; [unrolled: 1-line block ×4, first 2 shown]
	v_lshlrev_b32_e32 v4, 3, v8
	v_lshlrev_b32_e32 v5, 3, v11
	;; [unrolled: 1-line block ×6, first 2 shown]
	s_waitcnt lgkmcnt(0)
	v_lshlrev_b32_e32 v0, 3, v0
	v_lshlrev_b32_e32 v1, 3, v1
	;; [unrolled: 1-line block ×3, first 2 shown]
	v_lshl_add_u32 v46, v3, 3, v4
	s_delay_alu instid0(VALU_DEP_4) | instskip(NEXT) | instid1(VALU_DEP_4)
	v_add3_u32 v47, v5, v6, v0
	v_add3_u32 v48, v7, v8, v1
	s_delay_alu instid0(VALU_DEP_4)
	v_add3_u32 v49, v9, v10, v2
	s_cbranch_scc0 .LBB149_3
; %bb.19:                               ;   in Loop: Header=BB149_2 Depth=1
                                        ; implicit-def: $sgpr29
                                        ; implicit-def: $vgpr12_vgpr13
                                        ; implicit-def: $vgpr8_vgpr9
                                        ; implicit-def: $vgpr0_vgpr1
                                        ; implicit-def: $vgpr4_vgpr5
                                        ; implicit-def: $sgpr28
                                        ; implicit-def: $sgpr27
	s_branch .LBB149_1
.LBB149_20:
	s_waitcnt lgkmcnt(1)
	v_add_nc_u32_e32 v0, v1, v14
	v_add_nc_u32_e32 v1, v2, v15
	v_lshlrev_b32_e32 v7, 3, v18
	v_add_nc_u32_e32 v12, v12, v16
	v_add_nc_u32_e32 v13, v13, v17
	s_waitcnt lgkmcnt(0)
	v_add_nc_u32_e32 v5, v5, v8
	v_add_nc_u32_e32 v6, v6, v9
	s_add_u32 s0, s18, s20
	v_add_nc_u32_e32 v2, v3, v10
	v_add_nc_u32_e32 v3, v4, v11
	s_addc_u32 s1, s19, s21
	s_clause 0x3
	global_store_b64 v7, v[0:1], s[0:1]
	global_store_b64 v7, v[12:13], s[0:1] offset:512
	global_store_b64 v7, v[5:6], s[0:1] offset:1024
	;; [unrolled: 1-line block ×3, first 2 shown]
	s_nop 0
	s_sendmsg sendmsg(MSG_DEALLOC_VGPRS)
	s_endpgm
	.section	.rodata,"a",@progbits
	.p2align	6, 0x0
	.amdhsa_kernel _Z17sort_pairs_kernelI22helper_blocked_blockedN15benchmark_utils11custom_typeIiiEELj64ELj4ELj10EEvPKT0_PS4_
		.amdhsa_group_segment_fixed_size 2064
		.amdhsa_private_segment_fixed_size 0
		.amdhsa_kernarg_size 272
		.amdhsa_user_sgpr_count 15
		.amdhsa_user_sgpr_dispatch_ptr 0
		.amdhsa_user_sgpr_queue_ptr 0
		.amdhsa_user_sgpr_kernarg_segment_ptr 1
		.amdhsa_user_sgpr_dispatch_id 0
		.amdhsa_user_sgpr_private_segment_size 0
		.amdhsa_wavefront_size32 1
		.amdhsa_uses_dynamic_stack 0
		.amdhsa_enable_private_segment 0
		.amdhsa_system_sgpr_workgroup_id_x 1
		.amdhsa_system_sgpr_workgroup_id_y 0
		.amdhsa_system_sgpr_workgroup_id_z 0
		.amdhsa_system_sgpr_workgroup_info 0
		.amdhsa_system_vgpr_workitem_id 2
		.amdhsa_next_free_vgpr 52
		.amdhsa_next_free_sgpr 35
		.amdhsa_reserve_vcc 1
		.amdhsa_float_round_mode_32 0
		.amdhsa_float_round_mode_16_64 0
		.amdhsa_float_denorm_mode_32 3
		.amdhsa_float_denorm_mode_16_64 3
		.amdhsa_dx10_clamp 1
		.amdhsa_ieee_mode 1
		.amdhsa_fp16_overflow 0
		.amdhsa_workgroup_processor_mode 1
		.amdhsa_memory_ordered 1
		.amdhsa_forward_progress 0
		.amdhsa_shared_vgpr_count 0
		.amdhsa_exception_fp_ieee_invalid_op 0
		.amdhsa_exception_fp_denorm_src 0
		.amdhsa_exception_fp_ieee_div_zero 0
		.amdhsa_exception_fp_ieee_overflow 0
		.amdhsa_exception_fp_ieee_underflow 0
		.amdhsa_exception_fp_ieee_inexact 0
		.amdhsa_exception_int_div_zero 0
	.end_amdhsa_kernel
	.section	.text._Z17sort_pairs_kernelI22helper_blocked_blockedN15benchmark_utils11custom_typeIiiEELj64ELj4ELj10EEvPKT0_PS4_,"axG",@progbits,_Z17sort_pairs_kernelI22helper_blocked_blockedN15benchmark_utils11custom_typeIiiEELj64ELj4ELj10EEvPKT0_PS4_,comdat
.Lfunc_end149:
	.size	_Z17sort_pairs_kernelI22helper_blocked_blockedN15benchmark_utils11custom_typeIiiEELj64ELj4ELj10EEvPKT0_PS4_, .Lfunc_end149-_Z17sort_pairs_kernelI22helper_blocked_blockedN15benchmark_utils11custom_typeIiiEELj64ELj4ELj10EEvPKT0_PS4_
                                        ; -- End function
	.section	.AMDGPU.csdata,"",@progbits
; Kernel info:
; codeLenInByte = 4580
; NumSgprs: 37
; NumVgprs: 52
; ScratchSize: 0
; MemoryBound: 0
; FloatMode: 240
; IeeeMode: 1
; LDSByteSize: 2064 bytes/workgroup (compile time only)
; SGPRBlocks: 4
; VGPRBlocks: 6
; NumSGPRsForWavesPerEU: 37
; NumVGPRsForWavesPerEU: 52
; Occupancy: 16
; WaveLimiterHint : 1
; COMPUTE_PGM_RSRC2:SCRATCH_EN: 0
; COMPUTE_PGM_RSRC2:USER_SGPR: 15
; COMPUTE_PGM_RSRC2:TRAP_HANDLER: 0
; COMPUTE_PGM_RSRC2:TGID_X_EN: 1
; COMPUTE_PGM_RSRC2:TGID_Y_EN: 0
; COMPUTE_PGM_RSRC2:TGID_Z_EN: 0
; COMPUTE_PGM_RSRC2:TIDIG_COMP_CNT: 2
	.section	.text._Z16sort_keys_kernelI22helper_blocked_blockedN15benchmark_utils11custom_typeIiiEELj64ELj8ELj10EEvPKT0_PS4_,"axG",@progbits,_Z16sort_keys_kernelI22helper_blocked_blockedN15benchmark_utils11custom_typeIiiEELj64ELj8ELj10EEvPKT0_PS4_,comdat
	.protected	_Z16sort_keys_kernelI22helper_blocked_blockedN15benchmark_utils11custom_typeIiiEELj64ELj8ELj10EEvPKT0_PS4_ ; -- Begin function _Z16sort_keys_kernelI22helper_blocked_blockedN15benchmark_utils11custom_typeIiiEELj64ELj8ELj10EEvPKT0_PS4_
	.globl	_Z16sort_keys_kernelI22helper_blocked_blockedN15benchmark_utils11custom_typeIiiEELj64ELj8ELj10EEvPKT0_PS4_
	.p2align	8
	.type	_Z16sort_keys_kernelI22helper_blocked_blockedN15benchmark_utils11custom_typeIiiEELj64ELj8ELj10EEvPKT0_PS4_,@function
_Z16sort_keys_kernelI22helper_blocked_blockedN15benchmark_utils11custom_typeIiiEELj64ELj8ELj10EEvPKT0_PS4_: ; @_Z16sort_keys_kernelI22helper_blocked_blockedN15benchmark_utils11custom_typeIiiEELj64ELj8ELj10EEvPKT0_PS4_
; %bb.0:
	s_clause 0x1
	s_load_b128 s[16:19], s[0:1], 0x0
	s_load_b32 s2, s[0:1], 0x1c
	v_and_b32_e32 v16, 0x3ff, v0
	s_mov_b32 s21, 0
	s_lshl_b32 s20, s15, 9
	v_mbcnt_lo_u32_b32 v21, -1, 0
	s_lshl_b64 s[14:15], s[20:21], 3
	v_lshlrev_b32_e32 v15, 3, v16
	v_bfe_u32 v19, v0, 10, 10
	v_bfe_u32 v0, v0, 20, 10
	v_and_b32_e32 v22, 32, v16
	v_lshlrev_b32_e32 v33, 5, v16
	v_cmp_gt_u32_e64 s6, 2, v16
	v_cmp_lt_u32_e64 s7, 31, v16
	v_cmp_eq_u32_e64 s8, 0, v21
	v_or_b32_e32 v23, v21, v22
	v_mad_i32_i24 v40, 0xffffffe4, v16, v33
	v_or_b32_e32 v36, 8, v33
	v_cmp_eq_u32_e64 s9, 0, v16
	s_mov_b32 s20, s21
	s_waitcnt lgkmcnt(0)
	s_add_u32 s0, s16, s14
	s_addc_u32 s1, s17, s15
	v_lshlrev_b32_e32 v34, 6, v23
	s_clause 0x7
	global_load_b64 v[1:2], v15, s[0:1]
	global_load_b64 v[3:4], v15, s[0:1] offset:512
	global_load_b64 v[5:6], v15, s[0:1] offset:1024
	;; [unrolled: 1-line block ×7, first 2 shown]
	s_lshr_b32 s0, s2, 16
	s_mov_b32 s16, s21
	v_mad_u32_u24 v0, v0, s0, v19
	s_and_b32 s0, s2, 0xffff
	s_mov_b32 s17, s21
	s_mov_b32 s22, s21
	s_waitcnt vmcnt(0)
	v_mad_u64_u32 v[19:20], null, v0, s0, v[16:17]
	v_and_or_b32 v0, 0x100, v15, v21
	v_and_b32_e32 v15, 15, v21
	v_or_b32_e32 v20, 31, v22
	s_delay_alu instid0(VALU_DEP_3)
	v_lshlrev_b32_e32 v35, 3, v0
	v_lshrrev_b32_e32 v37, 5, v19
	v_add_nc_u32_e32 v19, -1, v21
	v_and_b32_e32 v0, 16, v21
	v_cmp_eq_u32_e64 s0, 0, v15
	v_cmp_lt_u32_e64 s1, 1, v15
	v_cmp_lt_u32_e64 s2, 3, v15
	v_cmp_gt_i32_e32 vcc_lo, 0, v19
	v_cmp_lt_u32_e64 s3, 7, v15
	v_cmp_eq_u32_e64 s4, 0, v0
	v_lshrrev_b32_e32 v15, 3, v16
	v_cmp_eq_u32_e64 s5, v20, v16
	s_delay_alu instid0(VALU_DEP_2) | instskip(SKIP_1) | instid1(VALU_DEP_2)
	v_dual_cndmask_b32 v0, v19, v21 :: v_dual_and_b32 v39, 4, v15
	v_mul_u32_u24_e32 v15, 60, v16
	v_lshlrev_b32_e32 v38, 2, v0
	v_and_b32_e32 v0, 1, v21
	s_delay_alu instid0(VALU_DEP_4) | instskip(NEXT) | instid1(VALU_DEP_4)
	v_add_nc_u32_e32 v41, -4, v39
	v_add_nc_u32_e32 v42, v40, v15
	s_delay_alu instid0(VALU_DEP_3)
	v_cmp_eq_u32_e64 s10, 0, v0
	s_branch .LBB150_2
.LBB150_1:                              ;   in Loop: Header=BB150_2 Depth=1
	s_barrier
	buffer_gl0_inv
	ds_store_b64 v43, v[17:18]
	ds_store_b64 v44, v[21:22]
	;; [unrolled: 1-line block ×8, first 2 shown]
	s_waitcnt lgkmcnt(0)
	s_barrier
	buffer_gl0_inv
	ds_load_2addr_b64 v[1:4], v42 offset1:1
	ds_load_2addr_b64 v[5:8], v42 offset0:2 offset1:3
	ds_load_2addr_b64 v[9:12], v42 offset0:4 offset1:5
	;; [unrolled: 1-line block ×3, first 2 shown]
	s_add_i32 s22, s22, 1
	s_delay_alu instid0(SALU_CYCLE_1)
	s_cmp_eq_u32 s22, 10
	s_waitcnt lgkmcnt(3)
	v_xor_b32_e32 v1, 0x80000000, v1
	v_xor_b32_e32 v2, 0x80000000, v2
	v_xor_b32_e32 v3, 0x80000000, v3
	v_xor_b32_e32 v4, 0x80000000, v4
	s_waitcnt lgkmcnt(2)
	v_xor_b32_e32 v5, 0x80000000, v5
	v_xor_b32_e32 v6, 0x80000000, v6
	v_xor_b32_e32 v7, 0x80000000, v7
	v_xor_b32_e32 v8, 0x80000000, v8
	s_waitcnt lgkmcnt(1)
	v_xor_b32_e32 v9, 0x80000000, v9
	v_xor_b32_e32 v10, 0x80000000, v10
	v_xor_b32_e32 v11, 0x80000000, v11
	v_xor_b32_e32 v12, 0x80000000, v12
	s_waitcnt lgkmcnt(0)
	v_xor_b32_e32 v13, 0x80000000, v17
	v_xor_b32_e32 v14, 0x80000000, v18
	v_xor_b32_e32 v17, 0x80000000, v19
	v_xor_b32_e32 v18, 0x80000000, v20
	s_cbranch_scc1 .LBB150_28
.LBB150_2:                              ; =>This Loop Header: Depth=1
                                        ;     Child Loop BB150_4 Depth 2
	v_xor_b32_e32 v2, 0x80000000, v2
	v_xor_b32_e32 v1, 0x80000000, v1
	;; [unrolled: 1-line block ×16, first 2 shown]
	ds_store_2addr_b64 v34, v[1:2], v[3:4] offset1:1
	ds_store_2addr_b64 v34, v[5:6], v[7:8] offset0:2 offset1:3
	ds_store_2addr_b64 v34, v[9:10], v[11:12] offset0:4 offset1:5
	;; [unrolled: 1-line block ×3, first 2 shown]
	; wave barrier
	ds_load_2addr_b64 v[0:3], v35 offset1:32
	ds_load_2addr_b64 v[4:7], v35 offset0:64 offset1:96
	ds_load_2addr_b64 v[8:11], v35 offset0:128 offset1:160
	;; [unrolled: 1-line block ×3, first 2 shown]
	s_mov_b32 s23, 8
	s_mov_b32 s24, 32
	;; [unrolled: 1-line block ×3, first 2 shown]
	s_waitcnt lgkmcnt(0)
	s_barrier
	buffer_gl0_inv
	; wave barrier
	s_barrier
	s_branch .LBB150_4
.LBB150_3:                              ;   in Loop: Header=BB150_4 Depth=2
	s_barrier
	buffer_gl0_inv
	ds_store_b64 v43, v[17:18]
	ds_store_b64 v44, v[21:22]
	;; [unrolled: 1-line block ×8, first 2 shown]
	s_waitcnt lgkmcnt(0)
	s_barrier
	buffer_gl0_inv
	ds_load_2addr_b64 v[0:3], v35 offset1:32
	ds_load_2addr_b64 v[4:7], v35 offset0:64 offset1:96
	ds_load_2addr_b64 v[8:11], v35 offset0:128 offset1:160
	;; [unrolled: 1-line block ×3, first 2 shown]
	s_add_i32 s24, s24, -8
	s_add_i32 s23, s23, 8
	s_add_i32 s25, s25, 8
	s_waitcnt lgkmcnt(0)
	s_barrier
	s_cbranch_execz .LBB150_1
.LBB150_4:                              ;   Parent Loop BB150_2 Depth=1
                                        ; =>  This Inner Loop Header: Depth=2
	s_min_i32 s12, s23, 32
	s_cmp_lt_u32 s25, 32
	v_dual_mov_b32 v18, v1 :: v_dual_mov_b32 v17, v0
	s_cselect_b32 vcc_lo, -1, 0
	s_cmp_gt_u32 s25, 24
	v_mov_b32_e32 v30, v15
	s_cselect_b32 s11, -1, 0
	s_sub_i32 s12, s12, 32
	v_lshrrev_b32_e32 v1, s25, v18
	s_add_i32 s13, s12, s24
	v_mov_b32_e32 v32, v13
	s_lshl_b32 s13, -1, s13
	buffer_gl0_inv
	s_not_b32 s13, s13
	s_cmp_lg_u32 s12, s25
	v_mov_b32_e32 v28, v7
	s_cselect_b32 s26, s13, -1
	s_max_i32 s27, s24, 0
	s_max_i32 s12, s25, 32
	v_and_b32_e32 v1, s26, v1
	s_sub_i32 s13, s12, s27
	s_sub_i32 s28, s12, 32
	;; [unrolled: 1-line block ×3, first 2 shown]
	v_lshrrev_b32_e32 v0, s28, v17
	s_min_i32 s12, s13, 32
	v_cndmask_b32_e32 v1, 0, v1, vcc_lo
	s_sub_i32 s12, s12, s28
	v_mov_b32_e32 v27, v6
	s_lshl_b32 s13, -1, s12
	v_mov_b32_e32 v29, v14
	s_not_b32 s13, s13
	s_cmp_lg_u32 s12, 32
	v_mov_b32_e32 v31, v12
	s_cselect_b32 s29, s13, -1
	s_delay_alu instid0(SALU_CYCLE_1) | instskip(NEXT) | instid1(VALU_DEP_1)
	v_and_b32_e32 v0, s29, v0
	v_lshlrev_b32_e32 v0, s27, v0
	s_delay_alu instid0(VALU_DEP_1) | instskip(NEXT) | instid1(VALU_DEP_1)
	v_cndmask_b32_e64 v0, 0, v0, s11
	v_or_b32_e32 v43, v1, v0
	s_delay_alu instid0(VALU_DEP_1)
	v_and_b32_e32 v0, 1, v43
	v_lshlrev_b32_e32 v1, 30, v43
	v_lshlrev_b32_e32 v19, 29, v43
	;; [unrolled: 1-line block ×4, first 2 shown]
	v_add_co_u32 v0, s12, v0, -1
	s_delay_alu instid0(VALU_DEP_1)
	v_cndmask_b32_e64 v21, 0, 1, s12
	v_not_b32_e32 v25, v1
	v_cmp_gt_i32_e64 s13, 0, v1
	v_not_b32_e32 v1, v19
	v_lshlrev_b32_e32 v23, 26, v43
	v_cmp_ne_u32_e64 s12, 0, v21
	v_ashrrev_i32_e32 v25, 31, v25
	v_lshlrev_b32_e32 v24, 25, v43
	v_ashrrev_i32_e32 v1, 31, v1
	v_lshlrev_b32_e32 v21, 24, v43
	v_xor_b32_e32 v0, s12, v0
	v_xor_b32_e32 v25, s13, v25
	v_cmp_gt_i32_e64 s12, 0, v19
	v_not_b32_e32 v19, v20
	v_cmp_gt_i32_e64 s13, 0, v20
	v_and_b32_e32 v0, exec_lo, v0
	s_delay_alu instid0(VALU_DEP_4) | instskip(NEXT) | instid1(VALU_DEP_4)
	v_xor_b32_e32 v1, s12, v1
	v_ashrrev_i32_e32 v19, 31, v19
	s_delay_alu instid0(VALU_DEP_3)
	v_and_b32_e32 v0, v0, v25
	v_dual_mov_b32 v26, v9 :: v_dual_mov_b32 v25, v8
	v_not_b32_e32 v20, v22
	v_cmp_gt_i32_e64 s12, 0, v22
	v_not_b32_e32 v22, v23
	v_xor_b32_e32 v19, s13, v19
	v_and_b32_e32 v0, v0, v1
	v_ashrrev_i32_e32 v20, 31, v20
	v_cmp_gt_i32_e64 s13, 0, v23
	v_not_b32_e32 v1, v24
	v_ashrrev_i32_e32 v22, 31, v22
	v_and_b32_e32 v0, v0, v19
	v_xor_b32_e32 v20, s12, v20
	v_cmp_gt_i32_e64 s12, 0, v24
	v_not_b32_e32 v19, v21
	v_ashrrev_i32_e32 v1, 31, v1
	v_xor_b32_e32 v22, s13, v22
	v_and_b32_e32 v0, v0, v20
	v_cmp_gt_i32_e64 s13, 0, v21
	v_ashrrev_i32_e32 v23, 31, v19
	v_xor_b32_e32 v1, s12, v1
	v_mov_b32_e32 v20, v5
	v_and_b32_e32 v0, v0, v22
	v_dual_mov_b32 v22, v3 :: v_dual_mov_b32 v21, v2
	v_xor_b32_e32 v3, s13, v23
	v_mov_b32_e32 v19, v4
	s_delay_alu instid0(VALU_DEP_4) | instskip(SKIP_2) | instid1(VALU_DEP_3)
	v_dual_mov_b32 v1, s20 :: v_dual_and_b32 v0, v0, v1
	v_mov_b32_e32 v2, s21
	v_dual_mov_b32 v24, v11 :: v_dual_mov_b32 v23, v10
	v_dual_mov_b32 v3, s16 :: v_dual_and_b32 v0, v0, v3
	v_mov_b32_e32 v4, s17
	ds_store_2addr_b64 v33, v[1:2], v[3:4] offset0:1 offset1:2
	ds_store_2addr_b64 v36, v[1:2], v[3:4] offset0:2 offset1:3
	v_mbcnt_lo_u32_b32 v9, v0, 0
	v_lshl_add_u32 v1, v43, 1, v37
	v_cmp_ne_u32_e64 s13, 0, v0
	s_waitcnt lgkmcnt(0)
	s_barrier
	v_cmp_eq_u32_e64 s12, 0, v9
	v_lshl_add_u32 v8, v1, 2, 8
	buffer_gl0_inv
	; wave barrier
	s_and_b32 s13, s12, s13
	s_delay_alu instid0(SALU_CYCLE_1)
	s_and_saveexec_b32 s12, s13
	s_cbranch_execz .LBB150_6
; %bb.5:                                ;   in Loop: Header=BB150_4 Depth=2
	v_bcnt_u32_b32 v0, v0, 0
	ds_store_b32 v8, v0
.LBB150_6:                              ;   in Loop: Header=BB150_4 Depth=2
	s_or_b32 exec_lo, exec_lo, s12
	v_lshrrev_b32_e32 v0, s28, v21
	v_lshrrev_b32_e32 v1, s25, v22
	; wave barrier
	s_delay_alu instid0(VALU_DEP_1) | instskip(NEXT) | instid1(VALU_DEP_1)
	v_and_b32_e32 v1, s26, v1
	v_dual_cndmask_b32 v1, 0, v1 :: v_dual_and_b32 v0, s29, v0
	s_delay_alu instid0(VALU_DEP_1) | instskip(NEXT) | instid1(VALU_DEP_1)
	v_lshlrev_b32_e32 v0, s27, v0
	v_cndmask_b32_e64 v0, 0, v0, s11
	s_delay_alu instid0(VALU_DEP_1) | instskip(NEXT) | instid1(VALU_DEP_1)
	v_or_b32_e32 v0, v1, v0
	v_and_b32_e32 v1, 1, v0
	v_lshlrev_b32_e32 v2, 30, v0
	v_lshlrev_b32_e32 v3, 29, v0
	;; [unrolled: 1-line block ×4, first 2 shown]
	v_add_co_u32 v1, s12, v1, -1
	s_delay_alu instid0(VALU_DEP_1)
	v_cndmask_b32_e64 v5, 0, 1, s12
	v_not_b32_e32 v11, v2
	v_cmp_gt_i32_e64 s13, 0, v2
	v_not_b32_e32 v2, v3
	v_lshlrev_b32_e32 v7, 26, v0
	v_cmp_ne_u32_e64 s12, 0, v5
	v_ashrrev_i32_e32 v11, 31, v11
	v_lshlrev_b32_e32 v10, 25, v0
	v_ashrrev_i32_e32 v2, 31, v2
	v_lshlrev_b32_e32 v5, 24, v0
	v_xor_b32_e32 v1, s12, v1
	v_cmp_gt_i32_e64 s12, 0, v3
	v_not_b32_e32 v3, v4
	v_xor_b32_e32 v11, s13, v11
	v_cmp_gt_i32_e64 s13, 0, v4
	v_and_b32_e32 v1, exec_lo, v1
	v_not_b32_e32 v4, v6
	v_ashrrev_i32_e32 v3, 31, v3
	v_xor_b32_e32 v2, s12, v2
	v_cmp_gt_i32_e64 s12, 0, v6
	v_and_b32_e32 v1, v1, v11
	v_not_b32_e32 v6, v7
	v_ashrrev_i32_e32 v4, 31, v4
	v_xor_b32_e32 v3, s13, v3
	v_cmp_gt_i32_e64 s13, 0, v7
	v_and_b32_e32 v1, v1, v2
	;; [unrolled: 5-line block ×3, first 2 shown]
	v_not_b32_e32 v3, v5
	v_ashrrev_i32_e32 v2, 31, v2
	v_xor_b32_e32 v6, s13, v6
	v_lshlrev_b32_e32 v0, 1, v0
	v_and_b32_e32 v1, v1, v4
	v_cmp_gt_i32_e64 s13, 0, v5
	v_ashrrev_i32_e32 v3, 31, v3
	v_xor_b32_e32 v2, s12, v2
	v_add_lshl_u32 v4, v0, v37, 2
	v_and_b32_e32 v1, v1, v6
	s_delay_alu instid0(VALU_DEP_4) | instskip(SKIP_3) | instid1(VALU_DEP_2)
	v_xor_b32_e32 v0, s13, v3
	ds_load_b32 v10, v4 offset:8
	v_and_b32_e32 v1, v1, v2
	v_add_nc_u32_e32 v11, 8, v4
	; wave barrier
	v_and_b32_e32 v0, v1, v0
	s_delay_alu instid0(VALU_DEP_1) | instskip(SKIP_1) | instid1(VALU_DEP_2)
	v_mbcnt_lo_u32_b32 v12, v0, 0
	v_cmp_ne_u32_e64 s13, 0, v0
	v_cmp_eq_u32_e64 s12, 0, v12
	s_delay_alu instid0(VALU_DEP_1) | instskip(NEXT) | instid1(SALU_CYCLE_1)
	s_and_b32 s13, s12, s13
	s_and_saveexec_b32 s12, s13
	s_cbranch_execz .LBB150_8
; %bb.7:                                ;   in Loop: Header=BB150_4 Depth=2
	s_waitcnt lgkmcnt(0)
	v_bcnt_u32_b32 v0, v0, v10
	ds_store_b32 v11, v0
.LBB150_8:                              ;   in Loop: Header=BB150_4 Depth=2
	s_or_b32 exec_lo, exec_lo, s12
	v_lshrrev_b32_e32 v0, s28, v19
	v_lshrrev_b32_e32 v1, s25, v20
	; wave barrier
	s_delay_alu instid0(VALU_DEP_1) | instskip(NEXT) | instid1(VALU_DEP_1)
	v_and_b32_e32 v1, s26, v1
	v_dual_cndmask_b32 v1, 0, v1 :: v_dual_and_b32 v0, s29, v0
	s_delay_alu instid0(VALU_DEP_1) | instskip(NEXT) | instid1(VALU_DEP_1)
	v_lshlrev_b32_e32 v0, s27, v0
	v_cndmask_b32_e64 v0, 0, v0, s11
	s_delay_alu instid0(VALU_DEP_1) | instskip(NEXT) | instid1(VALU_DEP_1)
	v_or_b32_e32 v0, v1, v0
	v_and_b32_e32 v1, 1, v0
	v_lshlrev_b32_e32 v2, 30, v0
	v_lshlrev_b32_e32 v3, 29, v0
	;; [unrolled: 1-line block ×4, first 2 shown]
	v_add_co_u32 v1, s12, v1, -1
	s_delay_alu instid0(VALU_DEP_1)
	v_cndmask_b32_e64 v5, 0, 1, s12
	v_not_b32_e32 v14, v2
	v_cmp_gt_i32_e64 s13, 0, v2
	v_not_b32_e32 v2, v3
	v_lshlrev_b32_e32 v7, 26, v0
	v_cmp_ne_u32_e64 s12, 0, v5
	v_ashrrev_i32_e32 v14, 31, v14
	v_lshlrev_b32_e32 v13, 25, v0
	v_ashrrev_i32_e32 v2, 31, v2
	v_lshlrev_b32_e32 v5, 24, v0
	v_xor_b32_e32 v1, s12, v1
	v_cmp_gt_i32_e64 s12, 0, v3
	v_not_b32_e32 v3, v4
	v_xor_b32_e32 v14, s13, v14
	v_cmp_gt_i32_e64 s13, 0, v4
	v_and_b32_e32 v1, exec_lo, v1
	v_not_b32_e32 v4, v6
	v_ashrrev_i32_e32 v3, 31, v3
	v_xor_b32_e32 v2, s12, v2
	v_cmp_gt_i32_e64 s12, 0, v6
	v_and_b32_e32 v1, v1, v14
	v_not_b32_e32 v6, v7
	v_ashrrev_i32_e32 v4, 31, v4
	v_xor_b32_e32 v3, s13, v3
	v_cmp_gt_i32_e64 s13, 0, v7
	v_and_b32_e32 v1, v1, v2
	;; [unrolled: 5-line block ×3, first 2 shown]
	v_not_b32_e32 v3, v5
	v_ashrrev_i32_e32 v2, 31, v2
	v_xor_b32_e32 v6, s13, v6
	v_lshlrev_b32_e32 v0, 1, v0
	v_and_b32_e32 v1, v1, v4
	v_cmp_gt_i32_e64 s13, 0, v5
	v_ashrrev_i32_e32 v3, 31, v3
	v_xor_b32_e32 v2, s12, v2
	v_add_lshl_u32 v4, v0, v37, 2
	v_and_b32_e32 v1, v1, v6
	s_delay_alu instid0(VALU_DEP_4) | instskip(SKIP_3) | instid1(VALU_DEP_2)
	v_xor_b32_e32 v0, s13, v3
	ds_load_b32 v13, v4 offset:8
	v_and_b32_e32 v1, v1, v2
	v_add_nc_u32_e32 v15, 8, v4
	; wave barrier
	v_and_b32_e32 v0, v1, v0
	s_delay_alu instid0(VALU_DEP_1) | instskip(SKIP_1) | instid1(VALU_DEP_2)
	v_mbcnt_lo_u32_b32 v14, v0, 0
	v_cmp_ne_u32_e64 s13, 0, v0
	v_cmp_eq_u32_e64 s12, 0, v14
	s_delay_alu instid0(VALU_DEP_1) | instskip(NEXT) | instid1(SALU_CYCLE_1)
	s_and_b32 s13, s12, s13
	s_and_saveexec_b32 s12, s13
	s_cbranch_execz .LBB150_10
; %bb.9:                                ;   in Loop: Header=BB150_4 Depth=2
	s_waitcnt lgkmcnt(0)
	v_bcnt_u32_b32 v0, v0, v13
	ds_store_b32 v15, v0
.LBB150_10:                             ;   in Loop: Header=BB150_4 Depth=2
	s_or_b32 exec_lo, exec_lo, s12
	v_lshrrev_b32_e32 v0, s28, v27
	v_lshrrev_b32_e32 v1, s25, v28
	; wave barrier
	s_delay_alu instid0(VALU_DEP_1) | instskip(NEXT) | instid1(VALU_DEP_1)
	v_and_b32_e32 v1, s26, v1
	v_dual_cndmask_b32 v1, 0, v1 :: v_dual_and_b32 v0, s29, v0
	s_delay_alu instid0(VALU_DEP_1) | instskip(NEXT) | instid1(VALU_DEP_1)
	v_lshlrev_b32_e32 v0, s27, v0
	v_cndmask_b32_e64 v0, 0, v0, s11
	s_delay_alu instid0(VALU_DEP_1) | instskip(NEXT) | instid1(VALU_DEP_1)
	v_or_b32_e32 v0, v1, v0
	v_and_b32_e32 v1, 1, v0
	v_lshlrev_b32_e32 v2, 30, v0
	v_lshlrev_b32_e32 v3, 29, v0
	v_lshlrev_b32_e32 v4, 28, v0
	v_lshlrev_b32_e32 v6, 27, v0
	v_add_co_u32 v1, s12, v1, -1
	s_delay_alu instid0(VALU_DEP_1)
	v_cndmask_b32_e64 v5, 0, 1, s12
	v_not_b32_e32 v44, v2
	v_cmp_gt_i32_e64 s13, 0, v2
	v_not_b32_e32 v2, v3
	v_lshlrev_b32_e32 v7, 26, v0
	v_cmp_ne_u32_e64 s12, 0, v5
	v_ashrrev_i32_e32 v44, 31, v44
	v_lshlrev_b32_e32 v43, 25, v0
	v_ashrrev_i32_e32 v2, 31, v2
	v_lshlrev_b32_e32 v5, 24, v0
	v_xor_b32_e32 v1, s12, v1
	v_cmp_gt_i32_e64 s12, 0, v3
	v_not_b32_e32 v3, v4
	v_xor_b32_e32 v44, s13, v44
	v_cmp_gt_i32_e64 s13, 0, v4
	v_and_b32_e32 v1, exec_lo, v1
	v_not_b32_e32 v4, v6
	v_ashrrev_i32_e32 v3, 31, v3
	v_xor_b32_e32 v2, s12, v2
	v_cmp_gt_i32_e64 s12, 0, v6
	v_and_b32_e32 v1, v1, v44
	v_not_b32_e32 v6, v7
	v_ashrrev_i32_e32 v4, 31, v4
	v_xor_b32_e32 v3, s13, v3
	v_cmp_gt_i32_e64 s13, 0, v7
	v_and_b32_e32 v1, v1, v2
	;; [unrolled: 5-line block ×3, first 2 shown]
	v_not_b32_e32 v3, v5
	v_ashrrev_i32_e32 v2, 31, v2
	v_xor_b32_e32 v6, s13, v6
	v_lshlrev_b32_e32 v0, 1, v0
	v_and_b32_e32 v1, v1, v4
	v_cmp_gt_i32_e64 s13, 0, v5
	v_ashrrev_i32_e32 v3, 31, v3
	v_xor_b32_e32 v2, s12, v2
	v_add_lshl_u32 v4, v0, v37, 2
	v_and_b32_e32 v1, v1, v6
	s_delay_alu instid0(VALU_DEP_4) | instskip(SKIP_3) | instid1(VALU_DEP_2)
	v_xor_b32_e32 v0, s13, v3
	ds_load_b32 v43, v4 offset:8
	v_and_b32_e32 v1, v1, v2
	v_add_nc_u32_e32 v45, 8, v4
	; wave barrier
	v_and_b32_e32 v0, v1, v0
	s_delay_alu instid0(VALU_DEP_1) | instskip(SKIP_1) | instid1(VALU_DEP_2)
	v_mbcnt_lo_u32_b32 v44, v0, 0
	v_cmp_ne_u32_e64 s13, 0, v0
	v_cmp_eq_u32_e64 s12, 0, v44
	s_delay_alu instid0(VALU_DEP_1) | instskip(NEXT) | instid1(SALU_CYCLE_1)
	s_and_b32 s13, s12, s13
	s_and_saveexec_b32 s12, s13
	s_cbranch_execz .LBB150_12
; %bb.11:                               ;   in Loop: Header=BB150_4 Depth=2
	s_waitcnt lgkmcnt(0)
	v_bcnt_u32_b32 v0, v0, v43
	ds_store_b32 v45, v0
.LBB150_12:                             ;   in Loop: Header=BB150_4 Depth=2
	s_or_b32 exec_lo, exec_lo, s12
	v_lshrrev_b32_e32 v0, s28, v25
	v_lshrrev_b32_e32 v1, s25, v26
	; wave barrier
	s_delay_alu instid0(VALU_DEP_1) | instskip(NEXT) | instid1(VALU_DEP_1)
	v_and_b32_e32 v1, s26, v1
	v_dual_cndmask_b32 v1, 0, v1 :: v_dual_and_b32 v0, s29, v0
	s_delay_alu instid0(VALU_DEP_1) | instskip(NEXT) | instid1(VALU_DEP_1)
	v_lshlrev_b32_e32 v0, s27, v0
	v_cndmask_b32_e64 v0, 0, v0, s11
	s_delay_alu instid0(VALU_DEP_1) | instskip(NEXT) | instid1(VALU_DEP_1)
	v_or_b32_e32 v0, v1, v0
	v_and_b32_e32 v1, 1, v0
	v_lshlrev_b32_e32 v2, 30, v0
	v_lshlrev_b32_e32 v3, 29, v0
	;; [unrolled: 1-line block ×4, first 2 shown]
	v_add_co_u32 v1, s12, v1, -1
	s_delay_alu instid0(VALU_DEP_1)
	v_cndmask_b32_e64 v5, 0, 1, s12
	v_not_b32_e32 v47, v2
	v_cmp_gt_i32_e64 s13, 0, v2
	v_not_b32_e32 v2, v3
	v_lshlrev_b32_e32 v7, 26, v0
	v_cmp_ne_u32_e64 s12, 0, v5
	v_ashrrev_i32_e32 v47, 31, v47
	v_lshlrev_b32_e32 v46, 25, v0
	v_ashrrev_i32_e32 v2, 31, v2
	v_lshlrev_b32_e32 v5, 24, v0
	v_xor_b32_e32 v1, s12, v1
	v_cmp_gt_i32_e64 s12, 0, v3
	v_not_b32_e32 v3, v4
	v_xor_b32_e32 v47, s13, v47
	v_cmp_gt_i32_e64 s13, 0, v4
	v_and_b32_e32 v1, exec_lo, v1
	v_not_b32_e32 v4, v6
	v_ashrrev_i32_e32 v3, 31, v3
	v_xor_b32_e32 v2, s12, v2
	v_cmp_gt_i32_e64 s12, 0, v6
	v_and_b32_e32 v1, v1, v47
	v_not_b32_e32 v6, v7
	v_ashrrev_i32_e32 v4, 31, v4
	v_xor_b32_e32 v3, s13, v3
	v_cmp_gt_i32_e64 s13, 0, v7
	v_and_b32_e32 v1, v1, v2
	;; [unrolled: 5-line block ×3, first 2 shown]
	v_not_b32_e32 v3, v5
	v_ashrrev_i32_e32 v2, 31, v2
	v_xor_b32_e32 v6, s13, v6
	v_lshlrev_b32_e32 v0, 1, v0
	v_and_b32_e32 v1, v1, v4
	v_cmp_gt_i32_e64 s13, 0, v5
	v_ashrrev_i32_e32 v3, 31, v3
	v_xor_b32_e32 v2, s12, v2
	v_add_lshl_u32 v4, v0, v37, 2
	v_and_b32_e32 v1, v1, v6
	s_delay_alu instid0(VALU_DEP_4) | instskip(SKIP_3) | instid1(VALU_DEP_2)
	v_xor_b32_e32 v0, s13, v3
	ds_load_b32 v46, v4 offset:8
	v_and_b32_e32 v1, v1, v2
	v_add_nc_u32_e32 v48, 8, v4
	; wave barrier
	v_and_b32_e32 v0, v1, v0
	s_delay_alu instid0(VALU_DEP_1) | instskip(SKIP_1) | instid1(VALU_DEP_2)
	v_mbcnt_lo_u32_b32 v47, v0, 0
	v_cmp_ne_u32_e64 s13, 0, v0
	v_cmp_eq_u32_e64 s12, 0, v47
	s_delay_alu instid0(VALU_DEP_1) | instskip(NEXT) | instid1(SALU_CYCLE_1)
	s_and_b32 s13, s12, s13
	s_and_saveexec_b32 s12, s13
	s_cbranch_execz .LBB150_14
; %bb.13:                               ;   in Loop: Header=BB150_4 Depth=2
	s_waitcnt lgkmcnt(0)
	v_bcnt_u32_b32 v0, v0, v46
	ds_store_b32 v48, v0
.LBB150_14:                             ;   in Loop: Header=BB150_4 Depth=2
	s_or_b32 exec_lo, exec_lo, s12
	v_lshrrev_b32_e32 v0, s28, v23
	v_lshrrev_b32_e32 v1, s25, v24
	; wave barrier
	s_delay_alu instid0(VALU_DEP_1) | instskip(NEXT) | instid1(VALU_DEP_1)
	v_and_b32_e32 v1, s26, v1
	v_dual_cndmask_b32 v1, 0, v1 :: v_dual_and_b32 v0, s29, v0
	s_delay_alu instid0(VALU_DEP_1) | instskip(NEXT) | instid1(VALU_DEP_1)
	v_lshlrev_b32_e32 v0, s27, v0
	v_cndmask_b32_e64 v0, 0, v0, s11
	s_delay_alu instid0(VALU_DEP_1) | instskip(NEXT) | instid1(VALU_DEP_1)
	v_or_b32_e32 v0, v1, v0
	v_and_b32_e32 v1, 1, v0
	v_lshlrev_b32_e32 v2, 30, v0
	v_lshlrev_b32_e32 v3, 29, v0
	;; [unrolled: 1-line block ×4, first 2 shown]
	v_add_co_u32 v1, s12, v1, -1
	s_delay_alu instid0(VALU_DEP_1)
	v_cndmask_b32_e64 v5, 0, 1, s12
	v_not_b32_e32 v50, v2
	v_cmp_gt_i32_e64 s13, 0, v2
	v_not_b32_e32 v2, v3
	v_lshlrev_b32_e32 v7, 26, v0
	v_cmp_ne_u32_e64 s12, 0, v5
	v_ashrrev_i32_e32 v50, 31, v50
	v_lshlrev_b32_e32 v49, 25, v0
	v_ashrrev_i32_e32 v2, 31, v2
	v_lshlrev_b32_e32 v5, 24, v0
	v_xor_b32_e32 v1, s12, v1
	v_cmp_gt_i32_e64 s12, 0, v3
	v_not_b32_e32 v3, v4
	v_xor_b32_e32 v50, s13, v50
	v_cmp_gt_i32_e64 s13, 0, v4
	v_and_b32_e32 v1, exec_lo, v1
	v_not_b32_e32 v4, v6
	v_ashrrev_i32_e32 v3, 31, v3
	v_xor_b32_e32 v2, s12, v2
	v_cmp_gt_i32_e64 s12, 0, v6
	v_and_b32_e32 v1, v1, v50
	v_not_b32_e32 v6, v7
	v_ashrrev_i32_e32 v4, 31, v4
	v_xor_b32_e32 v3, s13, v3
	v_cmp_gt_i32_e64 s13, 0, v7
	v_and_b32_e32 v1, v1, v2
	;; [unrolled: 5-line block ×3, first 2 shown]
	v_not_b32_e32 v3, v5
	v_ashrrev_i32_e32 v2, 31, v2
	v_xor_b32_e32 v6, s13, v6
	v_lshlrev_b32_e32 v0, 1, v0
	v_and_b32_e32 v1, v1, v4
	v_cmp_gt_i32_e64 s13, 0, v5
	v_ashrrev_i32_e32 v3, 31, v3
	v_xor_b32_e32 v2, s12, v2
	v_add_lshl_u32 v4, v0, v37, 2
	v_and_b32_e32 v1, v1, v6
	s_delay_alu instid0(VALU_DEP_4) | instskip(SKIP_3) | instid1(VALU_DEP_2)
	v_xor_b32_e32 v0, s13, v3
	ds_load_b32 v49, v4 offset:8
	v_and_b32_e32 v1, v1, v2
	v_add_nc_u32_e32 v51, 8, v4
	; wave barrier
	v_and_b32_e32 v0, v1, v0
	s_delay_alu instid0(VALU_DEP_1) | instskip(SKIP_1) | instid1(VALU_DEP_2)
	v_mbcnt_lo_u32_b32 v50, v0, 0
	v_cmp_ne_u32_e64 s13, 0, v0
	v_cmp_eq_u32_e64 s12, 0, v50
	s_delay_alu instid0(VALU_DEP_1) | instskip(NEXT) | instid1(SALU_CYCLE_1)
	s_and_b32 s13, s12, s13
	s_and_saveexec_b32 s12, s13
	s_cbranch_execz .LBB150_16
; %bb.15:                               ;   in Loop: Header=BB150_4 Depth=2
	s_waitcnt lgkmcnt(0)
	v_bcnt_u32_b32 v0, v0, v49
	ds_store_b32 v51, v0
.LBB150_16:                             ;   in Loop: Header=BB150_4 Depth=2
	s_or_b32 exec_lo, exec_lo, s12
	v_lshrrev_b32_e32 v0, s28, v31
	v_lshrrev_b32_e32 v1, s25, v32
	; wave barrier
	s_delay_alu instid0(VALU_DEP_1) | instskip(NEXT) | instid1(VALU_DEP_1)
	v_and_b32_e32 v1, s26, v1
	v_dual_cndmask_b32 v1, 0, v1 :: v_dual_and_b32 v0, s29, v0
	s_delay_alu instid0(VALU_DEP_1) | instskip(NEXT) | instid1(VALU_DEP_1)
	v_lshlrev_b32_e32 v0, s27, v0
	v_cndmask_b32_e64 v0, 0, v0, s11
	s_delay_alu instid0(VALU_DEP_1) | instskip(NEXT) | instid1(VALU_DEP_1)
	v_or_b32_e32 v0, v1, v0
	v_and_b32_e32 v1, 1, v0
	v_lshlrev_b32_e32 v2, 30, v0
	v_lshlrev_b32_e32 v3, 29, v0
	;; [unrolled: 1-line block ×4, first 2 shown]
	v_add_co_u32 v1, s12, v1, -1
	s_delay_alu instid0(VALU_DEP_1)
	v_cndmask_b32_e64 v5, 0, 1, s12
	v_not_b32_e32 v53, v2
	v_cmp_gt_i32_e64 s13, 0, v2
	v_not_b32_e32 v2, v3
	v_lshlrev_b32_e32 v7, 26, v0
	v_cmp_ne_u32_e64 s12, 0, v5
	v_ashrrev_i32_e32 v53, 31, v53
	v_lshlrev_b32_e32 v52, 25, v0
	v_ashrrev_i32_e32 v2, 31, v2
	v_lshlrev_b32_e32 v5, 24, v0
	v_xor_b32_e32 v1, s12, v1
	v_cmp_gt_i32_e64 s12, 0, v3
	v_not_b32_e32 v3, v4
	v_xor_b32_e32 v53, s13, v53
	v_cmp_gt_i32_e64 s13, 0, v4
	v_and_b32_e32 v1, exec_lo, v1
	v_not_b32_e32 v4, v6
	v_ashrrev_i32_e32 v3, 31, v3
	v_xor_b32_e32 v2, s12, v2
	v_cmp_gt_i32_e64 s12, 0, v6
	v_and_b32_e32 v1, v1, v53
	v_not_b32_e32 v6, v7
	v_ashrrev_i32_e32 v4, 31, v4
	v_xor_b32_e32 v3, s13, v3
	v_cmp_gt_i32_e64 s13, 0, v7
	v_and_b32_e32 v1, v1, v2
	;; [unrolled: 5-line block ×3, first 2 shown]
	v_not_b32_e32 v3, v5
	v_ashrrev_i32_e32 v2, 31, v2
	v_xor_b32_e32 v6, s13, v6
	v_lshlrev_b32_e32 v0, 1, v0
	v_and_b32_e32 v1, v1, v4
	v_cmp_gt_i32_e64 s13, 0, v5
	v_ashrrev_i32_e32 v3, 31, v3
	v_xor_b32_e32 v2, s12, v2
	v_add_lshl_u32 v4, v0, v37, 2
	v_and_b32_e32 v1, v1, v6
	s_delay_alu instid0(VALU_DEP_4) | instskip(SKIP_3) | instid1(VALU_DEP_2)
	v_xor_b32_e32 v0, s13, v3
	ds_load_b32 v52, v4 offset:8
	v_and_b32_e32 v1, v1, v2
	v_add_nc_u32_e32 v54, 8, v4
	; wave barrier
	v_and_b32_e32 v0, v1, v0
	s_delay_alu instid0(VALU_DEP_1) | instskip(SKIP_1) | instid1(VALU_DEP_2)
	v_mbcnt_lo_u32_b32 v53, v0, 0
	v_cmp_ne_u32_e64 s13, 0, v0
	v_cmp_eq_u32_e64 s12, 0, v53
	s_delay_alu instid0(VALU_DEP_1) | instskip(NEXT) | instid1(SALU_CYCLE_1)
	s_and_b32 s13, s12, s13
	s_and_saveexec_b32 s12, s13
	s_cbranch_execz .LBB150_18
; %bb.17:                               ;   in Loop: Header=BB150_4 Depth=2
	s_waitcnt lgkmcnt(0)
	v_bcnt_u32_b32 v0, v0, v52
	ds_store_b32 v54, v0
.LBB150_18:                             ;   in Loop: Header=BB150_4 Depth=2
	s_or_b32 exec_lo, exec_lo, s12
	v_lshrrev_b32_e32 v0, s28, v29
	v_lshrrev_b32_e32 v1, s25, v30
	; wave barrier
	s_delay_alu instid0(VALU_DEP_1) | instskip(NEXT) | instid1(VALU_DEP_1)
	v_and_b32_e32 v1, s26, v1
	v_dual_cndmask_b32 v1, 0, v1 :: v_dual_and_b32 v0, s29, v0
	s_delay_alu instid0(VALU_DEP_1) | instskip(NEXT) | instid1(VALU_DEP_1)
	v_lshlrev_b32_e32 v0, s27, v0
	v_cndmask_b32_e64 v0, 0, v0, s11
	s_delay_alu instid0(VALU_DEP_1) | instskip(NEXT) | instid1(VALU_DEP_1)
	v_or_b32_e32 v0, v1, v0
	v_and_b32_e32 v1, 1, v0
	v_lshlrev_b32_e32 v2, 30, v0
	v_lshlrev_b32_e32 v3, 29, v0
	;; [unrolled: 1-line block ×4, first 2 shown]
	v_add_co_u32 v1, s11, v1, -1
	s_delay_alu instid0(VALU_DEP_1)
	v_cndmask_b32_e64 v5, 0, 1, s11
	v_not_b32_e32 v56, v2
	v_cmp_gt_i32_e64 s11, 0, v2
	v_not_b32_e32 v2, v3
	v_lshlrev_b32_e32 v7, 26, v0
	v_cmp_ne_u32_e32 vcc_lo, 0, v5
	v_ashrrev_i32_e32 v56, 31, v56
	v_lshlrev_b32_e32 v55, 25, v0
	v_ashrrev_i32_e32 v2, 31, v2
	v_lshlrev_b32_e32 v5, 24, v0
	v_xor_b32_e32 v1, vcc_lo, v1
	v_cmp_gt_i32_e32 vcc_lo, 0, v3
	v_not_b32_e32 v3, v4
	v_xor_b32_e32 v56, s11, v56
	v_cmp_gt_i32_e64 s11, 0, v4
	v_and_b32_e32 v1, exec_lo, v1
	v_not_b32_e32 v4, v6
	v_ashrrev_i32_e32 v3, 31, v3
	v_xor_b32_e32 v2, vcc_lo, v2
	v_cmp_gt_i32_e32 vcc_lo, 0, v6
	v_and_b32_e32 v1, v1, v56
	v_not_b32_e32 v6, v7
	v_ashrrev_i32_e32 v4, 31, v4
	v_xor_b32_e32 v3, s11, v3
	v_cmp_gt_i32_e64 s11, 0, v7
	v_and_b32_e32 v1, v1, v2
	v_not_b32_e32 v2, v55
	v_ashrrev_i32_e32 v6, 31, v6
	v_xor_b32_e32 v4, vcc_lo, v4
	v_cmp_gt_i32_e32 vcc_lo, 0, v55
	v_and_b32_e32 v1, v1, v3
	v_not_b32_e32 v3, v5
	v_ashrrev_i32_e32 v2, 31, v2
	v_xor_b32_e32 v6, s11, v6
	v_lshlrev_b32_e32 v0, 1, v0
	v_and_b32_e32 v1, v1, v4
	v_cmp_gt_i32_e64 s11, 0, v5
	v_ashrrev_i32_e32 v3, 31, v3
	v_xor_b32_e32 v2, vcc_lo, v2
	v_add_lshl_u32 v4, v0, v37, 2
	v_and_b32_e32 v1, v1, v6
	s_delay_alu instid0(VALU_DEP_4) | instskip(SKIP_3) | instid1(VALU_DEP_2)
	v_xor_b32_e32 v0, s11, v3
	ds_load_b32 v55, v4 offset:8
	v_and_b32_e32 v1, v1, v2
	v_add_nc_u32_e32 v57, 8, v4
	; wave barrier
	v_and_b32_e32 v0, v1, v0
	s_delay_alu instid0(VALU_DEP_1) | instskip(SKIP_1) | instid1(VALU_DEP_2)
	v_mbcnt_lo_u32_b32 v56, v0, 0
	v_cmp_ne_u32_e64 s11, 0, v0
	v_cmp_eq_u32_e32 vcc_lo, 0, v56
	s_delay_alu instid0(VALU_DEP_2) | instskip(NEXT) | instid1(SALU_CYCLE_1)
	s_and_b32 s12, vcc_lo, s11
	s_and_saveexec_b32 s11, s12
	s_cbranch_execz .LBB150_20
; %bb.19:                               ;   in Loop: Header=BB150_4 Depth=2
	s_waitcnt lgkmcnt(0)
	v_bcnt_u32_b32 v0, v0, v55
	ds_store_b32 v57, v0
.LBB150_20:                             ;   in Loop: Header=BB150_4 Depth=2
	s_or_b32 exec_lo, exec_lo, s11
	; wave barrier
	s_waitcnt lgkmcnt(0)
	s_barrier
	buffer_gl0_inv
	ds_load_2addr_b64 v[4:7], v33 offset0:1 offset1:2
	ds_load_2addr_b64 v[0:3], v36 offset0:2 offset1:3
	s_waitcnt lgkmcnt(1)
	v_add_nc_u32_e32 v58, v5, v4
	s_delay_alu instid0(VALU_DEP_1) | instskip(SKIP_1) | instid1(VALU_DEP_1)
	v_add3_u32 v58, v58, v6, v7
	s_waitcnt lgkmcnt(0)
	v_add3_u32 v58, v58, v0, v1
	s_delay_alu instid0(VALU_DEP_1) | instskip(NEXT) | instid1(VALU_DEP_1)
	v_add3_u32 v3, v58, v2, v3
	v_mov_b32_dpp v58, v3 row_shr:1 row_mask:0xf bank_mask:0xf
	s_delay_alu instid0(VALU_DEP_1) | instskip(NEXT) | instid1(VALU_DEP_1)
	v_cndmask_b32_e64 v58, v58, 0, s0
	v_add_nc_u32_e32 v3, v58, v3
	s_delay_alu instid0(VALU_DEP_1) | instskip(NEXT) | instid1(VALU_DEP_1)
	v_mov_b32_dpp v58, v3 row_shr:2 row_mask:0xf bank_mask:0xf
	v_cndmask_b32_e64 v58, 0, v58, s1
	s_delay_alu instid0(VALU_DEP_1) | instskip(NEXT) | instid1(VALU_DEP_1)
	v_add_nc_u32_e32 v3, v3, v58
	v_mov_b32_dpp v58, v3 row_shr:4 row_mask:0xf bank_mask:0xf
	s_delay_alu instid0(VALU_DEP_1) | instskip(NEXT) | instid1(VALU_DEP_1)
	v_cndmask_b32_e64 v58, 0, v58, s2
	v_add_nc_u32_e32 v3, v3, v58
	s_delay_alu instid0(VALU_DEP_1) | instskip(NEXT) | instid1(VALU_DEP_1)
	v_mov_b32_dpp v58, v3 row_shr:8 row_mask:0xf bank_mask:0xf
	v_cndmask_b32_e64 v58, 0, v58, s3
	s_delay_alu instid0(VALU_DEP_1) | instskip(SKIP_3) | instid1(VALU_DEP_1)
	v_add_nc_u32_e32 v3, v3, v58
	ds_swizzle_b32 v58, v3 offset:swizzle(BROADCAST,32,15)
	s_waitcnt lgkmcnt(0)
	v_cndmask_b32_e64 v58, v58, 0, s4
	v_add_nc_u32_e32 v3, v3, v58
	s_and_saveexec_b32 s11, s5
	s_cbranch_execz .LBB150_22
; %bb.21:                               ;   in Loop: Header=BB150_4 Depth=2
	ds_store_b32 v39, v3
.LBB150_22:                             ;   in Loop: Header=BB150_4 Depth=2
	s_or_b32 exec_lo, exec_lo, s11
	s_waitcnt lgkmcnt(0)
	s_barrier
	buffer_gl0_inv
	s_and_saveexec_b32 s11, s6
	s_cbranch_execz .LBB150_24
; %bb.23:                               ;   in Loop: Header=BB150_4 Depth=2
	ds_load_b32 v58, v40
	s_waitcnt lgkmcnt(0)
	v_mov_b32_dpp v59, v58 row_shr:1 row_mask:0xf bank_mask:0xf
	s_delay_alu instid0(VALU_DEP_1) | instskip(NEXT) | instid1(VALU_DEP_1)
	v_cndmask_b32_e64 v59, v59, 0, s10
	v_add_nc_u32_e32 v58, v59, v58
	ds_store_b32 v40, v58
.LBB150_24:                             ;   in Loop: Header=BB150_4 Depth=2
	s_or_b32 exec_lo, exec_lo, s11
	v_mov_b32_e32 v58, 0
	s_waitcnt lgkmcnt(0)
	s_barrier
	buffer_gl0_inv
	s_and_saveexec_b32 s11, s7
	s_cbranch_execz .LBB150_26
; %bb.25:                               ;   in Loop: Header=BB150_4 Depth=2
	ds_load_b32 v58, v41
.LBB150_26:                             ;   in Loop: Header=BB150_4 Depth=2
	s_or_b32 exec_lo, exec_lo, s11
	s_waitcnt lgkmcnt(0)
	v_add_nc_u32_e32 v3, v58, v3
	v_lshlrev_b32_e32 v49, 3, v49
	s_cmp_gt_u32 s25, 55
	ds_bpermute_b32 v3, v38, v3
	s_waitcnt lgkmcnt(0)
	v_cndmask_b32_e64 v3, v3, v58, s8
	s_delay_alu instid0(VALU_DEP_1) | instskip(NEXT) | instid1(VALU_DEP_1)
	v_cndmask_b32_e64 v3, v3, 0, s9
	v_add_nc_u32_e32 v4, v3, v4
	s_delay_alu instid0(VALU_DEP_1) | instskip(NEXT) | instid1(VALU_DEP_1)
	v_add_nc_u32_e32 v5, v4, v5
	v_add_nc_u32_e32 v6, v5, v6
	s_delay_alu instid0(VALU_DEP_1) | instskip(SKIP_3) | instid1(VALU_DEP_4)
	v_add_nc_u32_e32 v58, v6, v7
	v_lshlrev_b32_e32 v7, 3, v12
	v_lshlrev_b32_e32 v12, 3, v13
	;; [unrolled: 1-line block ×3, first 2 shown]
	v_add_nc_u32_e32 v59, v58, v0
	s_delay_alu instid0(VALU_DEP_1) | instskip(NEXT) | instid1(VALU_DEP_1)
	v_add_nc_u32_e32 v0, v59, v1
	v_add_nc_u32_e32 v1, v0, v2
	v_lshlrev_b32_e32 v2, 3, v9
	v_lshlrev_b32_e32 v9, 3, v10
	ds_store_2addr_b64 v33, v[3:4], v[5:6] offset0:1 offset1:2
	ds_store_2addr_b64 v36, v[58:59], v[0:1] offset0:2 offset1:3
	s_waitcnt lgkmcnt(0)
	s_barrier
	buffer_gl0_inv
	ds_load_b32 v0, v8
	ds_load_b32 v1, v11
	;; [unrolled: 1-line block ×8, first 2 shown]
	v_lshlrev_b32_e32 v11, 3, v14
	v_lshlrev_b32_e32 v14, 3, v43
	;; [unrolled: 1-line block ×9, first 2 shown]
	s_waitcnt lgkmcnt(0)
	v_lshl_add_u32 v43, v0, 3, v2
	v_lshlrev_b32_e32 v0, 3, v1
	v_lshlrev_b32_e32 v1, 3, v3
	;; [unrolled: 1-line block ×7, first 2 shown]
	v_add3_u32 v44, v7, v9, v0
	v_add3_u32 v45, v11, v12, v1
	;; [unrolled: 1-line block ×7, first 2 shown]
	s_cbranch_scc0 .LBB150_3
; %bb.27:                               ;   in Loop: Header=BB150_2 Depth=1
                                        ; implicit-def: $sgpr25
                                        ; implicit-def: $vgpr0_vgpr1
                                        ; implicit-def: $vgpr4_vgpr5
                                        ; implicit-def: $vgpr8_vgpr9
                                        ; implicit-def: $vgpr12_vgpr13
                                        ; implicit-def: $sgpr24
                                        ; implicit-def: $sgpr23
	s_branch .LBB150_1
.LBB150_28:
	v_lshlrev_b32_e32 v0, 3, v16
	s_add_u32 s0, s18, s14
	s_addc_u32 s1, s19, s15
	s_clause 0x7
	global_store_b64 v0, v[1:2], s[0:1]
	global_store_b64 v0, v[3:4], s[0:1] offset:512
	global_store_b64 v0, v[5:6], s[0:1] offset:1024
	;; [unrolled: 1-line block ×7, first 2 shown]
	s_nop 0
	s_sendmsg sendmsg(MSG_DEALLOC_VGPRS)
	s_endpgm
	.section	.rodata,"a",@progbits
	.p2align	6, 0x0
	.amdhsa_kernel _Z16sort_keys_kernelI22helper_blocked_blockedN15benchmark_utils11custom_typeIiiEELj64ELj8ELj10EEvPKT0_PS4_
		.amdhsa_group_segment_fixed_size 4096
		.amdhsa_private_segment_fixed_size 0
		.amdhsa_kernarg_size 272
		.amdhsa_user_sgpr_count 15
		.amdhsa_user_sgpr_dispatch_ptr 0
		.amdhsa_user_sgpr_queue_ptr 0
		.amdhsa_user_sgpr_kernarg_segment_ptr 1
		.amdhsa_user_sgpr_dispatch_id 0
		.amdhsa_user_sgpr_private_segment_size 0
		.amdhsa_wavefront_size32 1
		.amdhsa_uses_dynamic_stack 0
		.amdhsa_enable_private_segment 0
		.amdhsa_system_sgpr_workgroup_id_x 1
		.amdhsa_system_sgpr_workgroup_id_y 0
		.amdhsa_system_sgpr_workgroup_id_z 0
		.amdhsa_system_sgpr_workgroup_info 0
		.amdhsa_system_vgpr_workitem_id 2
		.amdhsa_next_free_vgpr 60
		.amdhsa_next_free_sgpr 30
		.amdhsa_reserve_vcc 1
		.amdhsa_float_round_mode_32 0
		.amdhsa_float_round_mode_16_64 0
		.amdhsa_float_denorm_mode_32 3
		.amdhsa_float_denorm_mode_16_64 3
		.amdhsa_dx10_clamp 1
		.amdhsa_ieee_mode 1
		.amdhsa_fp16_overflow 0
		.amdhsa_workgroup_processor_mode 1
		.amdhsa_memory_ordered 1
		.amdhsa_forward_progress 0
		.amdhsa_shared_vgpr_count 0
		.amdhsa_exception_fp_ieee_invalid_op 0
		.amdhsa_exception_fp_denorm_src 0
		.amdhsa_exception_fp_ieee_div_zero 0
		.amdhsa_exception_fp_ieee_overflow 0
		.amdhsa_exception_fp_ieee_underflow 0
		.amdhsa_exception_fp_ieee_inexact 0
		.amdhsa_exception_int_div_zero 0
	.end_amdhsa_kernel
	.section	.text._Z16sort_keys_kernelI22helper_blocked_blockedN15benchmark_utils11custom_typeIiiEELj64ELj8ELj10EEvPKT0_PS4_,"axG",@progbits,_Z16sort_keys_kernelI22helper_blocked_blockedN15benchmark_utils11custom_typeIiiEELj64ELj8ELj10EEvPKT0_PS4_,comdat
.Lfunc_end150:
	.size	_Z16sort_keys_kernelI22helper_blocked_blockedN15benchmark_utils11custom_typeIiiEELj64ELj8ELj10EEvPKT0_PS4_, .Lfunc_end150-_Z16sort_keys_kernelI22helper_blocked_blockedN15benchmark_utils11custom_typeIiiEELj64ELj8ELj10EEvPKT0_PS4_
                                        ; -- End function
	.section	.AMDGPU.csdata,"",@progbits
; Kernel info:
; codeLenInByte = 5060
; NumSgprs: 32
; NumVgprs: 60
; ScratchSize: 0
; MemoryBound: 0
; FloatMode: 240
; IeeeMode: 1
; LDSByteSize: 4096 bytes/workgroup (compile time only)
; SGPRBlocks: 3
; VGPRBlocks: 7
; NumSGPRsForWavesPerEU: 32
; NumVGPRsForWavesPerEU: 60
; Occupancy: 16
; WaveLimiterHint : 1
; COMPUTE_PGM_RSRC2:SCRATCH_EN: 0
; COMPUTE_PGM_RSRC2:USER_SGPR: 15
; COMPUTE_PGM_RSRC2:TRAP_HANDLER: 0
; COMPUTE_PGM_RSRC2:TGID_X_EN: 1
; COMPUTE_PGM_RSRC2:TGID_Y_EN: 0
; COMPUTE_PGM_RSRC2:TGID_Z_EN: 0
; COMPUTE_PGM_RSRC2:TIDIG_COMP_CNT: 2
	.section	.text._Z17sort_pairs_kernelI22helper_blocked_blockedN15benchmark_utils11custom_typeIiiEELj64ELj8ELj10EEvPKT0_PS4_,"axG",@progbits,_Z17sort_pairs_kernelI22helper_blocked_blockedN15benchmark_utils11custom_typeIiiEELj64ELj8ELj10EEvPKT0_PS4_,comdat
	.protected	_Z17sort_pairs_kernelI22helper_blocked_blockedN15benchmark_utils11custom_typeIiiEELj64ELj8ELj10EEvPKT0_PS4_ ; -- Begin function _Z17sort_pairs_kernelI22helper_blocked_blockedN15benchmark_utils11custom_typeIiiEELj64ELj8ELj10EEvPKT0_PS4_
	.globl	_Z17sort_pairs_kernelI22helper_blocked_blockedN15benchmark_utils11custom_typeIiiEELj64ELj8ELj10EEvPKT0_PS4_
	.p2align	8
	.type	_Z17sort_pairs_kernelI22helper_blocked_blockedN15benchmark_utils11custom_typeIiiEELj64ELj8ELj10EEvPKT0_PS4_,@function
_Z17sort_pairs_kernelI22helper_blocked_blockedN15benchmark_utils11custom_typeIiiEELj64ELj8ELj10EEvPKT0_PS4_: ; @_Z17sort_pairs_kernelI22helper_blocked_blockedN15benchmark_utils11custom_typeIiiEELj64ELj8ELj10EEvPKT0_PS4_
; %bb.0:
	s_clause 0x1
	s_load_b128 s[16:19], s[0:1], 0x0
	s_load_b32 s10, s[0:1], 0x1c
	v_and_b32_e32 v32, 0x3ff, v0
	s_mov_b32 s21, 0
	s_lshl_b32 s20, s15, 9
	v_mbcnt_lo_u32_b32 v16, -1, 0
	s_lshl_b64 s[14:15], s[20:21], 3
	v_lshlrev_b32_e32 v15, 3, v32
	v_bfe_u32 v17, v0, 10, 10
	v_bfe_u32 v0, v0, 20, 10
	v_add_nc_u32_e32 v20, -1, v16
	v_and_b32_e32 v19, 16, v16
	v_and_b32_e32 v18, 15, v16
	;; [unrolled: 1-line block ×4, first 2 shown]
	v_cmp_gt_i32_e32 vcc_lo, 0, v20
	v_lshlrev_b32_e32 v65, 5, v32
	v_cmp_eq_u32_e64 s5, 0, v19
	v_lshrrev_b32_e32 v19, 3, v32
	v_cmp_lt_u32_e64 s2, 1, v18
	s_waitcnt lgkmcnt(0)
	s_add_u32 s0, s16, s14
	s_addc_u32 s1, s17, s15
	s_lshr_b32 s11, s10, 16
	s_clause 0x7
	global_load_b64 v[1:2], v15, s[0:1]
	global_load_b64 v[3:4], v15, s[0:1] offset:512
	global_load_b64 v[5:6], v15, s[0:1] offset:1024
	;; [unrolled: 1-line block ×7, first 2 shown]
	v_mad_u32_u24 v0, v0, s11, v17
	s_and_b32 s10, s10, 0xffff
	v_cmp_eq_u32_e64 s0, 0, v16
	v_cmp_eq_u32_e64 s1, 0, v18
	v_cmp_lt_u32_e64 s3, 3, v18
	v_cmp_lt_u32_e64 s4, 7, v18
	v_cmp_eq_u32_e64 s9, 0, v21
	v_and_or_b32 v21, 0x100, v15, v16
	v_cndmask_b32_e32 v18, v20, v16, vcc_lo
	v_or_b32_e32 v20, v16, v22
	v_mul_u32_u24_e32 v35, 60, v32
	v_or_b32_e32 v17, 31, v22
	v_lshlrev_b32_e32 v71, 3, v21
	v_and_b32_e32 v68, 4, v19
	v_mad_i32_i24 v69, 0xffffffe4, v32, v65
	v_cmp_gt_u32_e64 s6, 2, v32
	v_cmp_lt_u32_e64 s7, 31, v32
	v_cmp_eq_u32_e64 s8, 0, v32
	v_or_b32_e32 v66, 8, v65
	v_lshlrev_b32_e32 v67, 2, v18
	v_lshlrev_b32_e32 v70, 6, v20
	v_add_nc_u32_e32 v72, -4, v68
	v_add_nc_u32_e32 v74, v69, v35
	s_mov_b32 s20, s21
	s_mov_b32 s16, s21
	;; [unrolled: 1-line block ×4, first 2 shown]
	s_waitcnt vmcnt(7)
	v_add_nc_u32_e32 v29, 1, v2
	v_add_nc_u32_e32 v28, 1, v1
	s_waitcnt vmcnt(6)
	v_add_nc_u32_e32 v31, 1, v4
	v_add_nc_u32_e32 v30, 1, v3
	;; [unrolled: 3-line block ×3, first 2 shown]
	s_waitcnt vmcnt(1)
	v_mad_u64_u32 v[15:16], null, v0, s10, v[32:33]
	v_cmp_eq_u32_e64 s10, v17, v32
	v_add_nc_u32_e32 v27, 1, v8
	v_add_nc_u32_e32 v26, 1, v7
	;; [unrolled: 1-line block ×5, first 2 shown]
	v_lshrrev_b32_e32 v73, 5, v15
	v_add_nc_u32_e32 v22, 1, v13
	v_add_nc_u32_e32 v17, 1, v34
	v_add_nc_u32_e32 v16, 1, v33
	s_waitcnt vmcnt(0)
	v_add_nc_u32_e32 v19, 1, v12
	v_add_nc_u32_e32 v18, 1, v11
	s_branch .LBB151_2
.LBB151_1:                              ;   in Loop: Header=BB151_2 Depth=1
	s_barrier
	buffer_gl0_inv
	ds_store_b64 v75, v[33:34]
	ds_store_b64 v76, v[53:54]
	;; [unrolled: 1-line block ×8, first 2 shown]
	s_waitcnt lgkmcnt(0)
	s_barrier
	buffer_gl0_inv
	ds_load_2addr_b64 v[1:4], v74 offset1:1
	ds_load_2addr_b64 v[5:8], v74 offset0:2 offset1:3
	ds_load_2addr_b64 v[9:12], v74 offset0:4 offset1:5
	;; [unrolled: 1-line block ×3, first 2 shown]
	s_waitcnt lgkmcnt(0)
	s_barrier
	buffer_gl0_inv
	ds_store_b64 v75, v[37:38]
	ds_store_b64 v76, v[35:36]
	;; [unrolled: 1-line block ×8, first 2 shown]
	s_waitcnt lgkmcnt(0)
	s_barrier
	buffer_gl0_inv
	ds_load_2addr_b64 v[28:31], v74 offset1:1
	ds_load_2addr_b64 v[24:27], v74 offset0:2 offset1:3
	ds_load_2addr_b64 v[20:23], v74 offset0:4 offset1:5
	ds_load_2addr_b64 v[16:19], v74 offset0:6 offset1:7
	s_add_i32 s22, s22, 1
	s_delay_alu instid0(SALU_CYCLE_1)
	s_cmp_lg_u32 s22, 10
	v_xor_b32_e32 v1, 0x80000000, v1
	v_xor_b32_e32 v2, 0x80000000, v2
	;; [unrolled: 1-line block ×16, first 2 shown]
	s_cbranch_scc0 .LBB151_28
.LBB151_2:                              ; =>This Loop Header: Depth=1
                                        ;     Child Loop BB151_4 Depth 2
	v_xor_b32_e32 v2, 0x80000000, v2
	v_xor_b32_e32 v1, 0x80000000, v1
	;; [unrolled: 1-line block ×16, first 2 shown]
	ds_store_2addr_b64 v70, v[1:2], v[3:4] offset1:1
	ds_store_2addr_b64 v70, v[5:6], v[7:8] offset0:2 offset1:3
	ds_store_2addr_b64 v70, v[9:10], v[13:14] offset0:4 offset1:5
	;; [unrolled: 1-line block ×3, first 2 shown]
	; wave barrier
	ds_load_2addr_b64 v[0:3], v71 offset1:32
	ds_load_2addr_b64 v[4:7], v71 offset0:64 offset1:96
	ds_load_2addr_b64 v[8:11], v71 offset0:128 offset1:160
	;; [unrolled: 1-line block ×3, first 2 shown]
	; wave barrier
	s_waitcnt lgkmcnt(11)
	ds_store_2addr_b64 v70, v[28:29], v[30:31] offset1:1
	s_waitcnt lgkmcnt(11)
	ds_store_2addr_b64 v70, v[24:25], v[26:27] offset0:2 offset1:3
	s_waitcnt lgkmcnt(11)
	ds_store_2addr_b64 v70, v[20:21], v[22:23] offset0:4 offset1:5
	;; [unrolled: 2-line block ×3, first 2 shown]
	; wave barrier
	ds_load_2addr_b64 v[20:23], v71 offset1:32
	ds_load_2addr_b64 v[24:27], v71 offset0:64 offset1:96
	ds_load_2addr_b64 v[28:31], v71 offset0:128 offset1:160
	;; [unrolled: 1-line block ×3, first 2 shown]
	s_mov_b32 s23, 8
	s_mov_b32 s24, 32
	;; [unrolled: 1-line block ×3, first 2 shown]
	s_waitcnt lgkmcnt(0)
	s_barrier
	s_branch .LBB151_4
.LBB151_3:                              ;   in Loop: Header=BB151_4 Depth=2
	s_barrier
	buffer_gl0_inv
	ds_store_b64 v75, v[33:34]
	ds_store_b64 v76, v[53:54]
	;; [unrolled: 1-line block ×8, first 2 shown]
	s_waitcnt lgkmcnt(0)
	s_barrier
	buffer_gl0_inv
	ds_load_2addr_b64 v[0:3], v71 offset1:32
	ds_load_2addr_b64 v[4:7], v71 offset0:64 offset1:96
	ds_load_2addr_b64 v[8:11], v71 offset0:128 offset1:160
	;; [unrolled: 1-line block ×3, first 2 shown]
	s_waitcnt lgkmcnt(0)
	s_barrier
	buffer_gl0_inv
	ds_store_b64 v75, v[37:38]
	ds_store_b64 v76, v[35:36]
	;; [unrolled: 1-line block ×8, first 2 shown]
	s_waitcnt lgkmcnt(0)
	s_barrier
	buffer_gl0_inv
	ds_load_2addr_b64 v[20:23], v71 offset1:32
	ds_load_2addr_b64 v[24:27], v71 offset0:64 offset1:96
	ds_load_2addr_b64 v[28:31], v71 offset0:128 offset1:160
	;; [unrolled: 1-line block ×3, first 2 shown]
	s_add_i32 s24, s24, -8
	s_add_i32 s23, s23, 8
	s_add_i32 s25, s25, 8
	s_waitcnt lgkmcnt(0)
	s_barrier
	s_cbranch_execz .LBB151_1
.LBB151_4:                              ;   Parent Loop BB151_2 Depth=1
                                        ; =>  This Inner Loop Header: Depth=2
	s_min_i32 s12, s23, 32
	s_cmp_lt_u32 s25, 32
	v_dual_mov_b32 v34, v1 :: v_dual_mov_b32 v33, v0
	s_cselect_b32 vcc_lo, -1, 0
	s_cmp_gt_u32 s25, 24
	v_dual_mov_b32 v36, v23 :: v_dual_mov_b32 v35, v22
	s_cselect_b32 s11, -1, 0
	s_sub_i32 s12, s12, 32
	v_lshrrev_b32_e32 v1, s25, v34
	s_add_i32 s13, s12, s24
	v_dual_mov_b32 v44, v27 :: v_dual_mov_b32 v43, v26
	s_lshl_b32 s13, -1, s13
	v_dual_mov_b32 v46, v25 :: v_dual_mov_b32 v45, v24
	s_not_b32 s13, s13
	s_cmp_lg_u32 s12, s25
	v_mov_b32_e32 v38, v21
	s_cselect_b32 s26, s13, -1
	s_max_i32 s27, s24, 0
	s_max_i32 s12, s25, 32
	v_and_b32_e32 v1, s26, v1
	s_sub_i32 s13, s12, s27
	s_sub_i32 s28, s12, 32
	;; [unrolled: 1-line block ×3, first 2 shown]
	v_lshrrev_b32_e32 v0, s28, v33
	s_min_i32 s12, s13, 32
	v_mov_b32_e32 v60, v7
	s_sub_i32 s12, s12, s28
	v_cndmask_b32_e32 v1, 0, v1, vcc_lo
	s_lshl_b32 s13, -1, s12
	v_mov_b32_e32 v56, v11
	s_not_b32 s13, s13
	s_cmp_lg_u32 s12, 32
	v_mov_b32_e32 v37, v20
	s_cselect_b32 s29, s13, -1
	v_mov_b32_e32 v62, v15
	v_and_b32_e32 v0, s29, v0
	v_dual_mov_b32 v58, v9 :: v_dual_mov_b32 v57, v8
	buffer_gl0_inv
	v_dual_mov_b32 v64, v13 :: v_dual_mov_b32 v63, v12
	v_lshlrev_b32_e32 v0, s27, v0
	v_dual_mov_b32 v42, v29 :: v_dual_mov_b32 v41, v28
	v_dual_mov_b32 v40, v31 :: v_dual_mov_b32 v39, v30
	s_delay_alu instid0(VALU_DEP_3) | instskip(SKIP_2) | instid1(VALU_DEP_3)
	v_cndmask_b32_e64 v0, 0, v0, s11
	v_dual_mov_b32 v48, v17 :: v_dual_mov_b32 v47, v16
	v_dual_mov_b32 v50, v19 :: v_dual_mov_b32 v49, v18
	v_or_b32_e32 v20, v1, v0
	v_dual_mov_b32 v54, v3 :: v_dual_mov_b32 v53, v2
	v_dual_mov_b32 v52, v5 :: v_dual_mov_b32 v51, v4
	s_delay_alu instid0(VALU_DEP_3)
	v_and_b32_e32 v0, 1, v20
	v_lshlrev_b32_e32 v1, 30, v20
	v_lshlrev_b32_e32 v21, 29, v20
	v_lshlrev_b32_e32 v22, 28, v20
	v_lshlrev_b32_e32 v24, 27, v20
	v_add_co_u32 v0, s12, v0, -1
	s_delay_alu instid0(VALU_DEP_1)
	v_cndmask_b32_e64 v23, 0, 1, s12
	v_not_b32_e32 v27, v1
	v_cmp_gt_i32_e64 s13, 0, v1
	v_not_b32_e32 v1, v21
	v_lshlrev_b32_e32 v25, 26, v20
	v_cmp_ne_u32_e64 s12, 0, v23
	v_ashrrev_i32_e32 v27, 31, v27
	v_mov_b32_e32 v59, v6
	v_ashrrev_i32_e32 v1, 31, v1
	v_lshlrev_b32_e32 v26, 25, v20
	v_xor_b32_e32 v0, s12, v0
	v_cmp_gt_i32_e64 s12, 0, v21
	v_not_b32_e32 v21, v22
	v_xor_b32_e32 v27, s13, v27
	v_cmp_gt_i32_e64 s13, 0, v22
	v_and_b32_e32 v0, exec_lo, v0
	v_not_b32_e32 v22, v24
	v_ashrrev_i32_e32 v21, 31, v21
	v_xor_b32_e32 v1, s12, v1
	v_cmp_gt_i32_e64 s12, 0, v24
	v_dual_mov_b32 v55, v10 :: v_dual_and_b32 v0, v0, v27
	v_not_b32_e32 v24, v25
	v_ashrrev_i32_e32 v22, 31, v22
	v_xor_b32_e32 v21, s13, v21
	s_delay_alu instid0(VALU_DEP_4)
	v_and_b32_e32 v0, v0, v1
	v_lshlrev_b32_e32 v23, 24, v20
	v_cmp_gt_i32_e64 s13, 0, v25
	v_not_b32_e32 v1, v26
	v_ashrrev_i32_e32 v24, 31, v24
	v_xor_b32_e32 v22, s12, v22
	v_and_b32_e32 v0, v0, v21
	v_cmp_gt_i32_e64 s12, 0, v26
	v_not_b32_e32 v21, v23
	v_ashrrev_i32_e32 v1, 31, v1
	v_xor_b32_e32 v24, s13, v24
	v_dual_mov_b32 v61, v14 :: v_dual_and_b32 v0, v0, v22
	v_cmp_gt_i32_e64 s13, 0, v23
	v_ashrrev_i32_e32 v16, 31, v21
	v_xor_b32_e32 v1, s12, v1
	s_delay_alu instid0(VALU_DEP_4) | instskip(NEXT) | instid1(VALU_DEP_3)
	v_and_b32_e32 v0, v0, v24
	v_xor_b32_e32 v3, s13, v16
	s_delay_alu instid0(VALU_DEP_2) | instskip(SKIP_1) | instid1(VALU_DEP_2)
	v_dual_mov_b32 v1, s20 :: v_dual_and_b32 v0, v0, v1
	v_mov_b32_e32 v2, s21
	v_dual_mov_b32 v3, s16 :: v_dual_and_b32 v0, v0, v3
	v_mov_b32_e32 v4, s17
	ds_store_2addr_b64 v65, v[1:2], v[3:4] offset0:1 offset1:2
	ds_store_2addr_b64 v66, v[1:2], v[3:4] offset0:2 offset1:3
	v_mbcnt_lo_u32_b32 v9, v0, 0
	v_lshl_add_u32 v1, v20, 1, v73
	v_cmp_ne_u32_e64 s13, 0, v0
	s_waitcnt lgkmcnt(0)
	s_barrier
	v_cmp_eq_u32_e64 s12, 0, v9
	v_lshl_add_u32 v8, v1, 2, 8
	buffer_gl0_inv
	; wave barrier
	s_and_b32 s13, s12, s13
	s_delay_alu instid0(SALU_CYCLE_1)
	s_and_saveexec_b32 s12, s13
	s_cbranch_execz .LBB151_6
; %bb.5:                                ;   in Loop: Header=BB151_4 Depth=2
	v_bcnt_u32_b32 v0, v0, 0
	ds_store_b32 v8, v0
.LBB151_6:                              ;   in Loop: Header=BB151_4 Depth=2
	s_or_b32 exec_lo, exec_lo, s12
	v_lshrrev_b32_e32 v0, s28, v53
	v_lshrrev_b32_e32 v1, s25, v54
	; wave barrier
	s_delay_alu instid0(VALU_DEP_1) | instskip(NEXT) | instid1(VALU_DEP_1)
	v_and_b32_e32 v1, s26, v1
	v_dual_cndmask_b32 v1, 0, v1 :: v_dual_and_b32 v0, s29, v0
	s_delay_alu instid0(VALU_DEP_1) | instskip(NEXT) | instid1(VALU_DEP_1)
	v_lshlrev_b32_e32 v0, s27, v0
	v_cndmask_b32_e64 v0, 0, v0, s11
	s_delay_alu instid0(VALU_DEP_1) | instskip(NEXT) | instid1(VALU_DEP_1)
	v_or_b32_e32 v0, v1, v0
	v_and_b32_e32 v1, 1, v0
	v_lshlrev_b32_e32 v2, 30, v0
	v_lshlrev_b32_e32 v3, 29, v0
	;; [unrolled: 1-line block ×4, first 2 shown]
	v_add_co_u32 v1, s12, v1, -1
	s_delay_alu instid0(VALU_DEP_1)
	v_cndmask_b32_e64 v5, 0, 1, s12
	v_not_b32_e32 v11, v2
	v_cmp_gt_i32_e64 s13, 0, v2
	v_not_b32_e32 v2, v3
	v_lshlrev_b32_e32 v7, 26, v0
	v_cmp_ne_u32_e64 s12, 0, v5
	v_ashrrev_i32_e32 v11, 31, v11
	v_lshlrev_b32_e32 v10, 25, v0
	v_ashrrev_i32_e32 v2, 31, v2
	v_lshlrev_b32_e32 v5, 24, v0
	v_xor_b32_e32 v1, s12, v1
	v_cmp_gt_i32_e64 s12, 0, v3
	v_not_b32_e32 v3, v4
	v_xor_b32_e32 v11, s13, v11
	v_cmp_gt_i32_e64 s13, 0, v4
	v_and_b32_e32 v1, exec_lo, v1
	v_not_b32_e32 v4, v6
	v_ashrrev_i32_e32 v3, 31, v3
	v_xor_b32_e32 v2, s12, v2
	v_cmp_gt_i32_e64 s12, 0, v6
	v_and_b32_e32 v1, v1, v11
	v_not_b32_e32 v6, v7
	v_ashrrev_i32_e32 v4, 31, v4
	v_xor_b32_e32 v3, s13, v3
	v_cmp_gt_i32_e64 s13, 0, v7
	v_and_b32_e32 v1, v1, v2
	;; [unrolled: 5-line block ×3, first 2 shown]
	v_not_b32_e32 v3, v5
	v_ashrrev_i32_e32 v2, 31, v2
	v_xor_b32_e32 v6, s13, v6
	v_lshlrev_b32_e32 v0, 1, v0
	v_and_b32_e32 v1, v1, v4
	v_cmp_gt_i32_e64 s13, 0, v5
	v_ashrrev_i32_e32 v3, 31, v3
	v_xor_b32_e32 v2, s12, v2
	v_add_lshl_u32 v4, v0, v73, 2
	v_and_b32_e32 v1, v1, v6
	s_delay_alu instid0(VALU_DEP_4) | instskip(SKIP_3) | instid1(VALU_DEP_2)
	v_xor_b32_e32 v0, s13, v3
	ds_load_b32 v10, v4 offset:8
	v_and_b32_e32 v1, v1, v2
	v_add_nc_u32_e32 v11, 8, v4
	; wave barrier
	v_and_b32_e32 v0, v1, v0
	s_delay_alu instid0(VALU_DEP_1) | instskip(SKIP_1) | instid1(VALU_DEP_2)
	v_mbcnt_lo_u32_b32 v12, v0, 0
	v_cmp_ne_u32_e64 s13, 0, v0
	v_cmp_eq_u32_e64 s12, 0, v12
	s_delay_alu instid0(VALU_DEP_1) | instskip(NEXT) | instid1(SALU_CYCLE_1)
	s_and_b32 s13, s12, s13
	s_and_saveexec_b32 s12, s13
	s_cbranch_execz .LBB151_8
; %bb.7:                                ;   in Loop: Header=BB151_4 Depth=2
	s_waitcnt lgkmcnt(0)
	v_bcnt_u32_b32 v0, v0, v10
	ds_store_b32 v11, v0
.LBB151_8:                              ;   in Loop: Header=BB151_4 Depth=2
	s_or_b32 exec_lo, exec_lo, s12
	v_lshrrev_b32_e32 v0, s28, v51
	v_lshrrev_b32_e32 v1, s25, v52
	; wave barrier
	s_delay_alu instid0(VALU_DEP_1) | instskip(NEXT) | instid1(VALU_DEP_1)
	v_and_b32_e32 v1, s26, v1
	v_dual_cndmask_b32 v1, 0, v1 :: v_dual_and_b32 v0, s29, v0
	s_delay_alu instid0(VALU_DEP_1) | instskip(NEXT) | instid1(VALU_DEP_1)
	v_lshlrev_b32_e32 v0, s27, v0
	v_cndmask_b32_e64 v0, 0, v0, s11
	s_delay_alu instid0(VALU_DEP_1) | instskip(NEXT) | instid1(VALU_DEP_1)
	v_or_b32_e32 v0, v1, v0
	v_and_b32_e32 v1, 1, v0
	v_lshlrev_b32_e32 v2, 30, v0
	v_lshlrev_b32_e32 v3, 29, v0
	;; [unrolled: 1-line block ×4, first 2 shown]
	v_add_co_u32 v1, s12, v1, -1
	s_delay_alu instid0(VALU_DEP_1)
	v_cndmask_b32_e64 v5, 0, 1, s12
	v_not_b32_e32 v14, v2
	v_cmp_gt_i32_e64 s13, 0, v2
	v_not_b32_e32 v2, v3
	v_lshlrev_b32_e32 v7, 26, v0
	v_cmp_ne_u32_e64 s12, 0, v5
	v_ashrrev_i32_e32 v14, 31, v14
	v_lshlrev_b32_e32 v13, 25, v0
	v_ashrrev_i32_e32 v2, 31, v2
	v_lshlrev_b32_e32 v5, 24, v0
	v_xor_b32_e32 v1, s12, v1
	v_cmp_gt_i32_e64 s12, 0, v3
	v_not_b32_e32 v3, v4
	v_xor_b32_e32 v14, s13, v14
	v_cmp_gt_i32_e64 s13, 0, v4
	v_and_b32_e32 v1, exec_lo, v1
	v_not_b32_e32 v4, v6
	v_ashrrev_i32_e32 v3, 31, v3
	v_xor_b32_e32 v2, s12, v2
	v_cmp_gt_i32_e64 s12, 0, v6
	v_and_b32_e32 v1, v1, v14
	v_not_b32_e32 v6, v7
	v_ashrrev_i32_e32 v4, 31, v4
	v_xor_b32_e32 v3, s13, v3
	v_cmp_gt_i32_e64 s13, 0, v7
	v_and_b32_e32 v1, v1, v2
	;; [unrolled: 5-line block ×3, first 2 shown]
	v_not_b32_e32 v3, v5
	v_ashrrev_i32_e32 v2, 31, v2
	v_xor_b32_e32 v6, s13, v6
	v_lshlrev_b32_e32 v0, 1, v0
	v_and_b32_e32 v1, v1, v4
	v_cmp_gt_i32_e64 s13, 0, v5
	v_ashrrev_i32_e32 v3, 31, v3
	v_xor_b32_e32 v2, s12, v2
	v_add_lshl_u32 v4, v0, v73, 2
	v_and_b32_e32 v1, v1, v6
	s_delay_alu instid0(VALU_DEP_4) | instskip(SKIP_3) | instid1(VALU_DEP_2)
	v_xor_b32_e32 v0, s13, v3
	ds_load_b32 v13, v4 offset:8
	v_and_b32_e32 v1, v1, v2
	v_add_nc_u32_e32 v15, 8, v4
	; wave barrier
	v_and_b32_e32 v0, v1, v0
	s_delay_alu instid0(VALU_DEP_1) | instskip(SKIP_1) | instid1(VALU_DEP_2)
	v_mbcnt_lo_u32_b32 v14, v0, 0
	v_cmp_ne_u32_e64 s13, 0, v0
	v_cmp_eq_u32_e64 s12, 0, v14
	s_delay_alu instid0(VALU_DEP_1) | instskip(NEXT) | instid1(SALU_CYCLE_1)
	s_and_b32 s13, s12, s13
	s_and_saveexec_b32 s12, s13
	s_cbranch_execz .LBB151_10
; %bb.9:                                ;   in Loop: Header=BB151_4 Depth=2
	s_waitcnt lgkmcnt(0)
	v_bcnt_u32_b32 v0, v0, v13
	ds_store_b32 v15, v0
.LBB151_10:                             ;   in Loop: Header=BB151_4 Depth=2
	s_or_b32 exec_lo, exec_lo, s12
	v_lshrrev_b32_e32 v0, s28, v59
	v_lshrrev_b32_e32 v1, s25, v60
	; wave barrier
	s_delay_alu instid0(VALU_DEP_1) | instskip(NEXT) | instid1(VALU_DEP_1)
	v_and_b32_e32 v1, s26, v1
	v_dual_cndmask_b32 v1, 0, v1 :: v_dual_and_b32 v0, s29, v0
	s_delay_alu instid0(VALU_DEP_1) | instskip(NEXT) | instid1(VALU_DEP_1)
	v_lshlrev_b32_e32 v0, s27, v0
	v_cndmask_b32_e64 v0, 0, v0, s11
	s_delay_alu instid0(VALU_DEP_1) | instskip(NEXT) | instid1(VALU_DEP_1)
	v_or_b32_e32 v0, v1, v0
	v_and_b32_e32 v1, 1, v0
	v_lshlrev_b32_e32 v2, 30, v0
	v_lshlrev_b32_e32 v3, 29, v0
	;; [unrolled: 1-line block ×4, first 2 shown]
	v_add_co_u32 v1, s12, v1, -1
	s_delay_alu instid0(VALU_DEP_1)
	v_cndmask_b32_e64 v5, 0, 1, s12
	v_not_b32_e32 v17, v2
	v_cmp_gt_i32_e64 s13, 0, v2
	v_not_b32_e32 v2, v3
	v_lshlrev_b32_e32 v7, 26, v0
	v_cmp_ne_u32_e64 s12, 0, v5
	v_ashrrev_i32_e32 v17, 31, v17
	v_lshlrev_b32_e32 v16, 25, v0
	v_ashrrev_i32_e32 v2, 31, v2
	v_lshlrev_b32_e32 v5, 24, v0
	v_xor_b32_e32 v1, s12, v1
	v_cmp_gt_i32_e64 s12, 0, v3
	v_not_b32_e32 v3, v4
	v_xor_b32_e32 v17, s13, v17
	v_cmp_gt_i32_e64 s13, 0, v4
	v_and_b32_e32 v1, exec_lo, v1
	v_not_b32_e32 v4, v6
	v_ashrrev_i32_e32 v3, 31, v3
	v_xor_b32_e32 v2, s12, v2
	v_cmp_gt_i32_e64 s12, 0, v6
	v_and_b32_e32 v1, v1, v17
	v_not_b32_e32 v6, v7
	v_ashrrev_i32_e32 v4, 31, v4
	v_xor_b32_e32 v3, s13, v3
	v_cmp_gt_i32_e64 s13, 0, v7
	v_and_b32_e32 v1, v1, v2
	;; [unrolled: 5-line block ×3, first 2 shown]
	v_not_b32_e32 v3, v5
	v_ashrrev_i32_e32 v2, 31, v2
	v_xor_b32_e32 v6, s13, v6
	v_lshlrev_b32_e32 v0, 1, v0
	v_and_b32_e32 v1, v1, v4
	v_cmp_gt_i32_e64 s13, 0, v5
	v_ashrrev_i32_e32 v3, 31, v3
	v_xor_b32_e32 v2, s12, v2
	v_add_lshl_u32 v4, v0, v73, 2
	v_and_b32_e32 v1, v1, v6
	s_delay_alu instid0(VALU_DEP_4) | instskip(SKIP_3) | instid1(VALU_DEP_2)
	v_xor_b32_e32 v0, s13, v3
	ds_load_b32 v16, v4 offset:8
	v_and_b32_e32 v1, v1, v2
	v_add_nc_u32_e32 v18, 8, v4
	; wave barrier
	v_and_b32_e32 v0, v1, v0
	s_delay_alu instid0(VALU_DEP_1) | instskip(SKIP_1) | instid1(VALU_DEP_2)
	v_mbcnt_lo_u32_b32 v17, v0, 0
	v_cmp_ne_u32_e64 s13, 0, v0
	v_cmp_eq_u32_e64 s12, 0, v17
	s_delay_alu instid0(VALU_DEP_1) | instskip(NEXT) | instid1(SALU_CYCLE_1)
	s_and_b32 s13, s12, s13
	s_and_saveexec_b32 s12, s13
	s_cbranch_execz .LBB151_12
; %bb.11:                               ;   in Loop: Header=BB151_4 Depth=2
	s_waitcnt lgkmcnt(0)
	v_bcnt_u32_b32 v0, v0, v16
	ds_store_b32 v18, v0
.LBB151_12:                             ;   in Loop: Header=BB151_4 Depth=2
	s_or_b32 exec_lo, exec_lo, s12
	v_lshrrev_b32_e32 v0, s28, v57
	v_lshrrev_b32_e32 v1, s25, v58
	; wave barrier
	s_delay_alu instid0(VALU_DEP_1) | instskip(NEXT) | instid1(VALU_DEP_1)
	v_and_b32_e32 v1, s26, v1
	v_dual_cndmask_b32 v1, 0, v1 :: v_dual_and_b32 v0, s29, v0
	s_delay_alu instid0(VALU_DEP_1) | instskip(NEXT) | instid1(VALU_DEP_1)
	v_lshlrev_b32_e32 v0, s27, v0
	v_cndmask_b32_e64 v0, 0, v0, s11
	s_delay_alu instid0(VALU_DEP_1) | instskip(NEXT) | instid1(VALU_DEP_1)
	v_or_b32_e32 v0, v1, v0
	v_and_b32_e32 v1, 1, v0
	v_lshlrev_b32_e32 v2, 30, v0
	v_lshlrev_b32_e32 v3, 29, v0
	;; [unrolled: 1-line block ×4, first 2 shown]
	v_add_co_u32 v1, s12, v1, -1
	s_delay_alu instid0(VALU_DEP_1)
	v_cndmask_b32_e64 v5, 0, 1, s12
	v_not_b32_e32 v20, v2
	v_cmp_gt_i32_e64 s13, 0, v2
	v_not_b32_e32 v2, v3
	v_lshlrev_b32_e32 v7, 26, v0
	v_cmp_ne_u32_e64 s12, 0, v5
	v_ashrrev_i32_e32 v20, 31, v20
	v_lshlrev_b32_e32 v19, 25, v0
	v_ashrrev_i32_e32 v2, 31, v2
	v_lshlrev_b32_e32 v5, 24, v0
	v_xor_b32_e32 v1, s12, v1
	v_cmp_gt_i32_e64 s12, 0, v3
	v_not_b32_e32 v3, v4
	v_xor_b32_e32 v20, s13, v20
	v_cmp_gt_i32_e64 s13, 0, v4
	v_and_b32_e32 v1, exec_lo, v1
	v_not_b32_e32 v4, v6
	v_ashrrev_i32_e32 v3, 31, v3
	v_xor_b32_e32 v2, s12, v2
	v_cmp_gt_i32_e64 s12, 0, v6
	v_and_b32_e32 v1, v1, v20
	v_not_b32_e32 v6, v7
	v_ashrrev_i32_e32 v4, 31, v4
	v_xor_b32_e32 v3, s13, v3
	v_cmp_gt_i32_e64 s13, 0, v7
	v_and_b32_e32 v1, v1, v2
	;; [unrolled: 5-line block ×3, first 2 shown]
	v_not_b32_e32 v3, v5
	v_ashrrev_i32_e32 v2, 31, v2
	v_xor_b32_e32 v6, s13, v6
	v_lshlrev_b32_e32 v0, 1, v0
	v_and_b32_e32 v1, v1, v4
	v_cmp_gt_i32_e64 s13, 0, v5
	v_ashrrev_i32_e32 v3, 31, v3
	v_xor_b32_e32 v2, s12, v2
	v_add_lshl_u32 v4, v0, v73, 2
	v_and_b32_e32 v1, v1, v6
	s_delay_alu instid0(VALU_DEP_4) | instskip(SKIP_3) | instid1(VALU_DEP_2)
	v_xor_b32_e32 v0, s13, v3
	ds_load_b32 v19, v4 offset:8
	v_and_b32_e32 v1, v1, v2
	v_add_nc_u32_e32 v21, 8, v4
	; wave barrier
	v_and_b32_e32 v0, v1, v0
	s_delay_alu instid0(VALU_DEP_1) | instskip(SKIP_1) | instid1(VALU_DEP_2)
	v_mbcnt_lo_u32_b32 v20, v0, 0
	v_cmp_ne_u32_e64 s13, 0, v0
	v_cmp_eq_u32_e64 s12, 0, v20
	s_delay_alu instid0(VALU_DEP_1) | instskip(NEXT) | instid1(SALU_CYCLE_1)
	s_and_b32 s13, s12, s13
	s_and_saveexec_b32 s12, s13
	s_cbranch_execz .LBB151_14
; %bb.13:                               ;   in Loop: Header=BB151_4 Depth=2
	s_waitcnt lgkmcnt(0)
	v_bcnt_u32_b32 v0, v0, v19
	ds_store_b32 v21, v0
.LBB151_14:                             ;   in Loop: Header=BB151_4 Depth=2
	s_or_b32 exec_lo, exec_lo, s12
	v_lshrrev_b32_e32 v0, s28, v55
	v_lshrrev_b32_e32 v1, s25, v56
	; wave barrier
	s_delay_alu instid0(VALU_DEP_1) | instskip(NEXT) | instid1(VALU_DEP_1)
	v_and_b32_e32 v1, s26, v1
	v_dual_cndmask_b32 v1, 0, v1 :: v_dual_and_b32 v0, s29, v0
	s_delay_alu instid0(VALU_DEP_1) | instskip(NEXT) | instid1(VALU_DEP_1)
	v_lshlrev_b32_e32 v0, s27, v0
	v_cndmask_b32_e64 v0, 0, v0, s11
	s_delay_alu instid0(VALU_DEP_1) | instskip(NEXT) | instid1(VALU_DEP_1)
	v_or_b32_e32 v0, v1, v0
	v_and_b32_e32 v1, 1, v0
	v_lshlrev_b32_e32 v2, 30, v0
	v_lshlrev_b32_e32 v3, 29, v0
	;; [unrolled: 1-line block ×4, first 2 shown]
	v_add_co_u32 v1, s12, v1, -1
	s_delay_alu instid0(VALU_DEP_1)
	v_cndmask_b32_e64 v5, 0, 1, s12
	v_not_b32_e32 v23, v2
	v_cmp_gt_i32_e64 s13, 0, v2
	v_not_b32_e32 v2, v3
	v_lshlrev_b32_e32 v7, 26, v0
	v_cmp_ne_u32_e64 s12, 0, v5
	v_ashrrev_i32_e32 v23, 31, v23
	v_lshlrev_b32_e32 v22, 25, v0
	v_ashrrev_i32_e32 v2, 31, v2
	v_lshlrev_b32_e32 v5, 24, v0
	v_xor_b32_e32 v1, s12, v1
	v_cmp_gt_i32_e64 s12, 0, v3
	v_not_b32_e32 v3, v4
	v_xor_b32_e32 v23, s13, v23
	v_cmp_gt_i32_e64 s13, 0, v4
	v_and_b32_e32 v1, exec_lo, v1
	v_not_b32_e32 v4, v6
	v_ashrrev_i32_e32 v3, 31, v3
	v_xor_b32_e32 v2, s12, v2
	v_cmp_gt_i32_e64 s12, 0, v6
	v_and_b32_e32 v1, v1, v23
	v_not_b32_e32 v6, v7
	v_ashrrev_i32_e32 v4, 31, v4
	v_xor_b32_e32 v3, s13, v3
	v_cmp_gt_i32_e64 s13, 0, v7
	v_and_b32_e32 v1, v1, v2
	;; [unrolled: 5-line block ×3, first 2 shown]
	v_not_b32_e32 v3, v5
	v_ashrrev_i32_e32 v2, 31, v2
	v_xor_b32_e32 v6, s13, v6
	v_lshlrev_b32_e32 v0, 1, v0
	v_and_b32_e32 v1, v1, v4
	v_cmp_gt_i32_e64 s13, 0, v5
	v_ashrrev_i32_e32 v3, 31, v3
	v_xor_b32_e32 v2, s12, v2
	v_add_lshl_u32 v4, v0, v73, 2
	v_and_b32_e32 v1, v1, v6
	s_delay_alu instid0(VALU_DEP_4) | instskip(SKIP_3) | instid1(VALU_DEP_2)
	v_xor_b32_e32 v0, s13, v3
	ds_load_b32 v22, v4 offset:8
	v_and_b32_e32 v1, v1, v2
	v_add_nc_u32_e32 v24, 8, v4
	; wave barrier
	v_and_b32_e32 v0, v1, v0
	s_delay_alu instid0(VALU_DEP_1) | instskip(SKIP_1) | instid1(VALU_DEP_2)
	v_mbcnt_lo_u32_b32 v23, v0, 0
	v_cmp_ne_u32_e64 s13, 0, v0
	v_cmp_eq_u32_e64 s12, 0, v23
	s_delay_alu instid0(VALU_DEP_1) | instskip(NEXT) | instid1(SALU_CYCLE_1)
	s_and_b32 s13, s12, s13
	s_and_saveexec_b32 s12, s13
	s_cbranch_execz .LBB151_16
; %bb.15:                               ;   in Loop: Header=BB151_4 Depth=2
	s_waitcnt lgkmcnt(0)
	v_bcnt_u32_b32 v0, v0, v22
	ds_store_b32 v24, v0
.LBB151_16:                             ;   in Loop: Header=BB151_4 Depth=2
	s_or_b32 exec_lo, exec_lo, s12
	v_lshrrev_b32_e32 v0, s28, v63
	v_lshrrev_b32_e32 v1, s25, v64
	; wave barrier
	s_delay_alu instid0(VALU_DEP_1) | instskip(NEXT) | instid1(VALU_DEP_1)
	v_and_b32_e32 v1, s26, v1
	v_dual_cndmask_b32 v1, 0, v1 :: v_dual_and_b32 v0, s29, v0
	s_delay_alu instid0(VALU_DEP_1) | instskip(NEXT) | instid1(VALU_DEP_1)
	v_lshlrev_b32_e32 v0, s27, v0
	v_cndmask_b32_e64 v0, 0, v0, s11
	s_delay_alu instid0(VALU_DEP_1) | instskip(NEXT) | instid1(VALU_DEP_1)
	v_or_b32_e32 v0, v1, v0
	v_and_b32_e32 v1, 1, v0
	v_lshlrev_b32_e32 v2, 30, v0
	v_lshlrev_b32_e32 v3, 29, v0
	;; [unrolled: 1-line block ×4, first 2 shown]
	v_add_co_u32 v1, s12, v1, -1
	s_delay_alu instid0(VALU_DEP_1)
	v_cndmask_b32_e64 v5, 0, 1, s12
	v_not_b32_e32 v26, v2
	v_cmp_gt_i32_e64 s13, 0, v2
	v_not_b32_e32 v2, v3
	v_lshlrev_b32_e32 v7, 26, v0
	v_cmp_ne_u32_e64 s12, 0, v5
	v_ashrrev_i32_e32 v26, 31, v26
	v_lshlrev_b32_e32 v25, 25, v0
	v_ashrrev_i32_e32 v2, 31, v2
	v_lshlrev_b32_e32 v5, 24, v0
	v_xor_b32_e32 v1, s12, v1
	v_cmp_gt_i32_e64 s12, 0, v3
	v_not_b32_e32 v3, v4
	v_xor_b32_e32 v26, s13, v26
	v_cmp_gt_i32_e64 s13, 0, v4
	v_and_b32_e32 v1, exec_lo, v1
	v_not_b32_e32 v4, v6
	v_ashrrev_i32_e32 v3, 31, v3
	v_xor_b32_e32 v2, s12, v2
	v_cmp_gt_i32_e64 s12, 0, v6
	v_and_b32_e32 v1, v1, v26
	v_not_b32_e32 v6, v7
	v_ashrrev_i32_e32 v4, 31, v4
	v_xor_b32_e32 v3, s13, v3
	v_cmp_gt_i32_e64 s13, 0, v7
	v_and_b32_e32 v1, v1, v2
	v_not_b32_e32 v2, v25
	v_ashrrev_i32_e32 v6, 31, v6
	v_xor_b32_e32 v4, s12, v4
	v_cmp_gt_i32_e64 s12, 0, v25
	v_and_b32_e32 v1, v1, v3
	v_not_b32_e32 v3, v5
	v_ashrrev_i32_e32 v2, 31, v2
	v_xor_b32_e32 v6, s13, v6
	v_lshlrev_b32_e32 v0, 1, v0
	v_and_b32_e32 v1, v1, v4
	v_cmp_gt_i32_e64 s13, 0, v5
	v_ashrrev_i32_e32 v3, 31, v3
	v_xor_b32_e32 v2, s12, v2
	v_add_lshl_u32 v4, v0, v73, 2
	v_and_b32_e32 v1, v1, v6
	s_delay_alu instid0(VALU_DEP_4) | instskip(SKIP_3) | instid1(VALU_DEP_2)
	v_xor_b32_e32 v0, s13, v3
	ds_load_b32 v25, v4 offset:8
	v_and_b32_e32 v1, v1, v2
	v_add_nc_u32_e32 v27, 8, v4
	; wave barrier
	v_and_b32_e32 v0, v1, v0
	s_delay_alu instid0(VALU_DEP_1) | instskip(SKIP_1) | instid1(VALU_DEP_2)
	v_mbcnt_lo_u32_b32 v26, v0, 0
	v_cmp_ne_u32_e64 s13, 0, v0
	v_cmp_eq_u32_e64 s12, 0, v26
	s_delay_alu instid0(VALU_DEP_1) | instskip(NEXT) | instid1(SALU_CYCLE_1)
	s_and_b32 s13, s12, s13
	s_and_saveexec_b32 s12, s13
	s_cbranch_execz .LBB151_18
; %bb.17:                               ;   in Loop: Header=BB151_4 Depth=2
	s_waitcnt lgkmcnt(0)
	v_bcnt_u32_b32 v0, v0, v25
	ds_store_b32 v27, v0
.LBB151_18:                             ;   in Loop: Header=BB151_4 Depth=2
	s_or_b32 exec_lo, exec_lo, s12
	v_lshrrev_b32_e32 v0, s28, v61
	v_lshrrev_b32_e32 v1, s25, v62
	; wave barrier
	s_delay_alu instid0(VALU_DEP_1) | instskip(NEXT) | instid1(VALU_DEP_1)
	v_and_b32_e32 v1, s26, v1
	v_dual_cndmask_b32 v1, 0, v1 :: v_dual_and_b32 v0, s29, v0
	s_delay_alu instid0(VALU_DEP_1) | instskip(NEXT) | instid1(VALU_DEP_1)
	v_lshlrev_b32_e32 v0, s27, v0
	v_cndmask_b32_e64 v0, 0, v0, s11
	s_delay_alu instid0(VALU_DEP_1) | instskip(NEXT) | instid1(VALU_DEP_1)
	v_or_b32_e32 v0, v1, v0
	v_and_b32_e32 v1, 1, v0
	v_lshlrev_b32_e32 v2, 30, v0
	v_lshlrev_b32_e32 v3, 29, v0
	;; [unrolled: 1-line block ×4, first 2 shown]
	v_add_co_u32 v1, s11, v1, -1
	s_delay_alu instid0(VALU_DEP_1)
	v_cndmask_b32_e64 v5, 0, 1, s11
	v_not_b32_e32 v29, v2
	v_cmp_gt_i32_e64 s11, 0, v2
	v_not_b32_e32 v2, v3
	v_lshlrev_b32_e32 v7, 26, v0
	v_cmp_ne_u32_e32 vcc_lo, 0, v5
	v_ashrrev_i32_e32 v29, 31, v29
	v_lshlrev_b32_e32 v28, 25, v0
	v_ashrrev_i32_e32 v2, 31, v2
	v_lshlrev_b32_e32 v5, 24, v0
	v_xor_b32_e32 v1, vcc_lo, v1
	v_cmp_gt_i32_e32 vcc_lo, 0, v3
	v_not_b32_e32 v3, v4
	v_xor_b32_e32 v29, s11, v29
	v_cmp_gt_i32_e64 s11, 0, v4
	v_and_b32_e32 v1, exec_lo, v1
	v_not_b32_e32 v4, v6
	v_ashrrev_i32_e32 v3, 31, v3
	v_xor_b32_e32 v2, vcc_lo, v2
	v_cmp_gt_i32_e32 vcc_lo, 0, v6
	v_and_b32_e32 v1, v1, v29
	v_not_b32_e32 v6, v7
	v_ashrrev_i32_e32 v4, 31, v4
	v_xor_b32_e32 v3, s11, v3
	v_cmp_gt_i32_e64 s11, 0, v7
	v_and_b32_e32 v1, v1, v2
	v_not_b32_e32 v2, v28
	v_ashrrev_i32_e32 v6, 31, v6
	v_xor_b32_e32 v4, vcc_lo, v4
	v_cmp_gt_i32_e32 vcc_lo, 0, v28
	v_and_b32_e32 v1, v1, v3
	v_not_b32_e32 v3, v5
	v_ashrrev_i32_e32 v2, 31, v2
	v_xor_b32_e32 v6, s11, v6
	v_lshlrev_b32_e32 v0, 1, v0
	v_and_b32_e32 v1, v1, v4
	v_cmp_gt_i32_e64 s11, 0, v5
	v_ashrrev_i32_e32 v3, 31, v3
	v_xor_b32_e32 v2, vcc_lo, v2
	v_add_lshl_u32 v4, v0, v73, 2
	v_and_b32_e32 v1, v1, v6
	s_delay_alu instid0(VALU_DEP_4) | instskip(SKIP_3) | instid1(VALU_DEP_2)
	v_xor_b32_e32 v0, s11, v3
	ds_load_b32 v28, v4 offset:8
	v_and_b32_e32 v1, v1, v2
	v_add_nc_u32_e32 v30, 8, v4
	; wave barrier
	v_and_b32_e32 v0, v1, v0
	s_delay_alu instid0(VALU_DEP_1) | instskip(SKIP_1) | instid1(VALU_DEP_2)
	v_mbcnt_lo_u32_b32 v29, v0, 0
	v_cmp_ne_u32_e64 s11, 0, v0
	v_cmp_eq_u32_e32 vcc_lo, 0, v29
	s_delay_alu instid0(VALU_DEP_2) | instskip(NEXT) | instid1(SALU_CYCLE_1)
	s_and_b32 s12, vcc_lo, s11
	s_and_saveexec_b32 s11, s12
	s_cbranch_execz .LBB151_20
; %bb.19:                               ;   in Loop: Header=BB151_4 Depth=2
	s_waitcnt lgkmcnt(0)
	v_bcnt_u32_b32 v0, v0, v28
	ds_store_b32 v30, v0
.LBB151_20:                             ;   in Loop: Header=BB151_4 Depth=2
	s_or_b32 exec_lo, exec_lo, s11
	; wave barrier
	s_waitcnt lgkmcnt(0)
	s_barrier
	buffer_gl0_inv
	ds_load_2addr_b64 v[4:7], v65 offset0:1 offset1:2
	ds_load_2addr_b64 v[0:3], v66 offset0:2 offset1:3
	s_waitcnt lgkmcnt(1)
	v_add_nc_u32_e32 v31, v5, v4
	s_delay_alu instid0(VALU_DEP_1) | instskip(SKIP_1) | instid1(VALU_DEP_1)
	v_add3_u32 v31, v31, v6, v7
	s_waitcnt lgkmcnt(0)
	v_add3_u32 v31, v31, v0, v1
	s_delay_alu instid0(VALU_DEP_1) | instskip(NEXT) | instid1(VALU_DEP_1)
	v_add3_u32 v3, v31, v2, v3
	v_mov_b32_dpp v31, v3 row_shr:1 row_mask:0xf bank_mask:0xf
	s_delay_alu instid0(VALU_DEP_1) | instskip(NEXT) | instid1(VALU_DEP_1)
	v_cndmask_b32_e64 v31, v31, 0, s1
	v_add_nc_u32_e32 v3, v31, v3
	s_delay_alu instid0(VALU_DEP_1) | instskip(NEXT) | instid1(VALU_DEP_1)
	v_mov_b32_dpp v31, v3 row_shr:2 row_mask:0xf bank_mask:0xf
	v_cndmask_b32_e64 v31, 0, v31, s2
	s_delay_alu instid0(VALU_DEP_1) | instskip(NEXT) | instid1(VALU_DEP_1)
	v_add_nc_u32_e32 v3, v3, v31
	v_mov_b32_dpp v31, v3 row_shr:4 row_mask:0xf bank_mask:0xf
	s_delay_alu instid0(VALU_DEP_1) | instskip(NEXT) | instid1(VALU_DEP_1)
	v_cndmask_b32_e64 v31, 0, v31, s3
	v_add_nc_u32_e32 v3, v3, v31
	s_delay_alu instid0(VALU_DEP_1) | instskip(NEXT) | instid1(VALU_DEP_1)
	v_mov_b32_dpp v31, v3 row_shr:8 row_mask:0xf bank_mask:0xf
	v_cndmask_b32_e64 v31, 0, v31, s4
	s_delay_alu instid0(VALU_DEP_1) | instskip(SKIP_3) | instid1(VALU_DEP_1)
	v_add_nc_u32_e32 v3, v3, v31
	ds_swizzle_b32 v31, v3 offset:swizzle(BROADCAST,32,15)
	s_waitcnt lgkmcnt(0)
	v_cndmask_b32_e64 v31, v31, 0, s5
	v_add_nc_u32_e32 v3, v3, v31
	s_and_saveexec_b32 s11, s10
	s_cbranch_execz .LBB151_22
; %bb.21:                               ;   in Loop: Header=BB151_4 Depth=2
	ds_store_b32 v68, v3
.LBB151_22:                             ;   in Loop: Header=BB151_4 Depth=2
	s_or_b32 exec_lo, exec_lo, s11
	s_waitcnt lgkmcnt(0)
	s_barrier
	buffer_gl0_inv
	s_and_saveexec_b32 s11, s6
	s_cbranch_execz .LBB151_24
; %bb.23:                               ;   in Loop: Header=BB151_4 Depth=2
	ds_load_b32 v31, v69
	s_waitcnt lgkmcnt(0)
	v_mov_b32_dpp v75, v31 row_shr:1 row_mask:0xf bank_mask:0xf
	s_delay_alu instid0(VALU_DEP_1) | instskip(NEXT) | instid1(VALU_DEP_1)
	v_cndmask_b32_e64 v75, v75, 0, s9
	v_add_nc_u32_e32 v31, v75, v31
	ds_store_b32 v69, v31
.LBB151_24:                             ;   in Loop: Header=BB151_4 Depth=2
	s_or_b32 exec_lo, exec_lo, s11
	v_mov_b32_e32 v31, 0
	s_waitcnt lgkmcnt(0)
	s_barrier
	buffer_gl0_inv
	s_and_saveexec_b32 s11, s7
	s_cbranch_execz .LBB151_26
; %bb.25:                               ;   in Loop: Header=BB151_4 Depth=2
	ds_load_b32 v31, v72
.LBB151_26:                             ;   in Loop: Header=BB151_4 Depth=2
	s_or_b32 exec_lo, exec_lo, s11
	s_waitcnt lgkmcnt(0)
	v_add_nc_u32_e32 v3, v31, v3
	s_cmp_gt_u32 s25, 55
	ds_bpermute_b32 v3, v67, v3
	s_waitcnt lgkmcnt(0)
	v_cndmask_b32_e64 v3, v3, v31, s0
	s_delay_alu instid0(VALU_DEP_1) | instskip(NEXT) | instid1(VALU_DEP_1)
	v_cndmask_b32_e64 v3, v3, 0, s8
	v_add_nc_u32_e32 v4, v3, v4
	s_delay_alu instid0(VALU_DEP_1) | instskip(NEXT) | instid1(VALU_DEP_1)
	v_add_nc_u32_e32 v5, v4, v5
	v_add_nc_u32_e32 v6, v5, v6
	s_delay_alu instid0(VALU_DEP_1)
	v_add_nc_u32_e32 v75, v6, v7
	v_lshlrev_b32_e32 v7, 3, v12
	v_lshlrev_b32_e32 v12, 3, v13
	;; [unrolled: 1-line block ×4, first 2 shown]
	v_add_nc_u32_e32 v76, v75, v0
	s_delay_alu instid0(VALU_DEP_1) | instskip(NEXT) | instid1(VALU_DEP_1)
	v_add_nc_u32_e32 v0, v76, v1
	v_add_nc_u32_e32 v1, v0, v2
	v_lshlrev_b32_e32 v2, 3, v9
	v_lshlrev_b32_e32 v9, 3, v10
	ds_store_2addr_b64 v65, v[3:4], v[5:6] offset0:1 offset1:2
	ds_store_2addr_b64 v66, v[75:76], v[0:1] offset0:2 offset1:3
	s_waitcnt lgkmcnt(0)
	s_barrier
	buffer_gl0_inv
	ds_load_b32 v0, v8
	ds_load_b32 v1, v11
	ds_load_b32 v3, v15
	ds_load_b32 v4, v18
	ds_load_b32 v5, v21
	ds_load_b32 v6, v24
	ds_load_b32 v8, v27
	ds_load_b32 v10, v30
	v_lshlrev_b32_e32 v11, 3, v14
	v_lshlrev_b32_e32 v14, 3, v16
	;; [unrolled: 1-line block ×9, first 2 shown]
	s_waitcnt lgkmcnt(0)
	v_lshl_add_u32 v75, v0, 3, v2
	v_lshlrev_b32_e32 v0, 3, v1
	v_lshlrev_b32_e32 v1, 3, v3
	;; [unrolled: 1-line block ×7, first 2 shown]
	v_add3_u32 v76, v7, v9, v0
	v_add3_u32 v77, v11, v12, v1
	v_add3_u32 v78, v13, v14, v2
	v_add3_u32 v79, v15, v16, v3
	v_add3_u32 v80, v17, v18, v4
	v_add3_u32 v81, v19, v20, v5
	v_add3_u32 v82, v21, v22, v6
	s_cbranch_scc0 .LBB151_3
; %bb.27:                               ;   in Loop: Header=BB151_2 Depth=1
                                        ; implicit-def: $sgpr25
                                        ; implicit-def: $vgpr20_vgpr21
                                        ; implicit-def: $vgpr24_vgpr25
                                        ; implicit-def: $vgpr28_vgpr29
                                        ; implicit-def: $vgpr16_vgpr17
                                        ; implicit-def: $vgpr0_vgpr1
                                        ; implicit-def: $vgpr4_vgpr5
                                        ; implicit-def: $vgpr8_vgpr9
                                        ; implicit-def: $vgpr12_vgpr13
                                        ; implicit-def: $sgpr24
                                        ; implicit-def: $sgpr23
	s_branch .LBB151_1
.LBB151_28:
	s_waitcnt lgkmcnt(3)
	v_add_nc_u32_e32 v0, v1, v28
	v_add_nc_u32_e32 v1, v2, v29
	s_waitcnt lgkmcnt(0)
	v_add_nc_u32_e32 v15, v33, v16
	v_add_nc_u32_e32 v16, v34, v17
	v_lshlrev_b32_e32 v17, 3, v32
	v_add_nc_u32_e32 v2, v3, v30
	v_add_nc_u32_e32 v3, v4, v31
	;; [unrolled: 1-line block ×4, first 2 shown]
	s_add_u32 s0, s18, s14
	v_add_nc_u32_e32 v6, v7, v26
	v_add_nc_u32_e32 v7, v8, v27
	s_addc_u32 s1, s19, s15
	v_add_nc_u32_e32 v8, v9, v20
	v_add_nc_u32_e32 v9, v10, v21
	;; [unrolled: 1-line block ×6, first 2 shown]
	s_clause 0x7
	global_store_b64 v17, v[0:1], s[0:1]
	global_store_b64 v17, v[2:3], s[0:1] offset:512
	global_store_b64 v17, v[4:5], s[0:1] offset:1024
	;; [unrolled: 1-line block ×7, first 2 shown]
	s_nop 0
	s_sendmsg sendmsg(MSG_DEALLOC_VGPRS)
	s_endpgm
	.section	.rodata,"a",@progbits
	.p2align	6, 0x0
	.amdhsa_kernel _Z17sort_pairs_kernelI22helper_blocked_blockedN15benchmark_utils11custom_typeIiiEELj64ELj8ELj10EEvPKT0_PS4_
		.amdhsa_group_segment_fixed_size 4096
		.amdhsa_private_segment_fixed_size 0
		.amdhsa_kernarg_size 272
		.amdhsa_user_sgpr_count 15
		.amdhsa_user_sgpr_dispatch_ptr 0
		.amdhsa_user_sgpr_queue_ptr 0
		.amdhsa_user_sgpr_kernarg_segment_ptr 1
		.amdhsa_user_sgpr_dispatch_id 0
		.amdhsa_user_sgpr_private_segment_size 0
		.amdhsa_wavefront_size32 1
		.amdhsa_uses_dynamic_stack 0
		.amdhsa_enable_private_segment 0
		.amdhsa_system_sgpr_workgroup_id_x 1
		.amdhsa_system_sgpr_workgroup_id_y 0
		.amdhsa_system_sgpr_workgroup_id_z 0
		.amdhsa_system_sgpr_workgroup_info 0
		.amdhsa_system_vgpr_workitem_id 2
		.amdhsa_next_free_vgpr 83
		.amdhsa_next_free_sgpr 30
		.amdhsa_reserve_vcc 1
		.amdhsa_float_round_mode_32 0
		.amdhsa_float_round_mode_16_64 0
		.amdhsa_float_denorm_mode_32 3
		.amdhsa_float_denorm_mode_16_64 3
		.amdhsa_dx10_clamp 1
		.amdhsa_ieee_mode 1
		.amdhsa_fp16_overflow 0
		.amdhsa_workgroup_processor_mode 1
		.amdhsa_memory_ordered 1
		.amdhsa_forward_progress 0
		.amdhsa_shared_vgpr_count 0
		.amdhsa_exception_fp_ieee_invalid_op 0
		.amdhsa_exception_fp_denorm_src 0
		.amdhsa_exception_fp_ieee_div_zero 0
		.amdhsa_exception_fp_ieee_overflow 0
		.amdhsa_exception_fp_ieee_underflow 0
		.amdhsa_exception_fp_ieee_inexact 0
		.amdhsa_exception_int_div_zero 0
	.end_amdhsa_kernel
	.section	.text._Z17sort_pairs_kernelI22helper_blocked_blockedN15benchmark_utils11custom_typeIiiEELj64ELj8ELj10EEvPKT0_PS4_,"axG",@progbits,_Z17sort_pairs_kernelI22helper_blocked_blockedN15benchmark_utils11custom_typeIiiEELj64ELj8ELj10EEvPKT0_PS4_,comdat
.Lfunc_end151:
	.size	_Z17sort_pairs_kernelI22helper_blocked_blockedN15benchmark_utils11custom_typeIiiEELj64ELj8ELj10EEvPKT0_PS4_, .Lfunc_end151-_Z17sort_pairs_kernelI22helper_blocked_blockedN15benchmark_utils11custom_typeIiiEELj64ELj8ELj10EEvPKT0_PS4_
                                        ; -- End function
	.section	.AMDGPU.csdata,"",@progbits
; Kernel info:
; codeLenInByte = 5564
; NumSgprs: 32
; NumVgprs: 83
; ScratchSize: 0
; MemoryBound: 0
; FloatMode: 240
; IeeeMode: 1
; LDSByteSize: 4096 bytes/workgroup (compile time only)
; SGPRBlocks: 3
; VGPRBlocks: 10
; NumSGPRsForWavesPerEU: 32
; NumVGPRsForWavesPerEU: 83
; Occupancy: 16
; WaveLimiterHint : 1
; COMPUTE_PGM_RSRC2:SCRATCH_EN: 0
; COMPUTE_PGM_RSRC2:USER_SGPR: 15
; COMPUTE_PGM_RSRC2:TRAP_HANDLER: 0
; COMPUTE_PGM_RSRC2:TGID_X_EN: 1
; COMPUTE_PGM_RSRC2:TGID_Y_EN: 0
; COMPUTE_PGM_RSRC2:TGID_Z_EN: 0
; COMPUTE_PGM_RSRC2:TIDIG_COMP_CNT: 2
	.section	.text._Z16sort_keys_kernelI22helper_blocked_blockedN15benchmark_utils11custom_typeIiiEELj128ELj1ELj10EEvPKT0_PS4_,"axG",@progbits,_Z16sort_keys_kernelI22helper_blocked_blockedN15benchmark_utils11custom_typeIiiEELj128ELj1ELj10EEvPKT0_PS4_,comdat
	.protected	_Z16sort_keys_kernelI22helper_blocked_blockedN15benchmark_utils11custom_typeIiiEELj128ELj1ELj10EEvPKT0_PS4_ ; -- Begin function _Z16sort_keys_kernelI22helper_blocked_blockedN15benchmark_utils11custom_typeIiiEELj128ELj1ELj10EEvPKT0_PS4_
	.globl	_Z16sort_keys_kernelI22helper_blocked_blockedN15benchmark_utils11custom_typeIiiEELj128ELj1ELj10EEvPKT0_PS4_
	.p2align	8
	.type	_Z16sort_keys_kernelI22helper_blocked_blockedN15benchmark_utils11custom_typeIiiEELj128ELj1ELj10EEvPKT0_PS4_,@function
_Z16sort_keys_kernelI22helper_blocked_blockedN15benchmark_utils11custom_typeIiiEELj128ELj1ELj10EEvPKT0_PS4_: ; @_Z16sort_keys_kernelI22helper_blocked_blockedN15benchmark_utils11custom_typeIiiEELj128ELj1ELj10EEvPKT0_PS4_
; %bb.0:
	s_clause 0x1
	s_load_b128 s[16:19], s[0:1], 0x0
	s_load_b32 s10, s[0:1], 0x1c
	s_mov_b32 s21, 0
	s_lshl_b32 s20, s15, 7
	v_mbcnt_lo_u32_b32 v5, -1, 0
	s_lshl_b64 s[14:15], s[20:21], 3
	v_bfe_u32 v3, v0, 10, 10
	s_mov_b32 s20, s21
	s_mov_b32 s22, 10
	v_and_b32_e32 v6, 16, v5
	v_add_nc_u32_e32 v7, -1, v5
	v_dual_mov_b32 v11, s20 :: v_dual_and_b32 v4, 15, v5
	v_dual_mov_b32 v12, s21 :: v_dual_and_b32 v13, 3, v5
	s_delay_alu instid0(VALU_DEP_4) | instskip(NEXT) | instid1(VALU_DEP_4)
	v_cmp_eq_u32_e64 s4, 0, v6
	v_cmp_gt_i32_e64 s7, 0, v7
	s_delay_alu instid0(VALU_DEP_4)
	v_cmp_lt_u32_e64 s2, 3, v4
	v_cmp_lt_u32_e64 s3, 7, v4
	v_cmp_eq_u32_e64 s8, 0, v13
	s_waitcnt lgkmcnt(0)
	s_add_u32 s0, s16, s14
	s_addc_u32 s1, s17, s15
	s_mov_b32 s16, s21
	s_mov_b32 s17, s21
	v_dual_mov_b32 v9, s16 :: v_dual_and_b32 v8, 0x3ff, v0
	v_mov_b32_e32 v10, s17
	v_bfe_u32 v0, v0, 20, 10
	s_lshr_b32 s11, s10, 16
	s_delay_alu instid0(VALU_DEP_3)
	v_lshlrev_b32_e32 v1, 3, v8
	v_lshlrev_b32_e32 v15, 5, v8
	v_and_b32_e32 v6, 0x60, v8
	v_mad_u32_u24 v0, v0, s11, v3
	v_lshrrev_b32_e32 v14, 3, v8
	global_load_b64 v[1:2], v1, s[0:1]
	s_and_b32 s10, s10, 0xffff
	v_cmp_eq_u32_e64 s0, 0, v4
	v_cmp_lt_u32_e64 s1, 1, v4
	v_mad_u64_u32 v[3:4], null, v0, s10, v[8:9]
	v_cndmask_b32_e64 v7, v7, v5, s7
	v_cmp_lt_u32_e64 s9, 1, v13
	v_lshlrev_b32_e32 v23, 2, v8
	v_or_b32_e32 v13, 31, v6
	v_and_b32_e32 v17, 12, v14
	v_or_b32_e32 v0, v5, v6
	v_mad_i32_i24 v19, 0xffffffe4, v8, v15
	v_cmp_eq_u32_e32 vcc_lo, 0, v5
	v_cmp_gt_u32_e64 s5, 4, v8
	v_cmp_lt_u32_e64 s6, 31, v8
	v_cmp_eq_u32_e64 s7, 0, v8
	v_or_b32_e32 v16, 16, v15
	v_lshlrev_b32_e32 v18, 2, v7
	v_cmp_eq_u32_e64 s10, v13, v8
	v_add_nc_u32_e32 v20, -4, v17
	v_lshlrev_b32_e32 v21, 3, v0
	v_lshrrev_b32_e32 v22, 5, v3
	v_add_nc_u32_e32 v23, v19, v23
	s_waitcnt vmcnt(0)
	v_xor_b32_e32 v13, 0x80000000, v1
	v_xor_b32_e32 v14, 0x80000000, v2
	s_branch .LBB152_2
.LBB152_1:                              ;   in Loop: Header=BB152_2 Depth=1
	s_or_b32 exec_lo, exec_lo, s11
	s_waitcnt lgkmcnt(0)
	v_add_nc_u32_e32 v3, v26, v3
	s_add_i32 s22, s22, -1
	s_delay_alu instid0(SALU_CYCLE_1) | instskip(SKIP_3) | instid1(VALU_DEP_1)
	s_cmp_eq_u32 s22, 0
	ds_bpermute_b32 v3, v18, v3
	s_waitcnt lgkmcnt(0)
	v_cndmask_b32_e32 v3, v3, v26, vcc_lo
	v_cndmask_b32_e64 v3, v3, 0, s7
	s_delay_alu instid0(VALU_DEP_1) | instskip(NEXT) | instid1(VALU_DEP_1)
	v_add_nc_u32_e32 v4, v3, v4
	v_add_nc_u32_e32 v5, v4, v5
	s_delay_alu instid0(VALU_DEP_1) | instskip(NEXT) | instid1(VALU_DEP_1)
	v_add_nc_u32_e32 v6, v5, v6
	v_add_nc_u32_e32 v26, v6, v7
	s_delay_alu instid0(VALU_DEP_1) | instskip(NEXT) | instid1(VALU_DEP_1)
	v_add_nc_u32_e32 v27, v26, v0
	v_add_nc_u32_e32 v0, v27, v1
	s_delay_alu instid0(VALU_DEP_1)
	v_add_nc_u32_e32 v1, v0, v2
	ds_store_2addr_b64 v15, v[3:4], v[5:6] offset0:2 offset1:3
	ds_store_2addr_b64 v16, v[26:27], v[0:1] offset0:2 offset1:3
	s_waitcnt lgkmcnt(0)
	s_barrier
	buffer_gl0_inv
	ds_load_b32 v0, v25
	v_lshlrev_b32_e32 v1, 3, v24
	s_waitcnt lgkmcnt(0)
	s_barrier
	buffer_gl0_inv
	v_lshl_add_u32 v0, v0, 3, v1
	ds_store_b64 v0, v[13:14]
	s_waitcnt lgkmcnt(0)
	s_barrier
	buffer_gl0_inv
	ds_load_b64 v[13:14], v23
	s_cbranch_scc1 .LBB152_66
.LBB152_2:                              ; =>This Inner Loop Header: Depth=1
	s_waitcnt lgkmcnt(0)
	s_delay_alu instid0(VALU_DEP_1)
	v_and_b32_e32 v0, 1, v14
	v_lshlrev_b32_e32 v1, 30, v14
	v_lshlrev_b32_e32 v2, 29, v14
	;; [unrolled: 1-line block ×4, first 2 shown]
	v_add_co_u32 v0, s11, v0, -1
	s_delay_alu instid0(VALU_DEP_1)
	v_cndmask_b32_e64 v3, 0, 1, s11
	v_not_b32_e32 v7, v1
	v_cmp_gt_i32_e64 s12, 0, v1
	v_not_b32_e32 v1, v2
	v_lshlrev_b32_e32 v6, 26, v14
	v_cmp_ne_u32_e64 s11, 0, v3
	v_ashrrev_i32_e32 v7, 31, v7
	v_lshlrev_b32_e32 v3, 25, v14
	v_ashrrev_i32_e32 v1, 31, v1
	v_cmp_gt_i32_e64 s13, 0, v5
	v_xor_b32_e32 v0, s11, v0
	v_cmp_gt_i32_e64 s11, 0, v2
	v_not_b32_e32 v2, v4
	v_xor_b32_e32 v7, s12, v7
	v_cmp_gt_i32_e64 s12, 0, v4
	v_and_b32_e32 v0, exec_lo, v0
	v_xor_b32_e32 v1, s11, v1
	v_ashrrev_i32_e32 v2, 31, v2
	v_not_b32_e32 v4, v5
	v_not_b32_e32 v5, v6
	v_and_b32_e32 v0, v0, v7
	v_cmp_gt_i32_e64 s11, 0, v6
	v_xor_b32_e32 v2, s12, v2
	v_not_b32_e32 v6, v3
	ds_store_2addr_b64 v15, v[11:12], v[9:10] offset0:2 offset1:3
	ds_store_2addr_b64 v16, v[11:12], v[9:10] offset0:2 offset1:3
	v_and_b32_e32 v0, v0, v1
	v_ashrrev_i32_e32 v1, 31, v4
	v_ashrrev_i32_e32 v4, 31, v5
	v_lshlrev_b32_e32 v5, 24, v14
	s_waitcnt lgkmcnt(0)
	v_and_b32_e32 v0, v0, v2
	v_xor_b32_e32 v1, s13, v1
	v_xor_b32_e32 v2, s11, v4
	v_cmp_gt_i32_e64 s11, 0, v3
	v_not_b32_e32 v3, v5
	v_ashrrev_i32_e32 v4, 31, v6
	v_and_b32_e32 v0, v0, v1
	v_cmp_gt_i32_e64 s12, 0, v5
	s_barrier
	v_ashrrev_i32_e32 v1, 31, v3
	v_xor_b32_e32 v3, s11, v4
	v_and_b32_e32 v0, v0, v2
	buffer_gl0_inv
	v_xor_b32_e32 v1, s12, v1
	; wave barrier
	v_and_b32_e32 v0, v0, v3
	s_delay_alu instid0(VALU_DEP_1) | instskip(SKIP_1) | instid1(VALU_DEP_2)
	v_and_b32_e32 v0, v0, v1
	v_and_b32_e32 v1, 0xff, v14
	v_mbcnt_lo_u32_b32 v24, v0, 0
	s_delay_alu instid0(VALU_DEP_2) | instskip(SKIP_1) | instid1(VALU_DEP_3)
	v_lshl_add_u32 v1, v1, 2, v22
	v_cmp_ne_u32_e64 s12, 0, v0
	v_cmp_eq_u32_e64 s11, 0, v24
	s_delay_alu instid0(VALU_DEP_3) | instskip(NEXT) | instid1(VALU_DEP_2)
	v_lshl_add_u32 v25, v1, 2, 16
	s_and_b32 s12, s12, s11
	s_delay_alu instid0(SALU_CYCLE_1)
	s_and_saveexec_b32 s11, s12
	s_cbranch_execz .LBB152_4
; %bb.3:                                ;   in Loop: Header=BB152_2 Depth=1
	v_bcnt_u32_b32 v0, v0, 0
	ds_store_b32 v25, v0
.LBB152_4:                              ;   in Loop: Header=BB152_2 Depth=1
	s_or_b32 exec_lo, exec_lo, s11
	; wave barrier
	s_waitcnt lgkmcnt(0)
	s_barrier
	buffer_gl0_inv
	ds_load_2addr_b64 v[4:7], v15 offset0:2 offset1:3
	ds_load_2addr_b64 v[0:3], v16 offset0:2 offset1:3
	s_waitcnt lgkmcnt(1)
	v_add_nc_u32_e32 v26, v5, v4
	s_delay_alu instid0(VALU_DEP_1) | instskip(SKIP_1) | instid1(VALU_DEP_1)
	v_add3_u32 v26, v26, v6, v7
	s_waitcnt lgkmcnt(0)
	v_add3_u32 v26, v26, v0, v1
	s_delay_alu instid0(VALU_DEP_1) | instskip(NEXT) | instid1(VALU_DEP_1)
	v_add3_u32 v3, v26, v2, v3
	v_mov_b32_dpp v26, v3 row_shr:1 row_mask:0xf bank_mask:0xf
	s_delay_alu instid0(VALU_DEP_1) | instskip(NEXT) | instid1(VALU_DEP_1)
	v_cndmask_b32_e64 v26, v26, 0, s0
	v_add_nc_u32_e32 v3, v26, v3
	s_delay_alu instid0(VALU_DEP_1) | instskip(NEXT) | instid1(VALU_DEP_1)
	v_mov_b32_dpp v26, v3 row_shr:2 row_mask:0xf bank_mask:0xf
	v_cndmask_b32_e64 v26, 0, v26, s1
	s_delay_alu instid0(VALU_DEP_1) | instskip(NEXT) | instid1(VALU_DEP_1)
	v_add_nc_u32_e32 v3, v3, v26
	v_mov_b32_dpp v26, v3 row_shr:4 row_mask:0xf bank_mask:0xf
	s_delay_alu instid0(VALU_DEP_1) | instskip(NEXT) | instid1(VALU_DEP_1)
	v_cndmask_b32_e64 v26, 0, v26, s2
	v_add_nc_u32_e32 v3, v3, v26
	s_delay_alu instid0(VALU_DEP_1) | instskip(NEXT) | instid1(VALU_DEP_1)
	v_mov_b32_dpp v26, v3 row_shr:8 row_mask:0xf bank_mask:0xf
	v_cndmask_b32_e64 v26, 0, v26, s3
	s_delay_alu instid0(VALU_DEP_1) | instskip(SKIP_3) | instid1(VALU_DEP_1)
	v_add_nc_u32_e32 v3, v3, v26
	ds_swizzle_b32 v26, v3 offset:swizzle(BROADCAST,32,15)
	s_waitcnt lgkmcnt(0)
	v_cndmask_b32_e64 v26, v26, 0, s4
	v_add_nc_u32_e32 v3, v3, v26
	s_and_saveexec_b32 s11, s10
	s_cbranch_execz .LBB152_6
; %bb.5:                                ;   in Loop: Header=BB152_2 Depth=1
	ds_store_b32 v17, v3
.LBB152_6:                              ;   in Loop: Header=BB152_2 Depth=1
	s_or_b32 exec_lo, exec_lo, s11
	s_waitcnt lgkmcnt(0)
	s_barrier
	buffer_gl0_inv
	s_and_saveexec_b32 s11, s5
	s_cbranch_execz .LBB152_8
; %bb.7:                                ;   in Loop: Header=BB152_2 Depth=1
	ds_load_b32 v26, v19
	s_waitcnt lgkmcnt(0)
	v_mov_b32_dpp v27, v26 row_shr:1 row_mask:0xf bank_mask:0xf
	s_delay_alu instid0(VALU_DEP_1) | instskip(NEXT) | instid1(VALU_DEP_1)
	v_cndmask_b32_e64 v27, v27, 0, s8
	v_add_nc_u32_e32 v26, v27, v26
	s_delay_alu instid0(VALU_DEP_1) | instskip(NEXT) | instid1(VALU_DEP_1)
	v_mov_b32_dpp v27, v26 row_shr:2 row_mask:0xf bank_mask:0xf
	v_cndmask_b32_e64 v27, 0, v27, s9
	s_delay_alu instid0(VALU_DEP_1)
	v_add_nc_u32_e32 v26, v26, v27
	ds_store_b32 v19, v26
.LBB152_8:                              ;   in Loop: Header=BB152_2 Depth=1
	s_or_b32 exec_lo, exec_lo, s11
	v_mov_b32_e32 v26, 0
	s_waitcnt lgkmcnt(0)
	s_barrier
	buffer_gl0_inv
	s_and_saveexec_b32 s11, s6
	s_cbranch_execz .LBB152_10
; %bb.9:                                ;   in Loop: Header=BB152_2 Depth=1
	ds_load_b32 v26, v20
.LBB152_10:                             ;   in Loop: Header=BB152_2 Depth=1
	s_or_b32 exec_lo, exec_lo, s11
	s_waitcnt lgkmcnt(0)
	v_add_nc_u32_e32 v3, v26, v3
	ds_bpermute_b32 v3, v18, v3
	s_waitcnt lgkmcnt(0)
	v_cndmask_b32_e32 v3, v3, v26, vcc_lo
	s_delay_alu instid0(VALU_DEP_1) | instskip(NEXT) | instid1(VALU_DEP_1)
	v_cndmask_b32_e64 v3, v3, 0, s7
	v_add_nc_u32_e32 v4, v3, v4
	s_delay_alu instid0(VALU_DEP_1) | instskip(NEXT) | instid1(VALU_DEP_1)
	v_add_nc_u32_e32 v5, v4, v5
	v_add_nc_u32_e32 v6, v5, v6
	s_delay_alu instid0(VALU_DEP_1) | instskip(NEXT) | instid1(VALU_DEP_1)
	v_add_nc_u32_e32 v26, v6, v7
	;; [unrolled: 3-line block ×3, first 2 shown]
	v_add_nc_u32_e32 v1, v0, v2
	ds_store_2addr_b64 v15, v[3:4], v[5:6] offset0:2 offset1:3
	ds_store_2addr_b64 v16, v[26:27], v[0:1] offset0:2 offset1:3
	s_waitcnt lgkmcnt(0)
	s_barrier
	buffer_gl0_inv
	ds_load_b32 v0, v25
	v_lshlrev_b32_e32 v1, 3, v24
	s_waitcnt lgkmcnt(0)
	s_barrier
	buffer_gl0_inv
	v_lshl_add_u32 v0, v0, 3, v1
	ds_store_b64 v0, v[13:14]
	s_waitcnt lgkmcnt(0)
	s_barrier
	buffer_gl0_inv
	ds_load_b64 v[13:14], v21
	s_waitcnt lgkmcnt(0)
	s_barrier
	buffer_gl0_inv
	ds_store_2addr_b64 v15, v[11:12], v[9:10] offset0:2 offset1:3
	ds_store_2addr_b64 v16, v[11:12], v[9:10] offset0:2 offset1:3
	s_waitcnt lgkmcnt(0)
	s_barrier
	buffer_gl0_inv
	; wave barrier
	v_bfe_u32 v0, v14, 8, 1
	v_lshrrev_b32_e32 v1, 8, v14
	s_delay_alu instid0(VALU_DEP_2) | instskip(NEXT) | instid1(VALU_DEP_1)
	v_add_co_u32 v0, s11, v0, -1
	v_cndmask_b32_e64 v2, 0, 1, s11
	s_delay_alu instid0(VALU_DEP_3)
	v_lshlrev_b32_e32 v3, 30, v1
	v_lshlrev_b32_e32 v4, 29, v1
	;; [unrolled: 1-line block ×4, first 2 shown]
	v_cmp_ne_u32_e64 s11, 0, v2
	v_not_b32_e32 v2, v3
	v_cmp_gt_i32_e64 s12, 0, v3
	v_not_b32_e32 v3, v4
	v_lshlrev_b32_e32 v7, 26, v1
	v_xor_b32_e32 v0, s11, v0
	v_ashrrev_i32_e32 v2, 31, v2
	v_cmp_gt_i32_e64 s11, 0, v4
	v_not_b32_e32 v4, v5
	v_ashrrev_i32_e32 v3, 31, v3
	v_and_b32_e32 v0, exec_lo, v0
	v_xor_b32_e32 v2, s12, v2
	v_cmp_gt_i32_e64 s12, 0, v5
	v_not_b32_e32 v5, v6
	v_ashrrev_i32_e32 v4, 31, v4
	v_xor_b32_e32 v3, s11, v3
	v_and_b32_e32 v0, v0, v2
	v_lshlrev_b32_e32 v24, 25, v1
	v_cmp_gt_i32_e64 s11, 0, v6
	v_not_b32_e32 v2, v7
	v_ashrrev_i32_e32 v5, 31, v5
	v_xor_b32_e32 v4, s12, v4
	v_and_b32_e32 v0, v0, v3
	v_lshlrev_b32_e32 v1, 24, v1
	v_cmp_gt_i32_e64 s12, 0, v7
	v_not_b32_e32 v3, v24
	v_ashrrev_i32_e32 v2, 31, v2
	v_xor_b32_e32 v5, s11, v5
	v_and_b32_e32 v0, v0, v4
	v_cmp_gt_i32_e64 s11, 0, v24
	v_not_b32_e32 v4, v1
	v_ashrrev_i32_e32 v3, 31, v3
	v_xor_b32_e32 v2, s12, v2
	v_and_b32_e32 v0, v0, v5
	v_cmp_gt_i32_e64 s12, 0, v1
	v_ashrrev_i32_e32 v1, 31, v4
	v_xor_b32_e32 v3, s11, v3
	s_delay_alu instid0(VALU_DEP_4) | instskip(SKIP_1) | instid1(VALU_DEP_4)
	v_and_b32_e32 v0, v0, v2
	v_lshrrev_b32_e32 v2, 6, v14
	v_xor_b32_e32 v1, s12, v1
	s_delay_alu instid0(VALU_DEP_3) | instskip(NEXT) | instid1(VALU_DEP_1)
	v_and_b32_e32 v0, v0, v3
	v_and_b32_e32 v0, v0, v1
	s_delay_alu instid0(VALU_DEP_4) | instskip(NEXT) | instid1(VALU_DEP_2)
	v_and_b32_e32 v1, 0x3fc, v2
	v_mbcnt_lo_u32_b32 v24, v0, 0
	s_delay_alu instid0(VALU_DEP_2) | instskip(SKIP_1) | instid1(VALU_DEP_3)
	v_add_nc_u32_e32 v1, v1, v22
	v_cmp_ne_u32_e64 s12, 0, v0
	v_cmp_eq_u32_e64 s11, 0, v24
	s_delay_alu instid0(VALU_DEP_3) | instskip(NEXT) | instid1(VALU_DEP_2)
	v_lshl_add_u32 v25, v1, 2, 16
	s_and_b32 s12, s12, s11
	s_delay_alu instid0(SALU_CYCLE_1)
	s_and_saveexec_b32 s11, s12
	s_cbranch_execz .LBB152_12
; %bb.11:                               ;   in Loop: Header=BB152_2 Depth=1
	v_bcnt_u32_b32 v0, v0, 0
	ds_store_b32 v25, v0
.LBB152_12:                             ;   in Loop: Header=BB152_2 Depth=1
	s_or_b32 exec_lo, exec_lo, s11
	; wave barrier
	s_waitcnt lgkmcnt(0)
	s_barrier
	buffer_gl0_inv
	ds_load_2addr_b64 v[4:7], v15 offset0:2 offset1:3
	ds_load_2addr_b64 v[0:3], v16 offset0:2 offset1:3
	s_waitcnt lgkmcnt(1)
	v_add_nc_u32_e32 v26, v5, v4
	s_delay_alu instid0(VALU_DEP_1) | instskip(SKIP_1) | instid1(VALU_DEP_1)
	v_add3_u32 v26, v26, v6, v7
	s_waitcnt lgkmcnt(0)
	v_add3_u32 v26, v26, v0, v1
	s_delay_alu instid0(VALU_DEP_1) | instskip(NEXT) | instid1(VALU_DEP_1)
	v_add3_u32 v3, v26, v2, v3
	v_mov_b32_dpp v26, v3 row_shr:1 row_mask:0xf bank_mask:0xf
	s_delay_alu instid0(VALU_DEP_1) | instskip(NEXT) | instid1(VALU_DEP_1)
	v_cndmask_b32_e64 v26, v26, 0, s0
	v_add_nc_u32_e32 v3, v26, v3
	s_delay_alu instid0(VALU_DEP_1) | instskip(NEXT) | instid1(VALU_DEP_1)
	v_mov_b32_dpp v26, v3 row_shr:2 row_mask:0xf bank_mask:0xf
	v_cndmask_b32_e64 v26, 0, v26, s1
	s_delay_alu instid0(VALU_DEP_1) | instskip(NEXT) | instid1(VALU_DEP_1)
	v_add_nc_u32_e32 v3, v3, v26
	v_mov_b32_dpp v26, v3 row_shr:4 row_mask:0xf bank_mask:0xf
	s_delay_alu instid0(VALU_DEP_1) | instskip(NEXT) | instid1(VALU_DEP_1)
	v_cndmask_b32_e64 v26, 0, v26, s2
	v_add_nc_u32_e32 v3, v3, v26
	s_delay_alu instid0(VALU_DEP_1) | instskip(NEXT) | instid1(VALU_DEP_1)
	v_mov_b32_dpp v26, v3 row_shr:8 row_mask:0xf bank_mask:0xf
	v_cndmask_b32_e64 v26, 0, v26, s3
	s_delay_alu instid0(VALU_DEP_1) | instskip(SKIP_3) | instid1(VALU_DEP_1)
	v_add_nc_u32_e32 v3, v3, v26
	ds_swizzle_b32 v26, v3 offset:swizzle(BROADCAST,32,15)
	s_waitcnt lgkmcnt(0)
	v_cndmask_b32_e64 v26, v26, 0, s4
	v_add_nc_u32_e32 v3, v3, v26
	s_and_saveexec_b32 s11, s10
	s_cbranch_execz .LBB152_14
; %bb.13:                               ;   in Loop: Header=BB152_2 Depth=1
	ds_store_b32 v17, v3
.LBB152_14:                             ;   in Loop: Header=BB152_2 Depth=1
	s_or_b32 exec_lo, exec_lo, s11
	s_waitcnt lgkmcnt(0)
	s_barrier
	buffer_gl0_inv
	s_and_saveexec_b32 s11, s5
	s_cbranch_execz .LBB152_16
; %bb.15:                               ;   in Loop: Header=BB152_2 Depth=1
	ds_load_b32 v26, v19
	s_waitcnt lgkmcnt(0)
	v_mov_b32_dpp v27, v26 row_shr:1 row_mask:0xf bank_mask:0xf
	s_delay_alu instid0(VALU_DEP_1) | instskip(NEXT) | instid1(VALU_DEP_1)
	v_cndmask_b32_e64 v27, v27, 0, s8
	v_add_nc_u32_e32 v26, v27, v26
	s_delay_alu instid0(VALU_DEP_1) | instskip(NEXT) | instid1(VALU_DEP_1)
	v_mov_b32_dpp v27, v26 row_shr:2 row_mask:0xf bank_mask:0xf
	v_cndmask_b32_e64 v27, 0, v27, s9
	s_delay_alu instid0(VALU_DEP_1)
	v_add_nc_u32_e32 v26, v26, v27
	ds_store_b32 v19, v26
.LBB152_16:                             ;   in Loop: Header=BB152_2 Depth=1
	s_or_b32 exec_lo, exec_lo, s11
	v_mov_b32_e32 v26, 0
	s_waitcnt lgkmcnt(0)
	s_barrier
	buffer_gl0_inv
	s_and_saveexec_b32 s11, s6
	s_cbranch_execz .LBB152_18
; %bb.17:                               ;   in Loop: Header=BB152_2 Depth=1
	ds_load_b32 v26, v20
.LBB152_18:                             ;   in Loop: Header=BB152_2 Depth=1
	s_or_b32 exec_lo, exec_lo, s11
	s_waitcnt lgkmcnt(0)
	v_add_nc_u32_e32 v3, v26, v3
	ds_bpermute_b32 v3, v18, v3
	s_waitcnt lgkmcnt(0)
	v_cndmask_b32_e32 v3, v3, v26, vcc_lo
	s_delay_alu instid0(VALU_DEP_1) | instskip(NEXT) | instid1(VALU_DEP_1)
	v_cndmask_b32_e64 v3, v3, 0, s7
	v_add_nc_u32_e32 v4, v3, v4
	s_delay_alu instid0(VALU_DEP_1) | instskip(NEXT) | instid1(VALU_DEP_1)
	v_add_nc_u32_e32 v5, v4, v5
	v_add_nc_u32_e32 v6, v5, v6
	s_delay_alu instid0(VALU_DEP_1) | instskip(NEXT) | instid1(VALU_DEP_1)
	v_add_nc_u32_e32 v26, v6, v7
	;; [unrolled: 3-line block ×3, first 2 shown]
	v_add_nc_u32_e32 v1, v0, v2
	ds_store_2addr_b64 v15, v[3:4], v[5:6] offset0:2 offset1:3
	ds_store_2addr_b64 v16, v[26:27], v[0:1] offset0:2 offset1:3
	s_waitcnt lgkmcnt(0)
	s_barrier
	buffer_gl0_inv
	ds_load_b32 v0, v25
	v_lshlrev_b32_e32 v1, 3, v24
	s_waitcnt lgkmcnt(0)
	s_barrier
	buffer_gl0_inv
	v_lshl_add_u32 v0, v0, 3, v1
	ds_store_b64 v0, v[13:14]
	s_waitcnt lgkmcnt(0)
	s_barrier
	buffer_gl0_inv
	ds_load_b64 v[13:14], v21
	s_waitcnt lgkmcnt(0)
	s_barrier
	buffer_gl0_inv
	v_bfe_u32 v0, v14, 16, 1
	v_lshrrev_b32_e32 v1, 16, v14
	s_delay_alu instid0(VALU_DEP_2) | instskip(NEXT) | instid1(VALU_DEP_1)
	v_add_co_u32 v0, s11, v0, -1
	v_cndmask_b32_e64 v2, 0, 1, s11
	s_delay_alu instid0(VALU_DEP_3)
	v_lshlrev_b32_e32 v3, 30, v1
	v_lshlrev_b32_e32 v4, 29, v1
	;; [unrolled: 1-line block ×4, first 2 shown]
	v_cmp_ne_u32_e64 s11, 0, v2
	v_not_b32_e32 v2, v3
	v_cmp_gt_i32_e64 s12, 0, v3
	v_not_b32_e32 v3, v4
	v_lshlrev_b32_e32 v7, 26, v1
	v_xor_b32_e32 v0, s11, v0
	v_ashrrev_i32_e32 v2, 31, v2
	v_cmp_gt_i32_e64 s11, 0, v4
	v_not_b32_e32 v4, v5
	v_ashrrev_i32_e32 v3, 31, v3
	v_and_b32_e32 v0, exec_lo, v0
	v_xor_b32_e32 v2, s12, v2
	v_cmp_gt_i32_e64 s12, 0, v5
	v_not_b32_e32 v5, v6
	v_ashrrev_i32_e32 v4, 31, v4
	v_xor_b32_e32 v3, s11, v3
	v_and_b32_e32 v0, v0, v2
	v_lshlrev_b32_e32 v24, 25, v1
	v_cmp_gt_i32_e64 s11, 0, v6
	v_not_b32_e32 v2, v7
	v_ashrrev_i32_e32 v5, 31, v5
	v_xor_b32_e32 v4, s12, v4
	v_and_b32_e32 v0, v0, v3
	v_lshlrev_b32_e32 v1, 24, v1
	v_cmp_gt_i32_e64 s12, 0, v7
	v_not_b32_e32 v3, v24
	v_ashrrev_i32_e32 v2, 31, v2
	v_xor_b32_e32 v5, s11, v5
	v_and_b32_e32 v0, v0, v4
	v_cmp_gt_i32_e64 s11, 0, v24
	v_not_b32_e32 v4, v1
	v_ashrrev_i32_e32 v3, 31, v3
	v_xor_b32_e32 v2, s12, v2
	v_and_b32_e32 v0, v0, v5
	v_cmp_gt_i32_e64 s12, 0, v1
	v_ashrrev_i32_e32 v1, 31, v4
	v_xor_b32_e32 v3, s11, v3
	v_lshrrev_b32_e32 v6, 14, v14
	v_and_b32_e32 v0, v0, v2
	s_delay_alu instid0(VALU_DEP_4) | instskip(SKIP_1) | instid1(VALU_DEP_3)
	v_xor_b32_e32 v5, s12, v1
	v_dual_mov_b32 v1, s20 :: v_dual_mov_b32 v2, s21
	v_dual_mov_b32 v3, s16 :: v_dual_and_b32 v0, v0, v3
	v_mov_b32_e32 v4, s17
	ds_store_2addr_b64 v15, v[1:2], v[3:4] offset0:2 offset1:3
	ds_store_2addr_b64 v16, v[1:2], v[3:4] offset0:2 offset1:3
	v_and_b32_e32 v0, v0, v5
	v_and_b32_e32 v5, 0x3fc, v6
	s_waitcnt lgkmcnt(0)
	s_barrier
	buffer_gl0_inv
	v_mbcnt_lo_u32_b32 v24, v0, 0
	v_add_nc_u32_e32 v1, v5, v22
	v_cmp_ne_u32_e64 s12, 0, v0
	; wave barrier
	s_delay_alu instid0(VALU_DEP_3) | instskip(NEXT) | instid1(VALU_DEP_3)
	v_cmp_eq_u32_e64 s11, 0, v24
	v_lshl_add_u32 v25, v1, 2, 16
	s_delay_alu instid0(VALU_DEP_2) | instskip(NEXT) | instid1(SALU_CYCLE_1)
	s_and_b32 s12, s12, s11
	s_and_saveexec_b32 s11, s12
	s_cbranch_execz .LBB152_20
; %bb.19:                               ;   in Loop: Header=BB152_2 Depth=1
	v_bcnt_u32_b32 v0, v0, 0
	ds_store_b32 v25, v0
.LBB152_20:                             ;   in Loop: Header=BB152_2 Depth=1
	s_or_b32 exec_lo, exec_lo, s11
	; wave barrier
	s_waitcnt lgkmcnt(0)
	s_barrier
	buffer_gl0_inv
	ds_load_2addr_b64 v[4:7], v15 offset0:2 offset1:3
	ds_load_2addr_b64 v[0:3], v16 offset0:2 offset1:3
	s_waitcnt lgkmcnt(1)
	v_add_nc_u32_e32 v26, v5, v4
	s_delay_alu instid0(VALU_DEP_1) | instskip(SKIP_1) | instid1(VALU_DEP_1)
	v_add3_u32 v26, v26, v6, v7
	s_waitcnt lgkmcnt(0)
	v_add3_u32 v26, v26, v0, v1
	s_delay_alu instid0(VALU_DEP_1) | instskip(NEXT) | instid1(VALU_DEP_1)
	v_add3_u32 v3, v26, v2, v3
	v_mov_b32_dpp v26, v3 row_shr:1 row_mask:0xf bank_mask:0xf
	s_delay_alu instid0(VALU_DEP_1) | instskip(NEXT) | instid1(VALU_DEP_1)
	v_cndmask_b32_e64 v26, v26, 0, s0
	v_add_nc_u32_e32 v3, v26, v3
	s_delay_alu instid0(VALU_DEP_1) | instskip(NEXT) | instid1(VALU_DEP_1)
	v_mov_b32_dpp v26, v3 row_shr:2 row_mask:0xf bank_mask:0xf
	v_cndmask_b32_e64 v26, 0, v26, s1
	s_delay_alu instid0(VALU_DEP_1) | instskip(NEXT) | instid1(VALU_DEP_1)
	v_add_nc_u32_e32 v3, v3, v26
	v_mov_b32_dpp v26, v3 row_shr:4 row_mask:0xf bank_mask:0xf
	s_delay_alu instid0(VALU_DEP_1) | instskip(NEXT) | instid1(VALU_DEP_1)
	v_cndmask_b32_e64 v26, 0, v26, s2
	v_add_nc_u32_e32 v3, v3, v26
	s_delay_alu instid0(VALU_DEP_1) | instskip(NEXT) | instid1(VALU_DEP_1)
	v_mov_b32_dpp v26, v3 row_shr:8 row_mask:0xf bank_mask:0xf
	v_cndmask_b32_e64 v26, 0, v26, s3
	s_delay_alu instid0(VALU_DEP_1) | instskip(SKIP_3) | instid1(VALU_DEP_1)
	v_add_nc_u32_e32 v3, v3, v26
	ds_swizzle_b32 v26, v3 offset:swizzle(BROADCAST,32,15)
	s_waitcnt lgkmcnt(0)
	v_cndmask_b32_e64 v26, v26, 0, s4
	v_add_nc_u32_e32 v3, v3, v26
	s_and_saveexec_b32 s11, s10
	s_cbranch_execz .LBB152_22
; %bb.21:                               ;   in Loop: Header=BB152_2 Depth=1
	ds_store_b32 v17, v3
.LBB152_22:                             ;   in Loop: Header=BB152_2 Depth=1
	s_or_b32 exec_lo, exec_lo, s11
	s_waitcnt lgkmcnt(0)
	s_barrier
	buffer_gl0_inv
	s_and_saveexec_b32 s11, s5
	s_cbranch_execz .LBB152_24
; %bb.23:                               ;   in Loop: Header=BB152_2 Depth=1
	ds_load_b32 v26, v19
	s_waitcnt lgkmcnt(0)
	v_mov_b32_dpp v27, v26 row_shr:1 row_mask:0xf bank_mask:0xf
	s_delay_alu instid0(VALU_DEP_1) | instskip(NEXT) | instid1(VALU_DEP_1)
	v_cndmask_b32_e64 v27, v27, 0, s8
	v_add_nc_u32_e32 v26, v27, v26
	s_delay_alu instid0(VALU_DEP_1) | instskip(NEXT) | instid1(VALU_DEP_1)
	v_mov_b32_dpp v27, v26 row_shr:2 row_mask:0xf bank_mask:0xf
	v_cndmask_b32_e64 v27, 0, v27, s9
	s_delay_alu instid0(VALU_DEP_1)
	v_add_nc_u32_e32 v26, v26, v27
	ds_store_b32 v19, v26
.LBB152_24:                             ;   in Loop: Header=BB152_2 Depth=1
	s_or_b32 exec_lo, exec_lo, s11
	v_mov_b32_e32 v26, 0
	s_waitcnt lgkmcnt(0)
	s_barrier
	buffer_gl0_inv
	s_and_saveexec_b32 s11, s6
	s_cbranch_execz .LBB152_26
; %bb.25:                               ;   in Loop: Header=BB152_2 Depth=1
	ds_load_b32 v26, v20
.LBB152_26:                             ;   in Loop: Header=BB152_2 Depth=1
	s_or_b32 exec_lo, exec_lo, s11
	s_waitcnt lgkmcnt(0)
	v_add_nc_u32_e32 v3, v26, v3
	ds_bpermute_b32 v3, v18, v3
	s_waitcnt lgkmcnt(0)
	v_cndmask_b32_e32 v3, v3, v26, vcc_lo
	s_delay_alu instid0(VALU_DEP_1) | instskip(NEXT) | instid1(VALU_DEP_1)
	v_cndmask_b32_e64 v3, v3, 0, s7
	v_add_nc_u32_e32 v4, v3, v4
	s_delay_alu instid0(VALU_DEP_1) | instskip(NEXT) | instid1(VALU_DEP_1)
	v_add_nc_u32_e32 v5, v4, v5
	v_add_nc_u32_e32 v6, v5, v6
	s_delay_alu instid0(VALU_DEP_1) | instskip(NEXT) | instid1(VALU_DEP_1)
	v_add_nc_u32_e32 v26, v6, v7
	;; [unrolled: 3-line block ×3, first 2 shown]
	v_add_nc_u32_e32 v1, v0, v2
	ds_store_2addr_b64 v15, v[3:4], v[5:6] offset0:2 offset1:3
	ds_store_2addr_b64 v16, v[26:27], v[0:1] offset0:2 offset1:3
	s_waitcnt lgkmcnt(0)
	s_barrier
	buffer_gl0_inv
	ds_load_b32 v0, v25
	v_lshlrev_b32_e32 v1, 3, v24
	s_waitcnt lgkmcnt(0)
	s_barrier
	buffer_gl0_inv
	v_lshl_add_u32 v0, v0, 3, v1
	ds_store_b64 v0, v[13:14]
	s_waitcnt lgkmcnt(0)
	s_barrier
	buffer_gl0_inv
	ds_load_b64 v[13:14], v21
	s_waitcnt lgkmcnt(0)
	s_barrier
	buffer_gl0_inv
	v_bfe_u32 v0, v14, 24, 1
	v_lshrrev_b32_e32 v5, 24, v14
	s_delay_alu instid0(VALU_DEP_2) | instskip(NEXT) | instid1(VALU_DEP_1)
	v_add_co_u32 v0, s11, v0, -1
	v_cndmask_b32_e64 v1, 0, 1, s11
	s_delay_alu instid0(VALU_DEP_3)
	v_lshlrev_b32_e32 v2, 30, v5
	v_lshlrev_b32_e32 v3, 29, v5
	;; [unrolled: 1-line block ×4, first 2 shown]
	v_cmp_ne_u32_e64 s11, 0, v1
	v_not_b32_e32 v1, v2
	v_cmp_gt_i32_e64 s12, 0, v2
	v_not_b32_e32 v2, v3
	v_lshlrev_b32_e32 v7, 26, v5
	v_xor_b32_e32 v0, s11, v0
	v_ashrrev_i32_e32 v1, 31, v1
	v_cmp_gt_i32_e64 s11, 0, v3
	v_not_b32_e32 v3, v4
	v_ashrrev_i32_e32 v2, 31, v2
	v_and_b32_e32 v0, exec_lo, v0
	v_xor_b32_e32 v1, s12, v1
	v_cmp_gt_i32_e64 s12, 0, v4
	v_not_b32_e32 v4, v6
	v_ashrrev_i32_e32 v3, 31, v3
	v_xor_b32_e32 v2, s11, v2
	v_and_b32_e32 v0, v0, v1
	v_lshlrev_b32_e32 v24, 25, v5
	v_cmp_gt_i32_e64 s11, 0, v6
	v_not_b32_e32 v1, v7
	v_ashrrev_i32_e32 v4, 31, v4
	v_xor_b32_e32 v3, s12, v3
	v_and_b32_e32 v0, v0, v2
	v_cmp_gt_i32_e64 s12, 0, v7
	v_not_b32_e32 v2, v24
	v_ashrrev_i32_e32 v1, 31, v1
	v_xor_b32_e32 v4, s11, v4
	v_and_b32_e32 v0, v0, v3
	v_not_b32_e32 v3, v14
	v_cmp_gt_i32_e64 s11, 0, v24
	v_ashrrev_i32_e32 v2, 31, v2
	v_xor_b32_e32 v1, s12, v1
	v_and_b32_e32 v0, v0, v4
	v_cmp_gt_i32_e64 s12, 0, v14
	v_ashrrev_i32_e32 v3, 31, v3
	v_xor_b32_e32 v2, s11, v2
	s_delay_alu instid0(VALU_DEP_4) | instskip(NEXT) | instid1(VALU_DEP_3)
	v_and_b32_e32 v0, v0, v1
	v_xor_b32_e32 v3, s12, v3
	s_delay_alu instid0(VALU_DEP_2) | instskip(SKIP_1) | instid1(VALU_DEP_2)
	v_dual_mov_b32 v1, s20 :: v_dual_and_b32 v0, v0, v2
	v_mov_b32_e32 v2, s21
	v_dual_mov_b32 v3, s16 :: v_dual_and_b32 v0, v0, v3
	v_mov_b32_e32 v4, s17
	ds_store_2addr_b64 v15, v[1:2], v[3:4] offset0:2 offset1:3
	ds_store_2addr_b64 v16, v[1:2], v[3:4] offset0:2 offset1:3
	v_mbcnt_lo_u32_b32 v24, v0, 0
	v_lshl_add_u32 v1, v5, 2, v22
	v_cmp_ne_u32_e64 s12, 0, v0
	s_waitcnt lgkmcnt(0)
	s_barrier
	v_cmp_eq_u32_e64 s11, 0, v24
	v_lshl_add_u32 v25, v1, 2, 16
	buffer_gl0_inv
	; wave barrier
	s_and_b32 s12, s12, s11
	s_delay_alu instid0(SALU_CYCLE_1)
	s_and_saveexec_b32 s11, s12
	s_cbranch_execz .LBB152_28
; %bb.27:                               ;   in Loop: Header=BB152_2 Depth=1
	v_bcnt_u32_b32 v0, v0, 0
	ds_store_b32 v25, v0
.LBB152_28:                             ;   in Loop: Header=BB152_2 Depth=1
	s_or_b32 exec_lo, exec_lo, s11
	; wave barrier
	s_waitcnt lgkmcnt(0)
	s_barrier
	buffer_gl0_inv
	ds_load_2addr_b64 v[4:7], v15 offset0:2 offset1:3
	ds_load_2addr_b64 v[0:3], v16 offset0:2 offset1:3
	s_waitcnt lgkmcnt(1)
	v_add_nc_u32_e32 v26, v5, v4
	s_delay_alu instid0(VALU_DEP_1) | instskip(SKIP_1) | instid1(VALU_DEP_1)
	v_add3_u32 v26, v26, v6, v7
	s_waitcnt lgkmcnt(0)
	v_add3_u32 v26, v26, v0, v1
	s_delay_alu instid0(VALU_DEP_1) | instskip(NEXT) | instid1(VALU_DEP_1)
	v_add3_u32 v3, v26, v2, v3
	v_mov_b32_dpp v26, v3 row_shr:1 row_mask:0xf bank_mask:0xf
	s_delay_alu instid0(VALU_DEP_1) | instskip(NEXT) | instid1(VALU_DEP_1)
	v_cndmask_b32_e64 v26, v26, 0, s0
	v_add_nc_u32_e32 v3, v26, v3
	s_delay_alu instid0(VALU_DEP_1) | instskip(NEXT) | instid1(VALU_DEP_1)
	v_mov_b32_dpp v26, v3 row_shr:2 row_mask:0xf bank_mask:0xf
	v_cndmask_b32_e64 v26, 0, v26, s1
	s_delay_alu instid0(VALU_DEP_1) | instskip(NEXT) | instid1(VALU_DEP_1)
	v_add_nc_u32_e32 v3, v3, v26
	v_mov_b32_dpp v26, v3 row_shr:4 row_mask:0xf bank_mask:0xf
	s_delay_alu instid0(VALU_DEP_1) | instskip(NEXT) | instid1(VALU_DEP_1)
	v_cndmask_b32_e64 v26, 0, v26, s2
	v_add_nc_u32_e32 v3, v3, v26
	s_delay_alu instid0(VALU_DEP_1) | instskip(NEXT) | instid1(VALU_DEP_1)
	v_mov_b32_dpp v26, v3 row_shr:8 row_mask:0xf bank_mask:0xf
	v_cndmask_b32_e64 v26, 0, v26, s3
	s_delay_alu instid0(VALU_DEP_1) | instskip(SKIP_3) | instid1(VALU_DEP_1)
	v_add_nc_u32_e32 v3, v3, v26
	ds_swizzle_b32 v26, v3 offset:swizzle(BROADCAST,32,15)
	s_waitcnt lgkmcnt(0)
	v_cndmask_b32_e64 v26, v26, 0, s4
	v_add_nc_u32_e32 v3, v3, v26
	s_and_saveexec_b32 s11, s10
	s_cbranch_execz .LBB152_30
; %bb.29:                               ;   in Loop: Header=BB152_2 Depth=1
	ds_store_b32 v17, v3
.LBB152_30:                             ;   in Loop: Header=BB152_2 Depth=1
	s_or_b32 exec_lo, exec_lo, s11
	s_waitcnt lgkmcnt(0)
	s_barrier
	buffer_gl0_inv
	s_and_saveexec_b32 s11, s5
	s_cbranch_execz .LBB152_32
; %bb.31:                               ;   in Loop: Header=BB152_2 Depth=1
	ds_load_b32 v26, v19
	s_waitcnt lgkmcnt(0)
	v_mov_b32_dpp v27, v26 row_shr:1 row_mask:0xf bank_mask:0xf
	s_delay_alu instid0(VALU_DEP_1) | instskip(NEXT) | instid1(VALU_DEP_1)
	v_cndmask_b32_e64 v27, v27, 0, s8
	v_add_nc_u32_e32 v26, v27, v26
	s_delay_alu instid0(VALU_DEP_1) | instskip(NEXT) | instid1(VALU_DEP_1)
	v_mov_b32_dpp v27, v26 row_shr:2 row_mask:0xf bank_mask:0xf
	v_cndmask_b32_e64 v27, 0, v27, s9
	s_delay_alu instid0(VALU_DEP_1)
	v_add_nc_u32_e32 v26, v26, v27
	ds_store_b32 v19, v26
.LBB152_32:                             ;   in Loop: Header=BB152_2 Depth=1
	s_or_b32 exec_lo, exec_lo, s11
	v_mov_b32_e32 v26, 0
	s_waitcnt lgkmcnt(0)
	s_barrier
	buffer_gl0_inv
	s_and_saveexec_b32 s11, s6
	s_cbranch_execz .LBB152_34
; %bb.33:                               ;   in Loop: Header=BB152_2 Depth=1
	ds_load_b32 v26, v20
.LBB152_34:                             ;   in Loop: Header=BB152_2 Depth=1
	s_or_b32 exec_lo, exec_lo, s11
	s_waitcnt lgkmcnt(0)
	v_add_nc_u32_e32 v3, v26, v3
	ds_bpermute_b32 v3, v18, v3
	s_waitcnt lgkmcnt(0)
	v_cndmask_b32_e32 v3, v3, v26, vcc_lo
	s_delay_alu instid0(VALU_DEP_1) | instskip(NEXT) | instid1(VALU_DEP_1)
	v_cndmask_b32_e64 v3, v3, 0, s7
	v_add_nc_u32_e32 v4, v3, v4
	s_delay_alu instid0(VALU_DEP_1) | instskip(NEXT) | instid1(VALU_DEP_1)
	v_add_nc_u32_e32 v5, v4, v5
	v_add_nc_u32_e32 v6, v5, v6
	s_delay_alu instid0(VALU_DEP_1) | instskip(NEXT) | instid1(VALU_DEP_1)
	v_add_nc_u32_e32 v26, v6, v7
	;; [unrolled: 3-line block ×3, first 2 shown]
	v_add_nc_u32_e32 v1, v0, v2
	ds_store_2addr_b64 v15, v[3:4], v[5:6] offset0:2 offset1:3
	ds_store_2addr_b64 v16, v[26:27], v[0:1] offset0:2 offset1:3
	s_waitcnt lgkmcnt(0)
	s_barrier
	buffer_gl0_inv
	ds_load_b32 v0, v25
	v_lshlrev_b32_e32 v1, 3, v24
	s_waitcnt lgkmcnt(0)
	s_barrier
	buffer_gl0_inv
	v_lshl_add_u32 v0, v0, 3, v1
	ds_store_b64 v0, v[13:14]
	s_waitcnt lgkmcnt(0)
	s_barrier
	buffer_gl0_inv
	ds_load_b64 v[13:14], v21
	s_waitcnt lgkmcnt(0)
	s_barrier
	buffer_gl0_inv
	v_and_b32_e32 v0, 1, v13
	v_lshlrev_b32_e32 v1, 30, v13
	v_lshlrev_b32_e32 v2, 29, v13
	;; [unrolled: 1-line block ×4, first 2 shown]
	v_add_co_u32 v0, s11, v0, -1
	s_delay_alu instid0(VALU_DEP_1)
	v_cndmask_b32_e64 v4, 0, 1, s11
	v_not_b32_e32 v24, v1
	v_cmp_gt_i32_e64 s12, 0, v1
	v_not_b32_e32 v1, v2
	v_lshlrev_b32_e32 v6, 26, v13
	v_cmp_ne_u32_e64 s11, 0, v4
	v_ashrrev_i32_e32 v24, 31, v24
	v_lshlrev_b32_e32 v7, 25, v13
	v_ashrrev_i32_e32 v1, 31, v1
	v_lshlrev_b32_e32 v4, 24, v13
	v_xor_b32_e32 v0, s11, v0
	v_cmp_gt_i32_e64 s11, 0, v2
	v_not_b32_e32 v2, v3
	v_xor_b32_e32 v24, s12, v24
	v_cmp_gt_i32_e64 s12, 0, v3
	v_and_b32_e32 v0, exec_lo, v0
	v_not_b32_e32 v3, v5
	v_ashrrev_i32_e32 v2, 31, v2
	v_xor_b32_e32 v1, s11, v1
	v_cmp_gt_i32_e64 s11, 0, v5
	v_and_b32_e32 v0, v0, v24
	v_not_b32_e32 v5, v6
	v_ashrrev_i32_e32 v3, 31, v3
	v_xor_b32_e32 v2, s12, v2
	v_cmp_gt_i32_e64 s12, 0, v6
	v_and_b32_e32 v0, v0, v1
	;; [unrolled: 5-line block ×3, first 2 shown]
	v_not_b32_e32 v2, v4
	v_ashrrev_i32_e32 v1, 31, v1
	v_xor_b32_e32 v5, s12, v5
	v_cmp_gt_i32_e64 s12, 0, v4
	v_dual_mov_b32 v3, s16 :: v_dual_and_b32 v0, v0, v3
	v_ashrrev_i32_e32 v2, 31, v2
	v_xor_b32_e32 v1, s11, v1
	v_mov_b32_e32 v4, s17
	s_delay_alu instid0(VALU_DEP_4) | instskip(NEXT) | instid1(VALU_DEP_4)
	v_and_b32_e32 v0, v0, v5
	v_xor_b32_e32 v5, s12, v2
	s_delay_alu instid0(VALU_DEP_2)
	v_dual_mov_b32 v1, s20 :: v_dual_and_b32 v0, v0, v1
	v_mov_b32_e32 v2, s21
	ds_store_2addr_b64 v15, v[1:2], v[3:4] offset0:2 offset1:3
	ds_store_2addr_b64 v16, v[1:2], v[3:4] offset0:2 offset1:3
	v_and_b32_e32 v0, v0, v5
	v_and_b32_e32 v5, 0xff, v13
	s_waitcnt lgkmcnt(0)
	s_barrier
	buffer_gl0_inv
	v_mbcnt_lo_u32_b32 v24, v0, 0
	v_lshl_add_u32 v1, v5, 2, v22
	v_cmp_ne_u32_e64 s12, 0, v0
	; wave barrier
	s_delay_alu instid0(VALU_DEP_3) | instskip(NEXT) | instid1(VALU_DEP_3)
	v_cmp_eq_u32_e64 s11, 0, v24
	v_lshl_add_u32 v25, v1, 2, 16
	s_delay_alu instid0(VALU_DEP_2) | instskip(NEXT) | instid1(SALU_CYCLE_1)
	s_and_b32 s12, s12, s11
	s_and_saveexec_b32 s11, s12
	s_cbranch_execz .LBB152_36
; %bb.35:                               ;   in Loop: Header=BB152_2 Depth=1
	v_bcnt_u32_b32 v0, v0, 0
	ds_store_b32 v25, v0
.LBB152_36:                             ;   in Loop: Header=BB152_2 Depth=1
	s_or_b32 exec_lo, exec_lo, s11
	; wave barrier
	s_waitcnt lgkmcnt(0)
	s_barrier
	buffer_gl0_inv
	ds_load_2addr_b64 v[4:7], v15 offset0:2 offset1:3
	ds_load_2addr_b64 v[0:3], v16 offset0:2 offset1:3
	s_waitcnt lgkmcnt(1)
	v_add_nc_u32_e32 v26, v5, v4
	s_delay_alu instid0(VALU_DEP_1) | instskip(SKIP_1) | instid1(VALU_DEP_1)
	v_add3_u32 v26, v26, v6, v7
	s_waitcnt lgkmcnt(0)
	v_add3_u32 v26, v26, v0, v1
	s_delay_alu instid0(VALU_DEP_1) | instskip(NEXT) | instid1(VALU_DEP_1)
	v_add3_u32 v3, v26, v2, v3
	v_mov_b32_dpp v26, v3 row_shr:1 row_mask:0xf bank_mask:0xf
	s_delay_alu instid0(VALU_DEP_1) | instskip(NEXT) | instid1(VALU_DEP_1)
	v_cndmask_b32_e64 v26, v26, 0, s0
	v_add_nc_u32_e32 v3, v26, v3
	s_delay_alu instid0(VALU_DEP_1) | instskip(NEXT) | instid1(VALU_DEP_1)
	v_mov_b32_dpp v26, v3 row_shr:2 row_mask:0xf bank_mask:0xf
	v_cndmask_b32_e64 v26, 0, v26, s1
	s_delay_alu instid0(VALU_DEP_1) | instskip(NEXT) | instid1(VALU_DEP_1)
	v_add_nc_u32_e32 v3, v3, v26
	v_mov_b32_dpp v26, v3 row_shr:4 row_mask:0xf bank_mask:0xf
	s_delay_alu instid0(VALU_DEP_1) | instskip(NEXT) | instid1(VALU_DEP_1)
	v_cndmask_b32_e64 v26, 0, v26, s2
	v_add_nc_u32_e32 v3, v3, v26
	s_delay_alu instid0(VALU_DEP_1) | instskip(NEXT) | instid1(VALU_DEP_1)
	v_mov_b32_dpp v26, v3 row_shr:8 row_mask:0xf bank_mask:0xf
	v_cndmask_b32_e64 v26, 0, v26, s3
	s_delay_alu instid0(VALU_DEP_1) | instskip(SKIP_3) | instid1(VALU_DEP_1)
	v_add_nc_u32_e32 v3, v3, v26
	ds_swizzle_b32 v26, v3 offset:swizzle(BROADCAST,32,15)
	s_waitcnt lgkmcnt(0)
	v_cndmask_b32_e64 v26, v26, 0, s4
	v_add_nc_u32_e32 v3, v3, v26
	s_and_saveexec_b32 s11, s10
	s_cbranch_execz .LBB152_38
; %bb.37:                               ;   in Loop: Header=BB152_2 Depth=1
	ds_store_b32 v17, v3
.LBB152_38:                             ;   in Loop: Header=BB152_2 Depth=1
	s_or_b32 exec_lo, exec_lo, s11
	s_waitcnt lgkmcnt(0)
	s_barrier
	buffer_gl0_inv
	s_and_saveexec_b32 s11, s5
	s_cbranch_execz .LBB152_40
; %bb.39:                               ;   in Loop: Header=BB152_2 Depth=1
	ds_load_b32 v26, v19
	s_waitcnt lgkmcnt(0)
	v_mov_b32_dpp v27, v26 row_shr:1 row_mask:0xf bank_mask:0xf
	s_delay_alu instid0(VALU_DEP_1) | instskip(NEXT) | instid1(VALU_DEP_1)
	v_cndmask_b32_e64 v27, v27, 0, s8
	v_add_nc_u32_e32 v26, v27, v26
	s_delay_alu instid0(VALU_DEP_1) | instskip(NEXT) | instid1(VALU_DEP_1)
	v_mov_b32_dpp v27, v26 row_shr:2 row_mask:0xf bank_mask:0xf
	v_cndmask_b32_e64 v27, 0, v27, s9
	s_delay_alu instid0(VALU_DEP_1)
	v_add_nc_u32_e32 v26, v26, v27
	ds_store_b32 v19, v26
.LBB152_40:                             ;   in Loop: Header=BB152_2 Depth=1
	s_or_b32 exec_lo, exec_lo, s11
	v_mov_b32_e32 v26, 0
	s_waitcnt lgkmcnt(0)
	s_barrier
	buffer_gl0_inv
	s_and_saveexec_b32 s11, s6
	s_cbranch_execz .LBB152_42
; %bb.41:                               ;   in Loop: Header=BB152_2 Depth=1
	ds_load_b32 v26, v20
.LBB152_42:                             ;   in Loop: Header=BB152_2 Depth=1
	s_or_b32 exec_lo, exec_lo, s11
	s_waitcnt lgkmcnt(0)
	v_add_nc_u32_e32 v3, v26, v3
	ds_bpermute_b32 v3, v18, v3
	s_waitcnt lgkmcnt(0)
	v_cndmask_b32_e32 v3, v3, v26, vcc_lo
	s_delay_alu instid0(VALU_DEP_1) | instskip(NEXT) | instid1(VALU_DEP_1)
	v_cndmask_b32_e64 v3, v3, 0, s7
	v_add_nc_u32_e32 v4, v3, v4
	s_delay_alu instid0(VALU_DEP_1) | instskip(NEXT) | instid1(VALU_DEP_1)
	v_add_nc_u32_e32 v5, v4, v5
	v_add_nc_u32_e32 v6, v5, v6
	s_delay_alu instid0(VALU_DEP_1) | instskip(NEXT) | instid1(VALU_DEP_1)
	v_add_nc_u32_e32 v26, v6, v7
	v_add_nc_u32_e32 v27, v26, v0
	s_delay_alu instid0(VALU_DEP_1) | instskip(NEXT) | instid1(VALU_DEP_1)
	v_add_nc_u32_e32 v0, v27, v1
	v_add_nc_u32_e32 v1, v0, v2
	ds_store_2addr_b64 v15, v[3:4], v[5:6] offset0:2 offset1:3
	ds_store_2addr_b64 v16, v[26:27], v[0:1] offset0:2 offset1:3
	s_waitcnt lgkmcnt(0)
	s_barrier
	buffer_gl0_inv
	ds_load_b32 v0, v25
	v_lshlrev_b32_e32 v1, 3, v24
	s_waitcnt lgkmcnt(0)
	s_barrier
	buffer_gl0_inv
	v_lshl_add_u32 v0, v0, 3, v1
	ds_store_b64 v0, v[13:14]
	s_waitcnt lgkmcnt(0)
	s_barrier
	buffer_gl0_inv
	ds_load_b64 v[13:14], v21
	s_waitcnt lgkmcnt(0)
	s_barrier
	buffer_gl0_inv
	v_bfe_u32 v0, v13, 8, 1
	v_lshrrev_b32_e32 v1, 8, v13
	s_delay_alu instid0(VALU_DEP_2) | instskip(NEXT) | instid1(VALU_DEP_1)
	v_add_co_u32 v0, s11, v0, -1
	v_cndmask_b32_e64 v2, 0, 1, s11
	s_delay_alu instid0(VALU_DEP_3)
	v_lshlrev_b32_e32 v3, 30, v1
	v_lshlrev_b32_e32 v4, 29, v1
	;; [unrolled: 1-line block ×4, first 2 shown]
	v_cmp_ne_u32_e64 s11, 0, v2
	v_not_b32_e32 v2, v3
	v_cmp_gt_i32_e64 s12, 0, v3
	v_not_b32_e32 v3, v4
	v_lshlrev_b32_e32 v7, 26, v1
	v_xor_b32_e32 v0, s11, v0
	v_ashrrev_i32_e32 v2, 31, v2
	v_cmp_gt_i32_e64 s11, 0, v4
	v_not_b32_e32 v4, v5
	v_ashrrev_i32_e32 v3, 31, v3
	v_and_b32_e32 v0, exec_lo, v0
	v_xor_b32_e32 v2, s12, v2
	v_cmp_gt_i32_e64 s12, 0, v5
	v_not_b32_e32 v5, v6
	v_ashrrev_i32_e32 v4, 31, v4
	v_xor_b32_e32 v3, s11, v3
	v_and_b32_e32 v0, v0, v2
	v_lshlrev_b32_e32 v24, 25, v1
	v_cmp_gt_i32_e64 s11, 0, v6
	v_not_b32_e32 v2, v7
	v_ashrrev_i32_e32 v5, 31, v5
	v_xor_b32_e32 v4, s12, v4
	v_and_b32_e32 v0, v0, v3
	v_lshlrev_b32_e32 v1, 24, v1
	v_cmp_gt_i32_e64 s12, 0, v7
	v_not_b32_e32 v3, v24
	v_ashrrev_i32_e32 v2, 31, v2
	v_xor_b32_e32 v5, s11, v5
	v_and_b32_e32 v0, v0, v4
	v_cmp_gt_i32_e64 s11, 0, v24
	v_not_b32_e32 v4, v1
	v_ashrrev_i32_e32 v3, 31, v3
	v_xor_b32_e32 v2, s12, v2
	v_and_b32_e32 v0, v0, v5
	v_cmp_gt_i32_e64 s12, 0, v1
	v_ashrrev_i32_e32 v1, 31, v4
	v_xor_b32_e32 v3, s11, v3
	v_lshrrev_b32_e32 v6, 6, v13
	v_and_b32_e32 v0, v0, v2
	s_delay_alu instid0(VALU_DEP_4) | instskip(SKIP_1) | instid1(VALU_DEP_3)
	v_xor_b32_e32 v5, s12, v1
	v_dual_mov_b32 v1, s20 :: v_dual_mov_b32 v2, s21
	v_dual_mov_b32 v3, s16 :: v_dual_and_b32 v0, v0, v3
	v_mov_b32_e32 v4, s17
	ds_store_2addr_b64 v15, v[1:2], v[3:4] offset0:2 offset1:3
	ds_store_2addr_b64 v16, v[1:2], v[3:4] offset0:2 offset1:3
	v_and_b32_e32 v0, v0, v5
	v_and_b32_e32 v5, 0x3fc, v6
	s_waitcnt lgkmcnt(0)
	s_barrier
	buffer_gl0_inv
	v_mbcnt_lo_u32_b32 v24, v0, 0
	v_add_nc_u32_e32 v1, v5, v22
	v_cmp_ne_u32_e64 s12, 0, v0
	; wave barrier
	s_delay_alu instid0(VALU_DEP_3) | instskip(NEXT) | instid1(VALU_DEP_3)
	v_cmp_eq_u32_e64 s11, 0, v24
	v_lshl_add_u32 v25, v1, 2, 16
	s_delay_alu instid0(VALU_DEP_2) | instskip(NEXT) | instid1(SALU_CYCLE_1)
	s_and_b32 s12, s12, s11
	s_and_saveexec_b32 s11, s12
	s_cbranch_execz .LBB152_44
; %bb.43:                               ;   in Loop: Header=BB152_2 Depth=1
	v_bcnt_u32_b32 v0, v0, 0
	ds_store_b32 v25, v0
.LBB152_44:                             ;   in Loop: Header=BB152_2 Depth=1
	s_or_b32 exec_lo, exec_lo, s11
	; wave barrier
	s_waitcnt lgkmcnt(0)
	s_barrier
	buffer_gl0_inv
	ds_load_2addr_b64 v[4:7], v15 offset0:2 offset1:3
	ds_load_2addr_b64 v[0:3], v16 offset0:2 offset1:3
	s_waitcnt lgkmcnt(1)
	v_add_nc_u32_e32 v26, v5, v4
	s_delay_alu instid0(VALU_DEP_1) | instskip(SKIP_1) | instid1(VALU_DEP_1)
	v_add3_u32 v26, v26, v6, v7
	s_waitcnt lgkmcnt(0)
	v_add3_u32 v26, v26, v0, v1
	s_delay_alu instid0(VALU_DEP_1) | instskip(NEXT) | instid1(VALU_DEP_1)
	v_add3_u32 v3, v26, v2, v3
	v_mov_b32_dpp v26, v3 row_shr:1 row_mask:0xf bank_mask:0xf
	s_delay_alu instid0(VALU_DEP_1) | instskip(NEXT) | instid1(VALU_DEP_1)
	v_cndmask_b32_e64 v26, v26, 0, s0
	v_add_nc_u32_e32 v3, v26, v3
	s_delay_alu instid0(VALU_DEP_1) | instskip(NEXT) | instid1(VALU_DEP_1)
	v_mov_b32_dpp v26, v3 row_shr:2 row_mask:0xf bank_mask:0xf
	v_cndmask_b32_e64 v26, 0, v26, s1
	s_delay_alu instid0(VALU_DEP_1) | instskip(NEXT) | instid1(VALU_DEP_1)
	v_add_nc_u32_e32 v3, v3, v26
	v_mov_b32_dpp v26, v3 row_shr:4 row_mask:0xf bank_mask:0xf
	s_delay_alu instid0(VALU_DEP_1) | instskip(NEXT) | instid1(VALU_DEP_1)
	v_cndmask_b32_e64 v26, 0, v26, s2
	v_add_nc_u32_e32 v3, v3, v26
	s_delay_alu instid0(VALU_DEP_1) | instskip(NEXT) | instid1(VALU_DEP_1)
	v_mov_b32_dpp v26, v3 row_shr:8 row_mask:0xf bank_mask:0xf
	v_cndmask_b32_e64 v26, 0, v26, s3
	s_delay_alu instid0(VALU_DEP_1) | instskip(SKIP_3) | instid1(VALU_DEP_1)
	v_add_nc_u32_e32 v3, v3, v26
	ds_swizzle_b32 v26, v3 offset:swizzle(BROADCAST,32,15)
	s_waitcnt lgkmcnt(0)
	v_cndmask_b32_e64 v26, v26, 0, s4
	v_add_nc_u32_e32 v3, v3, v26
	s_and_saveexec_b32 s11, s10
	s_cbranch_execz .LBB152_46
; %bb.45:                               ;   in Loop: Header=BB152_2 Depth=1
	ds_store_b32 v17, v3
.LBB152_46:                             ;   in Loop: Header=BB152_2 Depth=1
	s_or_b32 exec_lo, exec_lo, s11
	s_waitcnt lgkmcnt(0)
	s_barrier
	buffer_gl0_inv
	s_and_saveexec_b32 s11, s5
	s_cbranch_execz .LBB152_48
; %bb.47:                               ;   in Loop: Header=BB152_2 Depth=1
	ds_load_b32 v26, v19
	s_waitcnt lgkmcnt(0)
	v_mov_b32_dpp v27, v26 row_shr:1 row_mask:0xf bank_mask:0xf
	s_delay_alu instid0(VALU_DEP_1) | instskip(NEXT) | instid1(VALU_DEP_1)
	v_cndmask_b32_e64 v27, v27, 0, s8
	v_add_nc_u32_e32 v26, v27, v26
	s_delay_alu instid0(VALU_DEP_1) | instskip(NEXT) | instid1(VALU_DEP_1)
	v_mov_b32_dpp v27, v26 row_shr:2 row_mask:0xf bank_mask:0xf
	v_cndmask_b32_e64 v27, 0, v27, s9
	s_delay_alu instid0(VALU_DEP_1)
	v_add_nc_u32_e32 v26, v26, v27
	ds_store_b32 v19, v26
.LBB152_48:                             ;   in Loop: Header=BB152_2 Depth=1
	s_or_b32 exec_lo, exec_lo, s11
	v_mov_b32_e32 v26, 0
	s_waitcnt lgkmcnt(0)
	s_barrier
	buffer_gl0_inv
	s_and_saveexec_b32 s11, s6
	s_cbranch_execz .LBB152_50
; %bb.49:                               ;   in Loop: Header=BB152_2 Depth=1
	ds_load_b32 v26, v20
.LBB152_50:                             ;   in Loop: Header=BB152_2 Depth=1
	s_or_b32 exec_lo, exec_lo, s11
	s_waitcnt lgkmcnt(0)
	v_add_nc_u32_e32 v3, v26, v3
	ds_bpermute_b32 v3, v18, v3
	s_waitcnt lgkmcnt(0)
	v_cndmask_b32_e32 v3, v3, v26, vcc_lo
	s_delay_alu instid0(VALU_DEP_1) | instskip(NEXT) | instid1(VALU_DEP_1)
	v_cndmask_b32_e64 v3, v3, 0, s7
	v_add_nc_u32_e32 v4, v3, v4
	s_delay_alu instid0(VALU_DEP_1) | instskip(NEXT) | instid1(VALU_DEP_1)
	v_add_nc_u32_e32 v5, v4, v5
	v_add_nc_u32_e32 v6, v5, v6
	s_delay_alu instid0(VALU_DEP_1) | instskip(NEXT) | instid1(VALU_DEP_1)
	v_add_nc_u32_e32 v26, v6, v7
	;; [unrolled: 3-line block ×3, first 2 shown]
	v_add_nc_u32_e32 v1, v0, v2
	ds_store_2addr_b64 v15, v[3:4], v[5:6] offset0:2 offset1:3
	ds_store_2addr_b64 v16, v[26:27], v[0:1] offset0:2 offset1:3
	s_waitcnt lgkmcnt(0)
	s_barrier
	buffer_gl0_inv
	ds_load_b32 v0, v25
	v_lshlrev_b32_e32 v1, 3, v24
	s_waitcnt lgkmcnt(0)
	s_barrier
	buffer_gl0_inv
	v_lshl_add_u32 v0, v0, 3, v1
	ds_store_b64 v0, v[13:14]
	s_waitcnt lgkmcnt(0)
	s_barrier
	buffer_gl0_inv
	ds_load_b64 v[13:14], v21
	s_waitcnt lgkmcnt(0)
	s_barrier
	buffer_gl0_inv
	v_bfe_u32 v0, v13, 16, 1
	v_lshrrev_b32_e32 v1, 16, v13
	s_delay_alu instid0(VALU_DEP_2) | instskip(NEXT) | instid1(VALU_DEP_1)
	v_add_co_u32 v0, s11, v0, -1
	v_cndmask_b32_e64 v2, 0, 1, s11
	s_delay_alu instid0(VALU_DEP_3)
	v_lshlrev_b32_e32 v3, 30, v1
	v_lshlrev_b32_e32 v4, 29, v1
	;; [unrolled: 1-line block ×4, first 2 shown]
	v_cmp_ne_u32_e64 s11, 0, v2
	v_not_b32_e32 v2, v3
	v_cmp_gt_i32_e64 s12, 0, v3
	v_not_b32_e32 v3, v4
	v_lshlrev_b32_e32 v7, 26, v1
	v_xor_b32_e32 v0, s11, v0
	v_ashrrev_i32_e32 v2, 31, v2
	v_cmp_gt_i32_e64 s11, 0, v4
	v_not_b32_e32 v4, v5
	v_ashrrev_i32_e32 v3, 31, v3
	v_and_b32_e32 v0, exec_lo, v0
	v_xor_b32_e32 v2, s12, v2
	v_cmp_gt_i32_e64 s12, 0, v5
	v_not_b32_e32 v5, v6
	v_ashrrev_i32_e32 v4, 31, v4
	v_xor_b32_e32 v3, s11, v3
	v_and_b32_e32 v0, v0, v2
	v_lshlrev_b32_e32 v24, 25, v1
	v_cmp_gt_i32_e64 s11, 0, v6
	v_not_b32_e32 v2, v7
	v_ashrrev_i32_e32 v5, 31, v5
	v_xor_b32_e32 v4, s12, v4
	v_and_b32_e32 v0, v0, v3
	v_lshlrev_b32_e32 v1, 24, v1
	v_cmp_gt_i32_e64 s12, 0, v7
	v_not_b32_e32 v3, v24
	v_ashrrev_i32_e32 v2, 31, v2
	v_xor_b32_e32 v5, s11, v5
	v_and_b32_e32 v0, v0, v4
	v_cmp_gt_i32_e64 s11, 0, v24
	v_not_b32_e32 v4, v1
	v_ashrrev_i32_e32 v3, 31, v3
	v_xor_b32_e32 v2, s12, v2
	v_and_b32_e32 v0, v0, v5
	v_cmp_gt_i32_e64 s12, 0, v1
	v_ashrrev_i32_e32 v1, 31, v4
	v_xor_b32_e32 v3, s11, v3
	v_lshrrev_b32_e32 v6, 14, v13
	v_and_b32_e32 v0, v0, v2
	s_delay_alu instid0(VALU_DEP_4) | instskip(SKIP_1) | instid1(VALU_DEP_3)
	v_xor_b32_e32 v5, s12, v1
	v_dual_mov_b32 v1, s20 :: v_dual_mov_b32 v2, s21
	v_dual_mov_b32 v3, s16 :: v_dual_and_b32 v0, v0, v3
	v_mov_b32_e32 v4, s17
	ds_store_2addr_b64 v15, v[1:2], v[3:4] offset0:2 offset1:3
	ds_store_2addr_b64 v16, v[1:2], v[3:4] offset0:2 offset1:3
	v_and_b32_e32 v0, v0, v5
	v_and_b32_e32 v5, 0x3fc, v6
	s_waitcnt lgkmcnt(0)
	s_barrier
	buffer_gl0_inv
	v_mbcnt_lo_u32_b32 v24, v0, 0
	v_add_nc_u32_e32 v1, v5, v22
	v_cmp_ne_u32_e64 s12, 0, v0
	; wave barrier
	s_delay_alu instid0(VALU_DEP_3) | instskip(NEXT) | instid1(VALU_DEP_3)
	v_cmp_eq_u32_e64 s11, 0, v24
	v_lshl_add_u32 v25, v1, 2, 16
	s_delay_alu instid0(VALU_DEP_2) | instskip(NEXT) | instid1(SALU_CYCLE_1)
	s_and_b32 s12, s12, s11
	s_and_saveexec_b32 s11, s12
	s_cbranch_execz .LBB152_52
; %bb.51:                               ;   in Loop: Header=BB152_2 Depth=1
	v_bcnt_u32_b32 v0, v0, 0
	ds_store_b32 v25, v0
.LBB152_52:                             ;   in Loop: Header=BB152_2 Depth=1
	s_or_b32 exec_lo, exec_lo, s11
	; wave barrier
	s_waitcnt lgkmcnt(0)
	s_barrier
	buffer_gl0_inv
	ds_load_2addr_b64 v[4:7], v15 offset0:2 offset1:3
	ds_load_2addr_b64 v[0:3], v16 offset0:2 offset1:3
	s_waitcnt lgkmcnt(1)
	v_add_nc_u32_e32 v26, v5, v4
	s_delay_alu instid0(VALU_DEP_1) | instskip(SKIP_1) | instid1(VALU_DEP_1)
	v_add3_u32 v26, v26, v6, v7
	s_waitcnt lgkmcnt(0)
	v_add3_u32 v26, v26, v0, v1
	s_delay_alu instid0(VALU_DEP_1) | instskip(NEXT) | instid1(VALU_DEP_1)
	v_add3_u32 v3, v26, v2, v3
	v_mov_b32_dpp v26, v3 row_shr:1 row_mask:0xf bank_mask:0xf
	s_delay_alu instid0(VALU_DEP_1) | instskip(NEXT) | instid1(VALU_DEP_1)
	v_cndmask_b32_e64 v26, v26, 0, s0
	v_add_nc_u32_e32 v3, v26, v3
	s_delay_alu instid0(VALU_DEP_1) | instskip(NEXT) | instid1(VALU_DEP_1)
	v_mov_b32_dpp v26, v3 row_shr:2 row_mask:0xf bank_mask:0xf
	v_cndmask_b32_e64 v26, 0, v26, s1
	s_delay_alu instid0(VALU_DEP_1) | instskip(NEXT) | instid1(VALU_DEP_1)
	v_add_nc_u32_e32 v3, v3, v26
	v_mov_b32_dpp v26, v3 row_shr:4 row_mask:0xf bank_mask:0xf
	s_delay_alu instid0(VALU_DEP_1) | instskip(NEXT) | instid1(VALU_DEP_1)
	v_cndmask_b32_e64 v26, 0, v26, s2
	v_add_nc_u32_e32 v3, v3, v26
	s_delay_alu instid0(VALU_DEP_1) | instskip(NEXT) | instid1(VALU_DEP_1)
	v_mov_b32_dpp v26, v3 row_shr:8 row_mask:0xf bank_mask:0xf
	v_cndmask_b32_e64 v26, 0, v26, s3
	s_delay_alu instid0(VALU_DEP_1) | instskip(SKIP_3) | instid1(VALU_DEP_1)
	v_add_nc_u32_e32 v3, v3, v26
	ds_swizzle_b32 v26, v3 offset:swizzle(BROADCAST,32,15)
	s_waitcnt lgkmcnt(0)
	v_cndmask_b32_e64 v26, v26, 0, s4
	v_add_nc_u32_e32 v3, v3, v26
	s_and_saveexec_b32 s11, s10
	s_cbranch_execz .LBB152_54
; %bb.53:                               ;   in Loop: Header=BB152_2 Depth=1
	ds_store_b32 v17, v3
.LBB152_54:                             ;   in Loop: Header=BB152_2 Depth=1
	s_or_b32 exec_lo, exec_lo, s11
	s_waitcnt lgkmcnt(0)
	s_barrier
	buffer_gl0_inv
	s_and_saveexec_b32 s11, s5
	s_cbranch_execz .LBB152_56
; %bb.55:                               ;   in Loop: Header=BB152_2 Depth=1
	ds_load_b32 v26, v19
	s_waitcnt lgkmcnt(0)
	v_mov_b32_dpp v27, v26 row_shr:1 row_mask:0xf bank_mask:0xf
	s_delay_alu instid0(VALU_DEP_1) | instskip(NEXT) | instid1(VALU_DEP_1)
	v_cndmask_b32_e64 v27, v27, 0, s8
	v_add_nc_u32_e32 v26, v27, v26
	s_delay_alu instid0(VALU_DEP_1) | instskip(NEXT) | instid1(VALU_DEP_1)
	v_mov_b32_dpp v27, v26 row_shr:2 row_mask:0xf bank_mask:0xf
	v_cndmask_b32_e64 v27, 0, v27, s9
	s_delay_alu instid0(VALU_DEP_1)
	v_add_nc_u32_e32 v26, v26, v27
	ds_store_b32 v19, v26
.LBB152_56:                             ;   in Loop: Header=BB152_2 Depth=1
	s_or_b32 exec_lo, exec_lo, s11
	v_mov_b32_e32 v26, 0
	s_waitcnt lgkmcnt(0)
	s_barrier
	buffer_gl0_inv
	s_and_saveexec_b32 s11, s6
	s_cbranch_execz .LBB152_58
; %bb.57:                               ;   in Loop: Header=BB152_2 Depth=1
	ds_load_b32 v26, v20
.LBB152_58:                             ;   in Loop: Header=BB152_2 Depth=1
	s_or_b32 exec_lo, exec_lo, s11
	s_waitcnt lgkmcnt(0)
	v_add_nc_u32_e32 v3, v26, v3
	ds_bpermute_b32 v3, v18, v3
	s_waitcnt lgkmcnt(0)
	v_cndmask_b32_e32 v3, v3, v26, vcc_lo
	s_delay_alu instid0(VALU_DEP_1) | instskip(NEXT) | instid1(VALU_DEP_1)
	v_cndmask_b32_e64 v3, v3, 0, s7
	v_add_nc_u32_e32 v4, v3, v4
	s_delay_alu instid0(VALU_DEP_1) | instskip(NEXT) | instid1(VALU_DEP_1)
	v_add_nc_u32_e32 v5, v4, v5
	v_add_nc_u32_e32 v6, v5, v6
	s_delay_alu instid0(VALU_DEP_1) | instskip(NEXT) | instid1(VALU_DEP_1)
	v_add_nc_u32_e32 v26, v6, v7
	;; [unrolled: 3-line block ×3, first 2 shown]
	v_add_nc_u32_e32 v1, v0, v2
	ds_store_2addr_b64 v15, v[3:4], v[5:6] offset0:2 offset1:3
	ds_store_2addr_b64 v16, v[26:27], v[0:1] offset0:2 offset1:3
	s_waitcnt lgkmcnt(0)
	s_barrier
	buffer_gl0_inv
	ds_load_b32 v0, v25
	v_lshlrev_b32_e32 v1, 3, v24
	s_waitcnt lgkmcnt(0)
	s_barrier
	buffer_gl0_inv
	v_lshl_add_u32 v0, v0, 3, v1
	ds_store_b64 v0, v[13:14]
	s_waitcnt lgkmcnt(0)
	s_barrier
	buffer_gl0_inv
	ds_load_b64 v[13:14], v21
	s_waitcnt lgkmcnt(0)
	s_barrier
	buffer_gl0_inv
	v_bfe_u32 v0, v13, 24, 1
	v_lshrrev_b32_e32 v5, 24, v13
	s_delay_alu instid0(VALU_DEP_2) | instskip(NEXT) | instid1(VALU_DEP_1)
	v_add_co_u32 v0, s11, v0, -1
	v_cndmask_b32_e64 v1, 0, 1, s11
	s_delay_alu instid0(VALU_DEP_3)
	v_lshlrev_b32_e32 v2, 30, v5
	v_lshlrev_b32_e32 v3, 29, v5
	;; [unrolled: 1-line block ×4, first 2 shown]
	v_cmp_ne_u32_e64 s11, 0, v1
	v_not_b32_e32 v1, v2
	v_cmp_gt_i32_e64 s12, 0, v2
	v_not_b32_e32 v2, v3
	v_lshlrev_b32_e32 v7, 26, v5
	v_xor_b32_e32 v0, s11, v0
	v_ashrrev_i32_e32 v1, 31, v1
	v_cmp_gt_i32_e64 s11, 0, v3
	v_not_b32_e32 v3, v4
	v_ashrrev_i32_e32 v2, 31, v2
	v_and_b32_e32 v0, exec_lo, v0
	v_xor_b32_e32 v1, s12, v1
	v_cmp_gt_i32_e64 s12, 0, v4
	v_not_b32_e32 v4, v6
	v_ashrrev_i32_e32 v3, 31, v3
	v_xor_b32_e32 v2, s11, v2
	v_and_b32_e32 v0, v0, v1
	v_lshlrev_b32_e32 v24, 25, v5
	v_cmp_gt_i32_e64 s11, 0, v6
	v_not_b32_e32 v1, v7
	v_ashrrev_i32_e32 v4, 31, v4
	v_xor_b32_e32 v3, s12, v3
	v_and_b32_e32 v0, v0, v2
	v_cmp_gt_i32_e64 s12, 0, v7
	v_not_b32_e32 v2, v24
	v_ashrrev_i32_e32 v1, 31, v1
	v_xor_b32_e32 v4, s11, v4
	v_and_b32_e32 v0, v0, v3
	v_not_b32_e32 v3, v13
	v_cmp_gt_i32_e64 s11, 0, v24
	v_ashrrev_i32_e32 v2, 31, v2
	v_xor_b32_e32 v1, s12, v1
	v_and_b32_e32 v0, v0, v4
	v_cmp_gt_i32_e64 s12, 0, v13
	v_ashrrev_i32_e32 v3, 31, v3
	v_xor_b32_e32 v2, s11, v2
	s_delay_alu instid0(VALU_DEP_4) | instskip(NEXT) | instid1(VALU_DEP_3)
	v_and_b32_e32 v0, v0, v1
	v_xor_b32_e32 v3, s12, v3
	s_delay_alu instid0(VALU_DEP_2) | instskip(SKIP_1) | instid1(VALU_DEP_2)
	v_dual_mov_b32 v1, s20 :: v_dual_and_b32 v0, v0, v2
	v_mov_b32_e32 v2, s21
	v_dual_mov_b32 v3, s16 :: v_dual_and_b32 v0, v0, v3
	v_mov_b32_e32 v4, s17
	ds_store_2addr_b64 v15, v[1:2], v[3:4] offset0:2 offset1:3
	ds_store_2addr_b64 v16, v[1:2], v[3:4] offset0:2 offset1:3
	v_mbcnt_lo_u32_b32 v24, v0, 0
	v_lshl_add_u32 v1, v5, 2, v22
	v_cmp_ne_u32_e64 s12, 0, v0
	s_waitcnt lgkmcnt(0)
	s_barrier
	v_cmp_eq_u32_e64 s11, 0, v24
	v_lshl_add_u32 v25, v1, 2, 16
	buffer_gl0_inv
	; wave barrier
	s_and_b32 s12, s12, s11
	s_delay_alu instid0(SALU_CYCLE_1)
	s_and_saveexec_b32 s11, s12
	s_cbranch_execz .LBB152_60
; %bb.59:                               ;   in Loop: Header=BB152_2 Depth=1
	v_bcnt_u32_b32 v0, v0, 0
	ds_store_b32 v25, v0
.LBB152_60:                             ;   in Loop: Header=BB152_2 Depth=1
	s_or_b32 exec_lo, exec_lo, s11
	; wave barrier
	s_waitcnt lgkmcnt(0)
	s_barrier
	buffer_gl0_inv
	ds_load_2addr_b64 v[4:7], v15 offset0:2 offset1:3
	ds_load_2addr_b64 v[0:3], v16 offset0:2 offset1:3
	s_waitcnt lgkmcnt(1)
	v_add_nc_u32_e32 v26, v5, v4
	s_delay_alu instid0(VALU_DEP_1) | instskip(SKIP_1) | instid1(VALU_DEP_1)
	v_add3_u32 v26, v26, v6, v7
	s_waitcnt lgkmcnt(0)
	v_add3_u32 v26, v26, v0, v1
	s_delay_alu instid0(VALU_DEP_1) | instskip(NEXT) | instid1(VALU_DEP_1)
	v_add3_u32 v3, v26, v2, v3
	v_mov_b32_dpp v26, v3 row_shr:1 row_mask:0xf bank_mask:0xf
	s_delay_alu instid0(VALU_DEP_1) | instskip(NEXT) | instid1(VALU_DEP_1)
	v_cndmask_b32_e64 v26, v26, 0, s0
	v_add_nc_u32_e32 v3, v26, v3
	s_delay_alu instid0(VALU_DEP_1) | instskip(NEXT) | instid1(VALU_DEP_1)
	v_mov_b32_dpp v26, v3 row_shr:2 row_mask:0xf bank_mask:0xf
	v_cndmask_b32_e64 v26, 0, v26, s1
	s_delay_alu instid0(VALU_DEP_1) | instskip(NEXT) | instid1(VALU_DEP_1)
	v_add_nc_u32_e32 v3, v3, v26
	v_mov_b32_dpp v26, v3 row_shr:4 row_mask:0xf bank_mask:0xf
	s_delay_alu instid0(VALU_DEP_1) | instskip(NEXT) | instid1(VALU_DEP_1)
	v_cndmask_b32_e64 v26, 0, v26, s2
	v_add_nc_u32_e32 v3, v3, v26
	s_delay_alu instid0(VALU_DEP_1) | instskip(NEXT) | instid1(VALU_DEP_1)
	v_mov_b32_dpp v26, v3 row_shr:8 row_mask:0xf bank_mask:0xf
	v_cndmask_b32_e64 v26, 0, v26, s3
	s_delay_alu instid0(VALU_DEP_1) | instskip(SKIP_3) | instid1(VALU_DEP_1)
	v_add_nc_u32_e32 v3, v3, v26
	ds_swizzle_b32 v26, v3 offset:swizzle(BROADCAST,32,15)
	s_waitcnt lgkmcnt(0)
	v_cndmask_b32_e64 v26, v26, 0, s4
	v_add_nc_u32_e32 v3, v3, v26
	s_and_saveexec_b32 s11, s10
	s_cbranch_execz .LBB152_62
; %bb.61:                               ;   in Loop: Header=BB152_2 Depth=1
	ds_store_b32 v17, v3
.LBB152_62:                             ;   in Loop: Header=BB152_2 Depth=1
	s_or_b32 exec_lo, exec_lo, s11
	s_waitcnt lgkmcnt(0)
	s_barrier
	buffer_gl0_inv
	s_and_saveexec_b32 s11, s5
	s_cbranch_execz .LBB152_64
; %bb.63:                               ;   in Loop: Header=BB152_2 Depth=1
	ds_load_b32 v26, v19
	s_waitcnt lgkmcnt(0)
	v_mov_b32_dpp v27, v26 row_shr:1 row_mask:0xf bank_mask:0xf
	s_delay_alu instid0(VALU_DEP_1) | instskip(NEXT) | instid1(VALU_DEP_1)
	v_cndmask_b32_e64 v27, v27, 0, s8
	v_add_nc_u32_e32 v26, v27, v26
	s_delay_alu instid0(VALU_DEP_1) | instskip(NEXT) | instid1(VALU_DEP_1)
	v_mov_b32_dpp v27, v26 row_shr:2 row_mask:0xf bank_mask:0xf
	v_cndmask_b32_e64 v27, 0, v27, s9
	s_delay_alu instid0(VALU_DEP_1)
	v_add_nc_u32_e32 v26, v26, v27
	ds_store_b32 v19, v26
.LBB152_64:                             ;   in Loop: Header=BB152_2 Depth=1
	s_or_b32 exec_lo, exec_lo, s11
	v_mov_b32_e32 v26, 0
	s_waitcnt lgkmcnt(0)
	s_barrier
	buffer_gl0_inv
	s_and_saveexec_b32 s11, s6
	s_cbranch_execz .LBB152_1
; %bb.65:                               ;   in Loop: Header=BB152_2 Depth=1
	ds_load_b32 v26, v20
	s_branch .LBB152_1
.LBB152_66:
	s_waitcnt lgkmcnt(0)
	v_xor_b32_e32 v1, 0x80000000, v14
	v_xor_b32_e32 v0, 0x80000000, v13
	v_lshlrev_b32_e32 v2, 3, v8
	s_add_u32 s0, s18, s14
	s_addc_u32 s1, s19, s15
	global_store_b64 v2, v[0:1], s[0:1]
	s_nop 0
	s_sendmsg sendmsg(MSG_DEALLOC_VGPRS)
	s_endpgm
	.section	.rodata,"a",@progbits
	.p2align	6, 0x0
	.amdhsa_kernel _Z16sort_keys_kernelI22helper_blocked_blockedN15benchmark_utils11custom_typeIiiEELj128ELj1ELj10EEvPKT0_PS4_
		.amdhsa_group_segment_fixed_size 4112
		.amdhsa_private_segment_fixed_size 0
		.amdhsa_kernarg_size 272
		.amdhsa_user_sgpr_count 15
		.amdhsa_user_sgpr_dispatch_ptr 0
		.amdhsa_user_sgpr_queue_ptr 0
		.amdhsa_user_sgpr_kernarg_segment_ptr 1
		.amdhsa_user_sgpr_dispatch_id 0
		.amdhsa_user_sgpr_private_segment_size 0
		.amdhsa_wavefront_size32 1
		.amdhsa_uses_dynamic_stack 0
		.amdhsa_enable_private_segment 0
		.amdhsa_system_sgpr_workgroup_id_x 1
		.amdhsa_system_sgpr_workgroup_id_y 0
		.amdhsa_system_sgpr_workgroup_id_z 0
		.amdhsa_system_sgpr_workgroup_info 0
		.amdhsa_system_vgpr_workitem_id 2
		.amdhsa_next_free_vgpr 28
		.amdhsa_next_free_sgpr 23
		.amdhsa_reserve_vcc 1
		.amdhsa_float_round_mode_32 0
		.amdhsa_float_round_mode_16_64 0
		.amdhsa_float_denorm_mode_32 3
		.amdhsa_float_denorm_mode_16_64 3
		.amdhsa_dx10_clamp 1
		.amdhsa_ieee_mode 1
		.amdhsa_fp16_overflow 0
		.amdhsa_workgroup_processor_mode 1
		.amdhsa_memory_ordered 1
		.amdhsa_forward_progress 0
		.amdhsa_shared_vgpr_count 0
		.amdhsa_exception_fp_ieee_invalid_op 0
		.amdhsa_exception_fp_denorm_src 0
		.amdhsa_exception_fp_ieee_div_zero 0
		.amdhsa_exception_fp_ieee_overflow 0
		.amdhsa_exception_fp_ieee_underflow 0
		.amdhsa_exception_fp_ieee_inexact 0
		.amdhsa_exception_int_div_zero 0
	.end_amdhsa_kernel
	.section	.text._Z16sort_keys_kernelI22helper_blocked_blockedN15benchmark_utils11custom_typeIiiEELj128ELj1ELj10EEvPKT0_PS4_,"axG",@progbits,_Z16sort_keys_kernelI22helper_blocked_blockedN15benchmark_utils11custom_typeIiiEELj128ELj1ELj10EEvPKT0_PS4_,comdat
.Lfunc_end152:
	.size	_Z16sort_keys_kernelI22helper_blocked_blockedN15benchmark_utils11custom_typeIiiEELj128ELj1ELj10EEvPKT0_PS4_, .Lfunc_end152-_Z16sort_keys_kernelI22helper_blocked_blockedN15benchmark_utils11custom_typeIiiEELj128ELj1ELj10EEvPKT0_PS4_
                                        ; -- End function
	.section	.AMDGPU.csdata,"",@progbits
; Kernel info:
; codeLenInByte = 7932
; NumSgprs: 25
; NumVgprs: 28
; ScratchSize: 0
; MemoryBound: 0
; FloatMode: 240
; IeeeMode: 1
; LDSByteSize: 4112 bytes/workgroup (compile time only)
; SGPRBlocks: 3
; VGPRBlocks: 3
; NumSGPRsForWavesPerEU: 25
; NumVGPRsForWavesPerEU: 28
; Occupancy: 16
; WaveLimiterHint : 0
; COMPUTE_PGM_RSRC2:SCRATCH_EN: 0
; COMPUTE_PGM_RSRC2:USER_SGPR: 15
; COMPUTE_PGM_RSRC2:TRAP_HANDLER: 0
; COMPUTE_PGM_RSRC2:TGID_X_EN: 1
; COMPUTE_PGM_RSRC2:TGID_Y_EN: 0
; COMPUTE_PGM_RSRC2:TGID_Z_EN: 0
; COMPUTE_PGM_RSRC2:TIDIG_COMP_CNT: 2
	.section	.text._Z17sort_pairs_kernelI22helper_blocked_blockedN15benchmark_utils11custom_typeIiiEELj128ELj1ELj10EEvPKT0_PS4_,"axG",@progbits,_Z17sort_pairs_kernelI22helper_blocked_blockedN15benchmark_utils11custom_typeIiiEELj128ELj1ELj10EEvPKT0_PS4_,comdat
	.protected	_Z17sort_pairs_kernelI22helper_blocked_blockedN15benchmark_utils11custom_typeIiiEELj128ELj1ELj10EEvPKT0_PS4_ ; -- Begin function _Z17sort_pairs_kernelI22helper_blocked_blockedN15benchmark_utils11custom_typeIiiEELj128ELj1ELj10EEvPKT0_PS4_
	.globl	_Z17sort_pairs_kernelI22helper_blocked_blockedN15benchmark_utils11custom_typeIiiEELj128ELj1ELj10EEvPKT0_PS4_
	.p2align	8
	.type	_Z17sort_pairs_kernelI22helper_blocked_blockedN15benchmark_utils11custom_typeIiiEELj128ELj1ELj10EEvPKT0_PS4_,@function
_Z17sort_pairs_kernelI22helper_blocked_blockedN15benchmark_utils11custom_typeIiiEELj128ELj1ELj10EEvPKT0_PS4_: ; @_Z17sort_pairs_kernelI22helper_blocked_blockedN15benchmark_utils11custom_typeIiiEELj128ELj1ELj10EEvPKT0_PS4_
; %bb.0:
	s_clause 0x1
	s_load_b128 s[16:19], s[0:1], 0x0
	s_load_b32 s10, s[0:1], 0x1c
	s_mov_b32 s21, 0
	s_lshl_b32 s20, s15, 7
	v_mbcnt_lo_u32_b32 v5, -1, 0
	s_lshl_b64 s[14:15], s[20:21], 3
	v_bfe_u32 v3, v0, 10, 10
	s_mov_b32 s20, s21
	s_mov_b32 s22, 10
	v_and_b32_e32 v6, 16, v5
	v_add_nc_u32_e32 v7, -1, v5
	v_dual_mov_b32 v11, s20 :: v_dual_and_b32 v4, 15, v5
	v_dual_mov_b32 v12, s21 :: v_dual_and_b32 v13, 3, v5
	s_delay_alu instid0(VALU_DEP_4) | instskip(NEXT) | instid1(VALU_DEP_4)
	v_cmp_eq_u32_e64 s4, 0, v6
	v_cmp_gt_i32_e64 s7, 0, v7
	s_delay_alu instid0(VALU_DEP_4)
	v_cmp_lt_u32_e64 s2, 3, v4
	v_cmp_lt_u32_e64 s3, 7, v4
	v_cmp_eq_u32_e64 s8, 0, v13
	s_waitcnt lgkmcnt(0)
	s_add_u32 s0, s16, s14
	s_addc_u32 s1, s17, s15
	s_mov_b32 s16, s21
	s_mov_b32 s17, s21
	v_dual_mov_b32 v9, s16 :: v_dual_and_b32 v8, 0x3ff, v0
	v_mov_b32_e32 v10, s17
	v_bfe_u32 v0, v0, 20, 10
	s_lshr_b32 s11, s10, 16
	s_delay_alu instid0(VALU_DEP_3)
	v_lshlrev_b32_e32 v1, 3, v8
	v_lshlrev_b32_e32 v19, 5, v8
	v_and_b32_e32 v6, 0x60, v8
	v_mad_u32_u24 v0, v0, s11, v3
	v_lshrrev_b32_e32 v14, 3, v8
	global_load_b64 v[1:2], v1, s[0:1]
	s_and_b32 s10, s10, 0xffff
	v_cmp_eq_u32_e64 s0, 0, v4
	v_cmp_lt_u32_e64 s1, 1, v4
	v_mad_u64_u32 v[3:4], null, v0, s10, v[8:9]
	v_cndmask_b32_e64 v7, v7, v5, s7
	v_cmp_lt_u32_e64 s9, 1, v13
	v_lshlrev_b32_e32 v17, 2, v8
	v_or_b32_e32 v13, 31, v6
	v_and_b32_e32 v21, 12, v14
	v_or_b32_e32 v0, v5, v6
	v_mad_i32_i24 v23, 0xffffffe4, v8, v19
	v_cmp_eq_u32_e32 vcc_lo, 0, v5
	v_cmp_gt_u32_e64 s5, 4, v8
	v_cmp_lt_u32_e64 s6, 31, v8
	v_cmp_eq_u32_e64 s7, 0, v8
	v_or_b32_e32 v20, 16, v19
	v_lshlrev_b32_e32 v22, 2, v7
	v_cmp_eq_u32_e64 s10, v13, v8
	v_add_nc_u32_e32 v24, -4, v21
	v_lshlrev_b32_e32 v25, 3, v0
	v_lshrrev_b32_e32 v26, 5, v3
	v_add_nc_u32_e32 v27, v23, v17
	s_waitcnt vmcnt(0)
	v_add_nc_u32_e32 v13, 1, v1
	v_add_nc_u32_e32 v14, 1, v2
	v_xor_b32_e32 v15, 0x80000000, v1
	v_xor_b32_e32 v16, 0x80000000, v2
	s_branch .LBB153_2
.LBB153_1:                              ;   in Loop: Header=BB153_2 Depth=1
	s_or_b32 exec_lo, exec_lo, s11
	s_waitcnt lgkmcnt(0)
	v_add_nc_u32_e32 v3, v28, v3
	s_add_i32 s22, s22, -1
	s_delay_alu instid0(SALU_CYCLE_1) | instskip(SKIP_3) | instid1(VALU_DEP_1)
	s_cmp_lg_u32 s22, 0
	ds_bpermute_b32 v3, v22, v3
	s_waitcnt lgkmcnt(0)
	v_cndmask_b32_e32 v3, v3, v28, vcc_lo
	v_cndmask_b32_e64 v3, v3, 0, s7
	s_delay_alu instid0(VALU_DEP_1) | instskip(NEXT) | instid1(VALU_DEP_1)
	v_add_nc_u32_e32 v4, v3, v4
	v_add_nc_u32_e32 v5, v4, v5
	s_delay_alu instid0(VALU_DEP_1) | instskip(NEXT) | instid1(VALU_DEP_1)
	v_add_nc_u32_e32 v6, v5, v6
	v_add_nc_u32_e32 v28, v6, v7
	;; [unrolled: 3-line block ×3, first 2 shown]
	s_delay_alu instid0(VALU_DEP_1)
	v_add_nc_u32_e32 v1, v0, v2
	ds_store_2addr_b64 v19, v[3:4], v[5:6] offset0:2 offset1:3
	ds_store_2addr_b64 v20, v[28:29], v[0:1] offset0:2 offset1:3
	s_waitcnt lgkmcnt(0)
	s_barrier
	buffer_gl0_inv
	ds_load_b32 v0, v16
	v_lshlrev_b32_e32 v1, 3, v15
	s_waitcnt lgkmcnt(0)
	s_barrier
	buffer_gl0_inv
	v_lshl_add_u32 v0, v0, 3, v1
	ds_store_b64 v0, v[13:14]
	s_waitcnt lgkmcnt(0)
	s_barrier
	buffer_gl0_inv
	ds_load_b64 v[15:16], v27
	s_waitcnt lgkmcnt(0)
	s_barrier
	buffer_gl0_inv
	ds_store_b64 v0, v[17:18]
	s_waitcnt lgkmcnt(0)
	s_barrier
	buffer_gl0_inv
	ds_load_b64 v[13:14], v27
	s_cbranch_scc0 .LBB153_66
.LBB153_2:                              ; =>This Inner Loop Header: Depth=1
	s_delay_alu instid0(VALU_DEP_1)
	v_and_b32_e32 v0, 1, v16
	v_lshlrev_b32_e32 v1, 30, v16
	v_lshlrev_b32_e32 v2, 29, v16
	;; [unrolled: 1-line block ×4, first 2 shown]
	v_add_co_u32 v0, s11, v0, -1
	s_delay_alu instid0(VALU_DEP_1)
	v_cndmask_b32_e64 v3, 0, 1, s11
	v_not_b32_e32 v7, v1
	v_cmp_gt_i32_e64 s12, 0, v1
	v_not_b32_e32 v1, v2
	v_lshlrev_b32_e32 v6, 26, v16
	v_cmp_ne_u32_e64 s11, 0, v3
	v_ashrrev_i32_e32 v7, 31, v7
	v_lshlrev_b32_e32 v3, 25, v16
	v_ashrrev_i32_e32 v1, 31, v1
	v_cmp_gt_i32_e64 s13, 0, v5
	v_xor_b32_e32 v0, s11, v0
	v_cmp_gt_i32_e64 s11, 0, v2
	v_not_b32_e32 v2, v4
	v_xor_b32_e32 v7, s12, v7
	v_cmp_gt_i32_e64 s12, 0, v4
	v_and_b32_e32 v0, exec_lo, v0
	v_xor_b32_e32 v1, s11, v1
	v_ashrrev_i32_e32 v2, 31, v2
	v_not_b32_e32 v4, v5
	v_not_b32_e32 v5, v6
	v_and_b32_e32 v0, v0, v7
	v_cmp_gt_i32_e64 s11, 0, v6
	v_xor_b32_e32 v2, s12, v2
	v_not_b32_e32 v6, v3
	ds_store_2addr_b64 v19, v[11:12], v[9:10] offset0:2 offset1:3
	ds_store_2addr_b64 v20, v[11:12], v[9:10] offset0:2 offset1:3
	v_and_b32_e32 v0, v0, v1
	v_ashrrev_i32_e32 v1, 31, v4
	v_ashrrev_i32_e32 v4, 31, v5
	v_lshlrev_b32_e32 v5, 24, v16
	s_waitcnt lgkmcnt(0)
	v_and_b32_e32 v0, v0, v2
	v_xor_b32_e32 v1, s13, v1
	v_xor_b32_e32 v2, s11, v4
	v_cmp_gt_i32_e64 s11, 0, v3
	v_not_b32_e32 v3, v5
	v_ashrrev_i32_e32 v4, 31, v6
	v_and_b32_e32 v0, v0, v1
	v_cmp_gt_i32_e64 s12, 0, v5
	s_barrier
	v_ashrrev_i32_e32 v1, 31, v3
	v_xor_b32_e32 v3, s11, v4
	v_and_b32_e32 v0, v0, v2
	buffer_gl0_inv
	v_xor_b32_e32 v1, s12, v1
	; wave barrier
	v_and_b32_e32 v0, v0, v3
	s_delay_alu instid0(VALU_DEP_1) | instskip(SKIP_1) | instid1(VALU_DEP_2)
	v_and_b32_e32 v0, v0, v1
	v_and_b32_e32 v1, 0xff, v16
	v_mbcnt_lo_u32_b32 v17, v0, 0
	s_delay_alu instid0(VALU_DEP_2) | instskip(SKIP_1) | instid1(VALU_DEP_3)
	v_lshl_add_u32 v1, v1, 2, v26
	v_cmp_ne_u32_e64 s12, 0, v0
	v_cmp_eq_u32_e64 s11, 0, v17
	s_delay_alu instid0(VALU_DEP_3) | instskip(NEXT) | instid1(VALU_DEP_2)
	v_lshl_add_u32 v18, v1, 2, 16
	s_and_b32 s12, s12, s11
	s_delay_alu instid0(SALU_CYCLE_1)
	s_and_saveexec_b32 s11, s12
	s_cbranch_execz .LBB153_4
; %bb.3:                                ;   in Loop: Header=BB153_2 Depth=1
	v_bcnt_u32_b32 v0, v0, 0
	ds_store_b32 v18, v0
.LBB153_4:                              ;   in Loop: Header=BB153_2 Depth=1
	s_or_b32 exec_lo, exec_lo, s11
	; wave barrier
	s_waitcnt lgkmcnt(0)
	s_barrier
	buffer_gl0_inv
	ds_load_2addr_b64 v[4:7], v19 offset0:2 offset1:3
	ds_load_2addr_b64 v[0:3], v20 offset0:2 offset1:3
	s_waitcnt lgkmcnt(1)
	v_add_nc_u32_e32 v28, v5, v4
	s_delay_alu instid0(VALU_DEP_1) | instskip(SKIP_1) | instid1(VALU_DEP_1)
	v_add3_u32 v28, v28, v6, v7
	s_waitcnt lgkmcnt(0)
	v_add3_u32 v28, v28, v0, v1
	s_delay_alu instid0(VALU_DEP_1) | instskip(NEXT) | instid1(VALU_DEP_1)
	v_add3_u32 v3, v28, v2, v3
	v_mov_b32_dpp v28, v3 row_shr:1 row_mask:0xf bank_mask:0xf
	s_delay_alu instid0(VALU_DEP_1) | instskip(NEXT) | instid1(VALU_DEP_1)
	v_cndmask_b32_e64 v28, v28, 0, s0
	v_add_nc_u32_e32 v3, v28, v3
	s_delay_alu instid0(VALU_DEP_1) | instskip(NEXT) | instid1(VALU_DEP_1)
	v_mov_b32_dpp v28, v3 row_shr:2 row_mask:0xf bank_mask:0xf
	v_cndmask_b32_e64 v28, 0, v28, s1
	s_delay_alu instid0(VALU_DEP_1) | instskip(NEXT) | instid1(VALU_DEP_1)
	v_add_nc_u32_e32 v3, v3, v28
	v_mov_b32_dpp v28, v3 row_shr:4 row_mask:0xf bank_mask:0xf
	s_delay_alu instid0(VALU_DEP_1) | instskip(NEXT) | instid1(VALU_DEP_1)
	v_cndmask_b32_e64 v28, 0, v28, s2
	v_add_nc_u32_e32 v3, v3, v28
	s_delay_alu instid0(VALU_DEP_1) | instskip(NEXT) | instid1(VALU_DEP_1)
	v_mov_b32_dpp v28, v3 row_shr:8 row_mask:0xf bank_mask:0xf
	v_cndmask_b32_e64 v28, 0, v28, s3
	s_delay_alu instid0(VALU_DEP_1) | instskip(SKIP_3) | instid1(VALU_DEP_1)
	v_add_nc_u32_e32 v3, v3, v28
	ds_swizzle_b32 v28, v3 offset:swizzle(BROADCAST,32,15)
	s_waitcnt lgkmcnt(0)
	v_cndmask_b32_e64 v28, v28, 0, s4
	v_add_nc_u32_e32 v3, v3, v28
	s_and_saveexec_b32 s11, s10
	s_cbranch_execz .LBB153_6
; %bb.5:                                ;   in Loop: Header=BB153_2 Depth=1
	ds_store_b32 v21, v3
.LBB153_6:                              ;   in Loop: Header=BB153_2 Depth=1
	s_or_b32 exec_lo, exec_lo, s11
	s_waitcnt lgkmcnt(0)
	s_barrier
	buffer_gl0_inv
	s_and_saveexec_b32 s11, s5
	s_cbranch_execz .LBB153_8
; %bb.7:                                ;   in Loop: Header=BB153_2 Depth=1
	ds_load_b32 v28, v23
	s_waitcnt lgkmcnt(0)
	v_mov_b32_dpp v29, v28 row_shr:1 row_mask:0xf bank_mask:0xf
	s_delay_alu instid0(VALU_DEP_1) | instskip(NEXT) | instid1(VALU_DEP_1)
	v_cndmask_b32_e64 v29, v29, 0, s8
	v_add_nc_u32_e32 v28, v29, v28
	s_delay_alu instid0(VALU_DEP_1) | instskip(NEXT) | instid1(VALU_DEP_1)
	v_mov_b32_dpp v29, v28 row_shr:2 row_mask:0xf bank_mask:0xf
	v_cndmask_b32_e64 v29, 0, v29, s9
	s_delay_alu instid0(VALU_DEP_1)
	v_add_nc_u32_e32 v28, v28, v29
	ds_store_b32 v23, v28
.LBB153_8:                              ;   in Loop: Header=BB153_2 Depth=1
	s_or_b32 exec_lo, exec_lo, s11
	v_mov_b32_e32 v28, 0
	s_waitcnt lgkmcnt(0)
	s_barrier
	buffer_gl0_inv
	s_and_saveexec_b32 s11, s6
	s_cbranch_execz .LBB153_10
; %bb.9:                                ;   in Loop: Header=BB153_2 Depth=1
	ds_load_b32 v28, v24
.LBB153_10:                             ;   in Loop: Header=BB153_2 Depth=1
	s_or_b32 exec_lo, exec_lo, s11
	s_waitcnt lgkmcnt(0)
	v_add_nc_u32_e32 v3, v28, v3
	ds_bpermute_b32 v3, v22, v3
	s_waitcnt lgkmcnt(0)
	v_cndmask_b32_e32 v3, v3, v28, vcc_lo
	s_delay_alu instid0(VALU_DEP_1) | instskip(NEXT) | instid1(VALU_DEP_1)
	v_cndmask_b32_e64 v3, v3, 0, s7
	v_add_nc_u32_e32 v4, v3, v4
	s_delay_alu instid0(VALU_DEP_1) | instskip(NEXT) | instid1(VALU_DEP_1)
	v_add_nc_u32_e32 v5, v4, v5
	v_add_nc_u32_e32 v6, v5, v6
	s_delay_alu instid0(VALU_DEP_1) | instskip(NEXT) | instid1(VALU_DEP_1)
	v_add_nc_u32_e32 v28, v6, v7
	;; [unrolled: 3-line block ×3, first 2 shown]
	v_add_nc_u32_e32 v1, v0, v2
	ds_store_2addr_b64 v19, v[3:4], v[5:6] offset0:2 offset1:3
	ds_store_2addr_b64 v20, v[28:29], v[0:1] offset0:2 offset1:3
	s_waitcnt lgkmcnt(0)
	s_barrier
	buffer_gl0_inv
	ds_load_b32 v0, v18
	v_lshlrev_b32_e32 v1, 3, v17
	s_waitcnt lgkmcnt(0)
	s_barrier
	buffer_gl0_inv
	v_lshl_add_u32 v0, v0, 3, v1
	ds_store_b64 v0, v[15:16]
	s_waitcnt lgkmcnt(0)
	s_barrier
	buffer_gl0_inv
	ds_load_b64 v[17:18], v25
	s_waitcnt lgkmcnt(0)
	s_barrier
	buffer_gl0_inv
	ds_store_b64 v0, v[13:14]
	s_waitcnt lgkmcnt(0)
	s_barrier
	buffer_gl0_inv
	v_bfe_u32 v1, v18, 8, 1
	v_lshrrev_b32_e32 v2, 8, v18
	s_delay_alu instid0(VALU_DEP_2) | instskip(NEXT) | instid1(VALU_DEP_1)
	v_add_co_u32 v1, s11, v1, -1
	v_cndmask_b32_e64 v3, 0, 1, s11
	s_delay_alu instid0(VALU_DEP_3)
	v_lshlrev_b32_e32 v4, 30, v2
	v_lshlrev_b32_e32 v5, 29, v2
	;; [unrolled: 1-line block ×4, first 2 shown]
	v_cmp_ne_u32_e64 s11, 0, v3
	v_not_b32_e32 v3, v4
	v_cmp_gt_i32_e64 s12, 0, v4
	v_not_b32_e32 v4, v5
	v_lshlrev_b32_e32 v15, 26, v2
	v_xor_b32_e32 v1, s11, v1
	v_ashrrev_i32_e32 v3, 31, v3
	v_cmp_gt_i32_e64 s11, 0, v5
	v_not_b32_e32 v5, v6
	v_ashrrev_i32_e32 v4, 31, v4
	v_and_b32_e32 v1, exec_lo, v1
	v_xor_b32_e32 v3, s12, v3
	v_cmp_gt_i32_e64 s12, 0, v6
	v_not_b32_e32 v6, v7
	v_ashrrev_i32_e32 v5, 31, v5
	v_xor_b32_e32 v4, s11, v4
	v_and_b32_e32 v1, v1, v3
	v_lshlrev_b32_e32 v16, 25, v2
	v_cmp_gt_i32_e64 s11, 0, v7
	v_not_b32_e32 v3, v15
	v_ashrrev_i32_e32 v6, 31, v6
	v_xor_b32_e32 v5, s12, v5
	v_and_b32_e32 v1, v1, v4
	v_lshlrev_b32_e32 v2, 24, v2
	v_cmp_gt_i32_e64 s12, 0, v15
	v_not_b32_e32 v4, v16
	v_ashrrev_i32_e32 v3, 31, v3
	v_xor_b32_e32 v6, s11, v6
	v_and_b32_e32 v1, v1, v5
	v_cmp_gt_i32_e64 s11, 0, v16
	v_not_b32_e32 v5, v2
	v_ashrrev_i32_e32 v4, 31, v4
	v_xor_b32_e32 v3, s12, v3
	v_and_b32_e32 v1, v1, v6
	v_cmp_gt_i32_e64 s12, 0, v2
	v_ashrrev_i32_e32 v2, 31, v5
	v_xor_b32_e32 v4, s11, v4
	ds_load_b64 v[15:16], v25
	v_and_b32_e32 v1, v1, v3
	s_waitcnt lgkmcnt(0)
	v_xor_b32_e32 v0, s12, v2
	v_lshrrev_b32_e32 v2, 6, v18
	s_barrier
	v_and_b32_e32 v1, v1, v4
	buffer_gl0_inv
	ds_store_2addr_b64 v19, v[11:12], v[9:10] offset0:2 offset1:3
	ds_store_2addr_b64 v20, v[11:12], v[9:10] offset0:2 offset1:3
	s_waitcnt lgkmcnt(0)
	s_barrier
	v_and_b32_e32 v0, v1, v0
	v_and_b32_e32 v1, 0x3fc, v2
	buffer_gl0_inv
	; wave barrier
	v_mbcnt_lo_u32_b32 v13, v0, 0
	v_add_nc_u32_e32 v1, v1, v26
	v_cmp_ne_u32_e64 s12, 0, v0
	s_delay_alu instid0(VALU_DEP_3) | instskip(NEXT) | instid1(VALU_DEP_3)
	v_cmp_eq_u32_e64 s11, 0, v13
	v_lshl_add_u32 v14, v1, 2, 16
	s_delay_alu instid0(VALU_DEP_2) | instskip(NEXT) | instid1(SALU_CYCLE_1)
	s_and_b32 s12, s12, s11
	s_and_saveexec_b32 s11, s12
	s_cbranch_execz .LBB153_12
; %bb.11:                               ;   in Loop: Header=BB153_2 Depth=1
	v_bcnt_u32_b32 v0, v0, 0
	ds_store_b32 v14, v0
.LBB153_12:                             ;   in Loop: Header=BB153_2 Depth=1
	s_or_b32 exec_lo, exec_lo, s11
	; wave barrier
	s_waitcnt lgkmcnt(0)
	s_barrier
	buffer_gl0_inv
	ds_load_2addr_b64 v[4:7], v19 offset0:2 offset1:3
	ds_load_2addr_b64 v[0:3], v20 offset0:2 offset1:3
	s_waitcnt lgkmcnt(1)
	v_add_nc_u32_e32 v28, v5, v4
	s_delay_alu instid0(VALU_DEP_1) | instskip(SKIP_1) | instid1(VALU_DEP_1)
	v_add3_u32 v28, v28, v6, v7
	s_waitcnt lgkmcnt(0)
	v_add3_u32 v28, v28, v0, v1
	s_delay_alu instid0(VALU_DEP_1) | instskip(NEXT) | instid1(VALU_DEP_1)
	v_add3_u32 v3, v28, v2, v3
	v_mov_b32_dpp v28, v3 row_shr:1 row_mask:0xf bank_mask:0xf
	s_delay_alu instid0(VALU_DEP_1) | instskip(NEXT) | instid1(VALU_DEP_1)
	v_cndmask_b32_e64 v28, v28, 0, s0
	v_add_nc_u32_e32 v3, v28, v3
	s_delay_alu instid0(VALU_DEP_1) | instskip(NEXT) | instid1(VALU_DEP_1)
	v_mov_b32_dpp v28, v3 row_shr:2 row_mask:0xf bank_mask:0xf
	v_cndmask_b32_e64 v28, 0, v28, s1
	s_delay_alu instid0(VALU_DEP_1) | instskip(NEXT) | instid1(VALU_DEP_1)
	v_add_nc_u32_e32 v3, v3, v28
	v_mov_b32_dpp v28, v3 row_shr:4 row_mask:0xf bank_mask:0xf
	s_delay_alu instid0(VALU_DEP_1) | instskip(NEXT) | instid1(VALU_DEP_1)
	v_cndmask_b32_e64 v28, 0, v28, s2
	v_add_nc_u32_e32 v3, v3, v28
	s_delay_alu instid0(VALU_DEP_1) | instskip(NEXT) | instid1(VALU_DEP_1)
	v_mov_b32_dpp v28, v3 row_shr:8 row_mask:0xf bank_mask:0xf
	v_cndmask_b32_e64 v28, 0, v28, s3
	s_delay_alu instid0(VALU_DEP_1) | instskip(SKIP_3) | instid1(VALU_DEP_1)
	v_add_nc_u32_e32 v3, v3, v28
	ds_swizzle_b32 v28, v3 offset:swizzle(BROADCAST,32,15)
	s_waitcnt lgkmcnt(0)
	v_cndmask_b32_e64 v28, v28, 0, s4
	v_add_nc_u32_e32 v3, v3, v28
	s_and_saveexec_b32 s11, s10
	s_cbranch_execz .LBB153_14
; %bb.13:                               ;   in Loop: Header=BB153_2 Depth=1
	ds_store_b32 v21, v3
.LBB153_14:                             ;   in Loop: Header=BB153_2 Depth=1
	s_or_b32 exec_lo, exec_lo, s11
	s_waitcnt lgkmcnt(0)
	s_barrier
	buffer_gl0_inv
	s_and_saveexec_b32 s11, s5
	s_cbranch_execz .LBB153_16
; %bb.15:                               ;   in Loop: Header=BB153_2 Depth=1
	ds_load_b32 v28, v23
	s_waitcnt lgkmcnt(0)
	v_mov_b32_dpp v29, v28 row_shr:1 row_mask:0xf bank_mask:0xf
	s_delay_alu instid0(VALU_DEP_1) | instskip(NEXT) | instid1(VALU_DEP_1)
	v_cndmask_b32_e64 v29, v29, 0, s8
	v_add_nc_u32_e32 v28, v29, v28
	s_delay_alu instid0(VALU_DEP_1) | instskip(NEXT) | instid1(VALU_DEP_1)
	v_mov_b32_dpp v29, v28 row_shr:2 row_mask:0xf bank_mask:0xf
	v_cndmask_b32_e64 v29, 0, v29, s9
	s_delay_alu instid0(VALU_DEP_1)
	v_add_nc_u32_e32 v28, v28, v29
	ds_store_b32 v23, v28
.LBB153_16:                             ;   in Loop: Header=BB153_2 Depth=1
	s_or_b32 exec_lo, exec_lo, s11
	v_mov_b32_e32 v28, 0
	s_waitcnt lgkmcnt(0)
	s_barrier
	buffer_gl0_inv
	s_and_saveexec_b32 s11, s6
	s_cbranch_execz .LBB153_18
; %bb.17:                               ;   in Loop: Header=BB153_2 Depth=1
	ds_load_b32 v28, v24
.LBB153_18:                             ;   in Loop: Header=BB153_2 Depth=1
	s_or_b32 exec_lo, exec_lo, s11
	s_waitcnt lgkmcnt(0)
	v_add_nc_u32_e32 v3, v28, v3
	ds_bpermute_b32 v3, v22, v3
	s_waitcnt lgkmcnt(0)
	v_cndmask_b32_e32 v3, v3, v28, vcc_lo
	s_delay_alu instid0(VALU_DEP_1) | instskip(NEXT) | instid1(VALU_DEP_1)
	v_cndmask_b32_e64 v3, v3, 0, s7
	v_add_nc_u32_e32 v4, v3, v4
	s_delay_alu instid0(VALU_DEP_1) | instskip(NEXT) | instid1(VALU_DEP_1)
	v_add_nc_u32_e32 v5, v4, v5
	v_add_nc_u32_e32 v6, v5, v6
	s_delay_alu instid0(VALU_DEP_1) | instskip(NEXT) | instid1(VALU_DEP_1)
	v_add_nc_u32_e32 v28, v6, v7
	;; [unrolled: 3-line block ×3, first 2 shown]
	v_add_nc_u32_e32 v1, v0, v2
	ds_store_2addr_b64 v19, v[3:4], v[5:6] offset0:2 offset1:3
	ds_store_2addr_b64 v20, v[28:29], v[0:1] offset0:2 offset1:3
	s_waitcnt lgkmcnt(0)
	s_barrier
	buffer_gl0_inv
	ds_load_b32 v0, v14
	v_lshlrev_b32_e32 v1, 3, v13
	s_waitcnt lgkmcnt(0)
	s_barrier
	buffer_gl0_inv
	v_lshl_add_u32 v0, v0, 3, v1
	v_dual_mov_b32 v1, s20 :: v_dual_mov_b32 v2, s21
	ds_store_b64 v0, v[17:18]
	s_waitcnt lgkmcnt(0)
	s_barrier
	buffer_gl0_inv
	ds_load_b64 v[13:14], v25
	s_waitcnt lgkmcnt(0)
	s_barrier
	buffer_gl0_inv
	ds_store_b64 v0, v[15:16]
	s_waitcnt lgkmcnt(0)
	s_barrier
	buffer_gl0_inv
	ds_load_b64 v[15:16], v25
	s_waitcnt lgkmcnt(0)
	s_barrier
	buffer_gl0_inv
	v_bfe_u32 v3, v14, 16, 1
	v_lshrrev_b32_e32 v4, 16, v14
	s_delay_alu instid0(VALU_DEP_2) | instskip(NEXT) | instid1(VALU_DEP_1)
	v_add_co_u32 v3, s11, v3, -1
	v_cndmask_b32_e64 v5, 0, 1, s11
	s_delay_alu instid0(VALU_DEP_3)
	v_lshlrev_b32_e32 v6, 30, v4
	v_lshlrev_b32_e32 v7, 29, v4
	;; [unrolled: 1-line block ×4, first 2 shown]
	v_cmp_ne_u32_e64 s11, 0, v5
	v_not_b32_e32 v5, v6
	v_cmp_gt_i32_e64 s12, 0, v6
	v_not_b32_e32 v6, v7
	v_lshlrev_b32_e32 v28, 26, v4
	v_xor_b32_e32 v3, s11, v3
	v_ashrrev_i32_e32 v5, 31, v5
	v_cmp_gt_i32_e64 s11, 0, v7
	v_not_b32_e32 v7, v17
	v_ashrrev_i32_e32 v6, 31, v6
	v_and_b32_e32 v3, exec_lo, v3
	v_xor_b32_e32 v5, s12, v5
	v_cmp_gt_i32_e64 s12, 0, v17
	v_not_b32_e32 v17, v18
	v_ashrrev_i32_e32 v7, 31, v7
	v_xor_b32_e32 v6, s11, v6
	v_and_b32_e32 v3, v3, v5
	v_lshlrev_b32_e32 v29, 25, v4
	v_cmp_gt_i32_e64 s11, 0, v18
	v_not_b32_e32 v5, v28
	v_ashrrev_i32_e32 v17, 31, v17
	v_xor_b32_e32 v7, s12, v7
	v_and_b32_e32 v3, v3, v6
	v_lshlrev_b32_e32 v4, 24, v4
	v_cmp_gt_i32_e64 s12, 0, v28
	v_not_b32_e32 v6, v29
	v_ashrrev_i32_e32 v5, 31, v5
	v_xor_b32_e32 v17, s11, v17
	v_and_b32_e32 v3, v3, v7
	v_cmp_gt_i32_e64 s11, 0, v29
	v_not_b32_e32 v7, v4
	v_ashrrev_i32_e32 v6, 31, v6
	v_xor_b32_e32 v5, s12, v5
	v_and_b32_e32 v3, v3, v17
	v_cmp_gt_i32_e64 s12, 0, v4
	v_ashrrev_i32_e32 v4, 31, v7
	v_xor_b32_e32 v6, s11, v6
	s_delay_alu instid0(VALU_DEP_4) | instskip(NEXT) | instid1(VALU_DEP_3)
	v_and_b32_e32 v3, v3, v5
	v_xor_b32_e32 v0, s12, v4
	s_delay_alu instid0(VALU_DEP_2)
	v_and_b32_e32 v5, v3, v6
	v_mov_b32_e32 v3, s16
	v_lshrrev_b32_e32 v6, 14, v14
	v_mov_b32_e32 v4, s17
	ds_store_2addr_b64 v19, v[1:2], v[3:4] offset0:2 offset1:3
	ds_store_2addr_b64 v20, v[1:2], v[3:4] offset0:2 offset1:3
	v_and_b32_e32 v0, v5, v0
	v_and_b32_e32 v5, 0x3fc, v6
	s_waitcnt lgkmcnt(0)
	s_barrier
	buffer_gl0_inv
	v_mbcnt_lo_u32_b32 v17, v0, 0
	v_add_nc_u32_e32 v1, v5, v26
	v_cmp_ne_u32_e64 s12, 0, v0
	; wave barrier
	s_delay_alu instid0(VALU_DEP_3) | instskip(NEXT) | instid1(VALU_DEP_3)
	v_cmp_eq_u32_e64 s11, 0, v17
	v_lshl_add_u32 v18, v1, 2, 16
	s_delay_alu instid0(VALU_DEP_2) | instskip(NEXT) | instid1(SALU_CYCLE_1)
	s_and_b32 s12, s12, s11
	s_and_saveexec_b32 s11, s12
	s_cbranch_execz .LBB153_20
; %bb.19:                               ;   in Loop: Header=BB153_2 Depth=1
	v_bcnt_u32_b32 v0, v0, 0
	ds_store_b32 v18, v0
.LBB153_20:                             ;   in Loop: Header=BB153_2 Depth=1
	s_or_b32 exec_lo, exec_lo, s11
	; wave barrier
	s_waitcnt lgkmcnt(0)
	s_barrier
	buffer_gl0_inv
	ds_load_2addr_b64 v[4:7], v19 offset0:2 offset1:3
	ds_load_2addr_b64 v[0:3], v20 offset0:2 offset1:3
	s_waitcnt lgkmcnt(1)
	v_add_nc_u32_e32 v28, v5, v4
	s_delay_alu instid0(VALU_DEP_1) | instskip(SKIP_1) | instid1(VALU_DEP_1)
	v_add3_u32 v28, v28, v6, v7
	s_waitcnt lgkmcnt(0)
	v_add3_u32 v28, v28, v0, v1
	s_delay_alu instid0(VALU_DEP_1) | instskip(NEXT) | instid1(VALU_DEP_1)
	v_add3_u32 v3, v28, v2, v3
	v_mov_b32_dpp v28, v3 row_shr:1 row_mask:0xf bank_mask:0xf
	s_delay_alu instid0(VALU_DEP_1) | instskip(NEXT) | instid1(VALU_DEP_1)
	v_cndmask_b32_e64 v28, v28, 0, s0
	v_add_nc_u32_e32 v3, v28, v3
	s_delay_alu instid0(VALU_DEP_1) | instskip(NEXT) | instid1(VALU_DEP_1)
	v_mov_b32_dpp v28, v3 row_shr:2 row_mask:0xf bank_mask:0xf
	v_cndmask_b32_e64 v28, 0, v28, s1
	s_delay_alu instid0(VALU_DEP_1) | instskip(NEXT) | instid1(VALU_DEP_1)
	v_add_nc_u32_e32 v3, v3, v28
	v_mov_b32_dpp v28, v3 row_shr:4 row_mask:0xf bank_mask:0xf
	s_delay_alu instid0(VALU_DEP_1) | instskip(NEXT) | instid1(VALU_DEP_1)
	v_cndmask_b32_e64 v28, 0, v28, s2
	v_add_nc_u32_e32 v3, v3, v28
	s_delay_alu instid0(VALU_DEP_1) | instskip(NEXT) | instid1(VALU_DEP_1)
	v_mov_b32_dpp v28, v3 row_shr:8 row_mask:0xf bank_mask:0xf
	v_cndmask_b32_e64 v28, 0, v28, s3
	s_delay_alu instid0(VALU_DEP_1) | instskip(SKIP_3) | instid1(VALU_DEP_1)
	v_add_nc_u32_e32 v3, v3, v28
	ds_swizzle_b32 v28, v3 offset:swizzle(BROADCAST,32,15)
	s_waitcnt lgkmcnt(0)
	v_cndmask_b32_e64 v28, v28, 0, s4
	v_add_nc_u32_e32 v3, v3, v28
	s_and_saveexec_b32 s11, s10
	s_cbranch_execz .LBB153_22
; %bb.21:                               ;   in Loop: Header=BB153_2 Depth=1
	ds_store_b32 v21, v3
.LBB153_22:                             ;   in Loop: Header=BB153_2 Depth=1
	s_or_b32 exec_lo, exec_lo, s11
	s_waitcnt lgkmcnt(0)
	s_barrier
	buffer_gl0_inv
	s_and_saveexec_b32 s11, s5
	s_cbranch_execz .LBB153_24
; %bb.23:                               ;   in Loop: Header=BB153_2 Depth=1
	ds_load_b32 v28, v23
	s_waitcnt lgkmcnt(0)
	v_mov_b32_dpp v29, v28 row_shr:1 row_mask:0xf bank_mask:0xf
	s_delay_alu instid0(VALU_DEP_1) | instskip(NEXT) | instid1(VALU_DEP_1)
	v_cndmask_b32_e64 v29, v29, 0, s8
	v_add_nc_u32_e32 v28, v29, v28
	s_delay_alu instid0(VALU_DEP_1) | instskip(NEXT) | instid1(VALU_DEP_1)
	v_mov_b32_dpp v29, v28 row_shr:2 row_mask:0xf bank_mask:0xf
	v_cndmask_b32_e64 v29, 0, v29, s9
	s_delay_alu instid0(VALU_DEP_1)
	v_add_nc_u32_e32 v28, v28, v29
	ds_store_b32 v23, v28
.LBB153_24:                             ;   in Loop: Header=BB153_2 Depth=1
	s_or_b32 exec_lo, exec_lo, s11
	v_mov_b32_e32 v28, 0
	s_waitcnt lgkmcnt(0)
	s_barrier
	buffer_gl0_inv
	s_and_saveexec_b32 s11, s6
	s_cbranch_execz .LBB153_26
; %bb.25:                               ;   in Loop: Header=BB153_2 Depth=1
	ds_load_b32 v28, v24
.LBB153_26:                             ;   in Loop: Header=BB153_2 Depth=1
	s_or_b32 exec_lo, exec_lo, s11
	s_waitcnt lgkmcnt(0)
	v_add_nc_u32_e32 v3, v28, v3
	ds_bpermute_b32 v3, v22, v3
	s_waitcnt lgkmcnt(0)
	v_cndmask_b32_e32 v3, v3, v28, vcc_lo
	s_delay_alu instid0(VALU_DEP_1) | instskip(NEXT) | instid1(VALU_DEP_1)
	v_cndmask_b32_e64 v3, v3, 0, s7
	v_add_nc_u32_e32 v4, v3, v4
	s_delay_alu instid0(VALU_DEP_1) | instskip(NEXT) | instid1(VALU_DEP_1)
	v_add_nc_u32_e32 v5, v4, v5
	v_add_nc_u32_e32 v6, v5, v6
	s_delay_alu instid0(VALU_DEP_1) | instskip(NEXT) | instid1(VALU_DEP_1)
	v_add_nc_u32_e32 v28, v6, v7
	;; [unrolled: 3-line block ×3, first 2 shown]
	v_add_nc_u32_e32 v1, v0, v2
	ds_store_2addr_b64 v19, v[3:4], v[5:6] offset0:2 offset1:3
	ds_store_2addr_b64 v20, v[28:29], v[0:1] offset0:2 offset1:3
	s_waitcnt lgkmcnt(0)
	s_barrier
	buffer_gl0_inv
	ds_load_b32 v0, v18
	v_lshlrev_b32_e32 v1, 3, v17
	s_waitcnt lgkmcnt(0)
	s_barrier
	buffer_gl0_inv
	v_lshl_add_u32 v0, v0, 3, v1
	ds_store_b64 v0, v[13:14]
	s_waitcnt lgkmcnt(0)
	s_barrier
	buffer_gl0_inv
	ds_load_b64 v[13:14], v25
	s_waitcnt lgkmcnt(0)
	s_barrier
	buffer_gl0_inv
	ds_store_b64 v0, v[15:16]
	s_waitcnt lgkmcnt(0)
	s_barrier
	buffer_gl0_inv
	ds_load_b64 v[15:16], v25
	s_waitcnt lgkmcnt(0)
	s_barrier
	buffer_gl0_inv
	v_bfe_u32 v1, v14, 24, 1
	v_lshrrev_b32_e32 v5, 24, v14
	s_delay_alu instid0(VALU_DEP_2) | instskip(NEXT) | instid1(VALU_DEP_1)
	v_add_co_u32 v1, s11, v1, -1
	v_cndmask_b32_e64 v2, 0, 1, s11
	s_delay_alu instid0(VALU_DEP_3)
	v_lshlrev_b32_e32 v3, 30, v5
	v_lshlrev_b32_e32 v4, 29, v5
	;; [unrolled: 1-line block ×4, first 2 shown]
	v_cmp_ne_u32_e64 s11, 0, v2
	v_not_b32_e32 v2, v3
	v_cmp_gt_i32_e64 s12, 0, v3
	v_not_b32_e32 v3, v4
	v_lshlrev_b32_e32 v17, 26, v5
	v_xor_b32_e32 v1, s11, v1
	v_ashrrev_i32_e32 v2, 31, v2
	v_cmp_gt_i32_e64 s11, 0, v4
	v_not_b32_e32 v4, v6
	v_ashrrev_i32_e32 v3, 31, v3
	v_and_b32_e32 v1, exec_lo, v1
	v_xor_b32_e32 v2, s12, v2
	v_cmp_gt_i32_e64 s12, 0, v6
	v_not_b32_e32 v6, v7
	v_ashrrev_i32_e32 v4, 31, v4
	v_xor_b32_e32 v3, s11, v3
	v_and_b32_e32 v1, v1, v2
	v_lshlrev_b32_e32 v18, 25, v5
	v_cmp_gt_i32_e64 s11, 0, v7
	v_not_b32_e32 v2, v17
	v_ashrrev_i32_e32 v6, 31, v6
	v_xor_b32_e32 v4, s12, v4
	v_and_b32_e32 v1, v1, v3
	v_cmp_gt_i32_e64 s12, 0, v17
	v_not_b32_e32 v3, v18
	v_ashrrev_i32_e32 v2, 31, v2
	v_xor_b32_e32 v6, s11, v6
	v_and_b32_e32 v1, v1, v4
	v_not_b32_e32 v4, v14
	v_cmp_gt_i32_e64 s11, 0, v18
	v_ashrrev_i32_e32 v3, 31, v3
	v_xor_b32_e32 v2, s12, v2
	v_and_b32_e32 v1, v1, v6
	v_cmp_gt_i32_e64 s12, 0, v14
	v_ashrrev_i32_e32 v4, 31, v4
	v_xor_b32_e32 v3, s11, v3
	s_delay_alu instid0(VALU_DEP_4) | instskip(NEXT) | instid1(VALU_DEP_3)
	v_and_b32_e32 v1, v1, v2
	v_xor_b32_e32 v0, s12, v4
	s_delay_alu instid0(VALU_DEP_2) | instskip(SKIP_1) | instid1(VALU_DEP_2)
	v_and_b32_e32 v3, v1, v3
	v_dual_mov_b32 v1, s20 :: v_dual_mov_b32 v2, s21
	v_dual_mov_b32 v3, s16 :: v_dual_and_b32 v0, v3, v0
	v_mov_b32_e32 v4, s17
	ds_store_2addr_b64 v19, v[1:2], v[3:4] offset0:2 offset1:3
	ds_store_2addr_b64 v20, v[1:2], v[3:4] offset0:2 offset1:3
	v_mbcnt_lo_u32_b32 v17, v0, 0
	v_lshl_add_u32 v1, v5, 2, v26
	v_cmp_ne_u32_e64 s12, 0, v0
	s_waitcnt lgkmcnt(0)
	s_barrier
	v_cmp_eq_u32_e64 s11, 0, v17
	v_lshl_add_u32 v18, v1, 2, 16
	buffer_gl0_inv
	; wave barrier
	s_and_b32 s12, s12, s11
	s_delay_alu instid0(SALU_CYCLE_1)
	s_and_saveexec_b32 s11, s12
	s_cbranch_execz .LBB153_28
; %bb.27:                               ;   in Loop: Header=BB153_2 Depth=1
	v_bcnt_u32_b32 v0, v0, 0
	ds_store_b32 v18, v0
.LBB153_28:                             ;   in Loop: Header=BB153_2 Depth=1
	s_or_b32 exec_lo, exec_lo, s11
	; wave barrier
	s_waitcnt lgkmcnt(0)
	s_barrier
	buffer_gl0_inv
	ds_load_2addr_b64 v[4:7], v19 offset0:2 offset1:3
	ds_load_2addr_b64 v[0:3], v20 offset0:2 offset1:3
	s_waitcnt lgkmcnt(1)
	v_add_nc_u32_e32 v28, v5, v4
	s_delay_alu instid0(VALU_DEP_1) | instskip(SKIP_1) | instid1(VALU_DEP_1)
	v_add3_u32 v28, v28, v6, v7
	s_waitcnt lgkmcnt(0)
	v_add3_u32 v28, v28, v0, v1
	s_delay_alu instid0(VALU_DEP_1) | instskip(NEXT) | instid1(VALU_DEP_1)
	v_add3_u32 v3, v28, v2, v3
	v_mov_b32_dpp v28, v3 row_shr:1 row_mask:0xf bank_mask:0xf
	s_delay_alu instid0(VALU_DEP_1) | instskip(NEXT) | instid1(VALU_DEP_1)
	v_cndmask_b32_e64 v28, v28, 0, s0
	v_add_nc_u32_e32 v3, v28, v3
	s_delay_alu instid0(VALU_DEP_1) | instskip(NEXT) | instid1(VALU_DEP_1)
	v_mov_b32_dpp v28, v3 row_shr:2 row_mask:0xf bank_mask:0xf
	v_cndmask_b32_e64 v28, 0, v28, s1
	s_delay_alu instid0(VALU_DEP_1) | instskip(NEXT) | instid1(VALU_DEP_1)
	v_add_nc_u32_e32 v3, v3, v28
	v_mov_b32_dpp v28, v3 row_shr:4 row_mask:0xf bank_mask:0xf
	s_delay_alu instid0(VALU_DEP_1) | instskip(NEXT) | instid1(VALU_DEP_1)
	v_cndmask_b32_e64 v28, 0, v28, s2
	v_add_nc_u32_e32 v3, v3, v28
	s_delay_alu instid0(VALU_DEP_1) | instskip(NEXT) | instid1(VALU_DEP_1)
	v_mov_b32_dpp v28, v3 row_shr:8 row_mask:0xf bank_mask:0xf
	v_cndmask_b32_e64 v28, 0, v28, s3
	s_delay_alu instid0(VALU_DEP_1) | instskip(SKIP_3) | instid1(VALU_DEP_1)
	v_add_nc_u32_e32 v3, v3, v28
	ds_swizzle_b32 v28, v3 offset:swizzle(BROADCAST,32,15)
	s_waitcnt lgkmcnt(0)
	v_cndmask_b32_e64 v28, v28, 0, s4
	v_add_nc_u32_e32 v3, v3, v28
	s_and_saveexec_b32 s11, s10
	s_cbranch_execz .LBB153_30
; %bb.29:                               ;   in Loop: Header=BB153_2 Depth=1
	ds_store_b32 v21, v3
.LBB153_30:                             ;   in Loop: Header=BB153_2 Depth=1
	s_or_b32 exec_lo, exec_lo, s11
	s_waitcnt lgkmcnt(0)
	s_barrier
	buffer_gl0_inv
	s_and_saveexec_b32 s11, s5
	s_cbranch_execz .LBB153_32
; %bb.31:                               ;   in Loop: Header=BB153_2 Depth=1
	ds_load_b32 v28, v23
	s_waitcnt lgkmcnt(0)
	v_mov_b32_dpp v29, v28 row_shr:1 row_mask:0xf bank_mask:0xf
	s_delay_alu instid0(VALU_DEP_1) | instskip(NEXT) | instid1(VALU_DEP_1)
	v_cndmask_b32_e64 v29, v29, 0, s8
	v_add_nc_u32_e32 v28, v29, v28
	s_delay_alu instid0(VALU_DEP_1) | instskip(NEXT) | instid1(VALU_DEP_1)
	v_mov_b32_dpp v29, v28 row_shr:2 row_mask:0xf bank_mask:0xf
	v_cndmask_b32_e64 v29, 0, v29, s9
	s_delay_alu instid0(VALU_DEP_1)
	v_add_nc_u32_e32 v28, v28, v29
	ds_store_b32 v23, v28
.LBB153_32:                             ;   in Loop: Header=BB153_2 Depth=1
	s_or_b32 exec_lo, exec_lo, s11
	v_mov_b32_e32 v28, 0
	s_waitcnt lgkmcnt(0)
	s_barrier
	buffer_gl0_inv
	s_and_saveexec_b32 s11, s6
	s_cbranch_execz .LBB153_34
; %bb.33:                               ;   in Loop: Header=BB153_2 Depth=1
	ds_load_b32 v28, v24
.LBB153_34:                             ;   in Loop: Header=BB153_2 Depth=1
	s_or_b32 exec_lo, exec_lo, s11
	s_waitcnt lgkmcnt(0)
	v_add_nc_u32_e32 v3, v28, v3
	ds_bpermute_b32 v3, v22, v3
	s_waitcnt lgkmcnt(0)
	v_cndmask_b32_e32 v3, v3, v28, vcc_lo
	s_delay_alu instid0(VALU_DEP_1) | instskip(NEXT) | instid1(VALU_DEP_1)
	v_cndmask_b32_e64 v3, v3, 0, s7
	v_add_nc_u32_e32 v4, v3, v4
	s_delay_alu instid0(VALU_DEP_1) | instskip(NEXT) | instid1(VALU_DEP_1)
	v_add_nc_u32_e32 v5, v4, v5
	v_add_nc_u32_e32 v6, v5, v6
	s_delay_alu instid0(VALU_DEP_1) | instskip(NEXT) | instid1(VALU_DEP_1)
	v_add_nc_u32_e32 v28, v6, v7
	;; [unrolled: 3-line block ×3, first 2 shown]
	v_add_nc_u32_e32 v1, v0, v2
	ds_store_2addr_b64 v19, v[3:4], v[5:6] offset0:2 offset1:3
	ds_store_2addr_b64 v20, v[28:29], v[0:1] offset0:2 offset1:3
	s_waitcnt lgkmcnt(0)
	s_barrier
	buffer_gl0_inv
	ds_load_b32 v0, v18
	v_lshlrev_b32_e32 v1, 3, v17
	s_waitcnt lgkmcnt(0)
	s_barrier
	buffer_gl0_inv
	v_lshl_add_u32 v0, v0, 3, v1
	v_dual_mov_b32 v1, s20 :: v_dual_mov_b32 v2, s21
	ds_store_b64 v0, v[13:14]
	s_waitcnt lgkmcnt(0)
	s_barrier
	buffer_gl0_inv
	ds_load_b64 v[13:14], v25
	s_waitcnt lgkmcnt(0)
	s_barrier
	buffer_gl0_inv
	ds_store_b64 v0, v[15:16]
	s_waitcnt lgkmcnt(0)
	s_barrier
	buffer_gl0_inv
	ds_load_b64 v[15:16], v25
	s_waitcnt lgkmcnt(0)
	s_barrier
	buffer_gl0_inv
	v_and_b32_e32 v3, 1, v13
	v_lshlrev_b32_e32 v4, 30, v13
	v_lshlrev_b32_e32 v5, 29, v13
	;; [unrolled: 1-line block ×4, first 2 shown]
	v_add_co_u32 v3, s11, v3, -1
	s_delay_alu instid0(VALU_DEP_1)
	v_cndmask_b32_e64 v7, 0, 1, s11
	v_not_b32_e32 v29, v4
	v_cmp_gt_i32_e64 s12, 0, v4
	v_not_b32_e32 v4, v5
	v_lshlrev_b32_e32 v18, 26, v13
	v_cmp_ne_u32_e64 s11, 0, v7
	v_ashrrev_i32_e32 v29, 31, v29
	v_lshlrev_b32_e32 v28, 25, v13
	v_ashrrev_i32_e32 v4, 31, v4
	v_lshlrev_b32_e32 v7, 24, v13
	v_xor_b32_e32 v3, s11, v3
	v_cmp_gt_i32_e64 s11, 0, v5
	v_not_b32_e32 v5, v6
	v_xor_b32_e32 v29, s12, v29
	v_cmp_gt_i32_e64 s12, 0, v6
	v_and_b32_e32 v3, exec_lo, v3
	v_not_b32_e32 v6, v17
	v_ashrrev_i32_e32 v5, 31, v5
	v_xor_b32_e32 v4, s11, v4
	v_cmp_gt_i32_e64 s11, 0, v17
	v_and_b32_e32 v3, v3, v29
	v_not_b32_e32 v17, v18
	v_ashrrev_i32_e32 v6, 31, v6
	v_xor_b32_e32 v5, s12, v5
	v_cmp_gt_i32_e64 s12, 0, v18
	v_and_b32_e32 v3, v3, v4
	;; [unrolled: 5-line block ×4, first 2 shown]
	v_ashrrev_i32_e32 v5, 31, v5
	v_xor_b32_e32 v4, s11, v4
	s_delay_alu instid0(VALU_DEP_3) | instskip(NEXT) | instid1(VALU_DEP_3)
	v_and_b32_e32 v3, v3, v17
	v_xor_b32_e32 v0, s12, v5
	s_delay_alu instid0(VALU_DEP_2)
	v_and_b32_e32 v5, v3, v4
	v_dual_mov_b32 v3, s16 :: v_dual_mov_b32 v4, s17
	ds_store_2addr_b64 v19, v[1:2], v[3:4] offset0:2 offset1:3
	ds_store_2addr_b64 v20, v[1:2], v[3:4] offset0:2 offset1:3
	v_and_b32_e32 v0, v5, v0
	v_and_b32_e32 v5, 0xff, v13
	s_waitcnt lgkmcnt(0)
	s_barrier
	buffer_gl0_inv
	v_mbcnt_lo_u32_b32 v17, v0, 0
	v_lshl_add_u32 v1, v5, 2, v26
	v_cmp_ne_u32_e64 s12, 0, v0
	; wave barrier
	s_delay_alu instid0(VALU_DEP_3) | instskip(NEXT) | instid1(VALU_DEP_3)
	v_cmp_eq_u32_e64 s11, 0, v17
	v_lshl_add_u32 v18, v1, 2, 16
	s_delay_alu instid0(VALU_DEP_2) | instskip(NEXT) | instid1(SALU_CYCLE_1)
	s_and_b32 s12, s12, s11
	s_and_saveexec_b32 s11, s12
	s_cbranch_execz .LBB153_36
; %bb.35:                               ;   in Loop: Header=BB153_2 Depth=1
	v_bcnt_u32_b32 v0, v0, 0
	ds_store_b32 v18, v0
.LBB153_36:                             ;   in Loop: Header=BB153_2 Depth=1
	s_or_b32 exec_lo, exec_lo, s11
	; wave barrier
	s_waitcnt lgkmcnt(0)
	s_barrier
	buffer_gl0_inv
	ds_load_2addr_b64 v[4:7], v19 offset0:2 offset1:3
	ds_load_2addr_b64 v[0:3], v20 offset0:2 offset1:3
	s_waitcnt lgkmcnt(1)
	v_add_nc_u32_e32 v28, v5, v4
	s_delay_alu instid0(VALU_DEP_1) | instskip(SKIP_1) | instid1(VALU_DEP_1)
	v_add3_u32 v28, v28, v6, v7
	s_waitcnt lgkmcnt(0)
	v_add3_u32 v28, v28, v0, v1
	s_delay_alu instid0(VALU_DEP_1) | instskip(NEXT) | instid1(VALU_DEP_1)
	v_add3_u32 v3, v28, v2, v3
	v_mov_b32_dpp v28, v3 row_shr:1 row_mask:0xf bank_mask:0xf
	s_delay_alu instid0(VALU_DEP_1) | instskip(NEXT) | instid1(VALU_DEP_1)
	v_cndmask_b32_e64 v28, v28, 0, s0
	v_add_nc_u32_e32 v3, v28, v3
	s_delay_alu instid0(VALU_DEP_1) | instskip(NEXT) | instid1(VALU_DEP_1)
	v_mov_b32_dpp v28, v3 row_shr:2 row_mask:0xf bank_mask:0xf
	v_cndmask_b32_e64 v28, 0, v28, s1
	s_delay_alu instid0(VALU_DEP_1) | instskip(NEXT) | instid1(VALU_DEP_1)
	v_add_nc_u32_e32 v3, v3, v28
	v_mov_b32_dpp v28, v3 row_shr:4 row_mask:0xf bank_mask:0xf
	s_delay_alu instid0(VALU_DEP_1) | instskip(NEXT) | instid1(VALU_DEP_1)
	v_cndmask_b32_e64 v28, 0, v28, s2
	v_add_nc_u32_e32 v3, v3, v28
	s_delay_alu instid0(VALU_DEP_1) | instskip(NEXT) | instid1(VALU_DEP_1)
	v_mov_b32_dpp v28, v3 row_shr:8 row_mask:0xf bank_mask:0xf
	v_cndmask_b32_e64 v28, 0, v28, s3
	s_delay_alu instid0(VALU_DEP_1) | instskip(SKIP_3) | instid1(VALU_DEP_1)
	v_add_nc_u32_e32 v3, v3, v28
	ds_swizzle_b32 v28, v3 offset:swizzle(BROADCAST,32,15)
	s_waitcnt lgkmcnt(0)
	v_cndmask_b32_e64 v28, v28, 0, s4
	v_add_nc_u32_e32 v3, v3, v28
	s_and_saveexec_b32 s11, s10
	s_cbranch_execz .LBB153_38
; %bb.37:                               ;   in Loop: Header=BB153_2 Depth=1
	ds_store_b32 v21, v3
.LBB153_38:                             ;   in Loop: Header=BB153_2 Depth=1
	s_or_b32 exec_lo, exec_lo, s11
	s_waitcnt lgkmcnt(0)
	s_barrier
	buffer_gl0_inv
	s_and_saveexec_b32 s11, s5
	s_cbranch_execz .LBB153_40
; %bb.39:                               ;   in Loop: Header=BB153_2 Depth=1
	ds_load_b32 v28, v23
	s_waitcnt lgkmcnt(0)
	v_mov_b32_dpp v29, v28 row_shr:1 row_mask:0xf bank_mask:0xf
	s_delay_alu instid0(VALU_DEP_1) | instskip(NEXT) | instid1(VALU_DEP_1)
	v_cndmask_b32_e64 v29, v29, 0, s8
	v_add_nc_u32_e32 v28, v29, v28
	s_delay_alu instid0(VALU_DEP_1) | instskip(NEXT) | instid1(VALU_DEP_1)
	v_mov_b32_dpp v29, v28 row_shr:2 row_mask:0xf bank_mask:0xf
	v_cndmask_b32_e64 v29, 0, v29, s9
	s_delay_alu instid0(VALU_DEP_1)
	v_add_nc_u32_e32 v28, v28, v29
	ds_store_b32 v23, v28
.LBB153_40:                             ;   in Loop: Header=BB153_2 Depth=1
	s_or_b32 exec_lo, exec_lo, s11
	v_mov_b32_e32 v28, 0
	s_waitcnt lgkmcnt(0)
	s_barrier
	buffer_gl0_inv
	s_and_saveexec_b32 s11, s6
	s_cbranch_execz .LBB153_42
; %bb.41:                               ;   in Loop: Header=BB153_2 Depth=1
	ds_load_b32 v28, v24
.LBB153_42:                             ;   in Loop: Header=BB153_2 Depth=1
	s_or_b32 exec_lo, exec_lo, s11
	s_waitcnt lgkmcnt(0)
	v_add_nc_u32_e32 v3, v28, v3
	ds_bpermute_b32 v3, v22, v3
	s_waitcnt lgkmcnt(0)
	v_cndmask_b32_e32 v3, v3, v28, vcc_lo
	s_delay_alu instid0(VALU_DEP_1) | instskip(NEXT) | instid1(VALU_DEP_1)
	v_cndmask_b32_e64 v3, v3, 0, s7
	v_add_nc_u32_e32 v4, v3, v4
	s_delay_alu instid0(VALU_DEP_1) | instskip(NEXT) | instid1(VALU_DEP_1)
	v_add_nc_u32_e32 v5, v4, v5
	v_add_nc_u32_e32 v6, v5, v6
	s_delay_alu instid0(VALU_DEP_1) | instskip(NEXT) | instid1(VALU_DEP_1)
	v_add_nc_u32_e32 v28, v6, v7
	;; [unrolled: 3-line block ×3, first 2 shown]
	v_add_nc_u32_e32 v1, v0, v2
	ds_store_2addr_b64 v19, v[3:4], v[5:6] offset0:2 offset1:3
	ds_store_2addr_b64 v20, v[28:29], v[0:1] offset0:2 offset1:3
	s_waitcnt lgkmcnt(0)
	s_barrier
	buffer_gl0_inv
	ds_load_b32 v0, v18
	v_lshlrev_b32_e32 v1, 3, v17
	s_waitcnt lgkmcnt(0)
	s_barrier
	buffer_gl0_inv
	v_lshl_add_u32 v0, v0, 3, v1
	v_dual_mov_b32 v1, s20 :: v_dual_mov_b32 v2, s21
	ds_store_b64 v0, v[13:14]
	s_waitcnt lgkmcnt(0)
	s_barrier
	buffer_gl0_inv
	ds_load_b64 v[13:14], v25
	s_waitcnt lgkmcnt(0)
	s_barrier
	buffer_gl0_inv
	ds_store_b64 v0, v[15:16]
	s_waitcnt lgkmcnt(0)
	s_barrier
	buffer_gl0_inv
	ds_load_b64 v[15:16], v25
	s_waitcnt lgkmcnt(0)
	s_barrier
	buffer_gl0_inv
	v_bfe_u32 v3, v13, 8, 1
	v_lshrrev_b32_e32 v4, 8, v13
	s_delay_alu instid0(VALU_DEP_2) | instskip(NEXT) | instid1(VALU_DEP_1)
	v_add_co_u32 v3, s11, v3, -1
	v_cndmask_b32_e64 v5, 0, 1, s11
	s_delay_alu instid0(VALU_DEP_3)
	v_lshlrev_b32_e32 v6, 30, v4
	v_lshlrev_b32_e32 v7, 29, v4
	;; [unrolled: 1-line block ×4, first 2 shown]
	v_cmp_ne_u32_e64 s11, 0, v5
	v_not_b32_e32 v5, v6
	v_cmp_gt_i32_e64 s12, 0, v6
	v_not_b32_e32 v6, v7
	v_lshlrev_b32_e32 v28, 26, v4
	v_xor_b32_e32 v3, s11, v3
	v_ashrrev_i32_e32 v5, 31, v5
	v_cmp_gt_i32_e64 s11, 0, v7
	v_not_b32_e32 v7, v17
	v_ashrrev_i32_e32 v6, 31, v6
	v_and_b32_e32 v3, exec_lo, v3
	v_xor_b32_e32 v5, s12, v5
	v_cmp_gt_i32_e64 s12, 0, v17
	v_not_b32_e32 v17, v18
	v_ashrrev_i32_e32 v7, 31, v7
	v_xor_b32_e32 v6, s11, v6
	v_and_b32_e32 v3, v3, v5
	v_lshlrev_b32_e32 v29, 25, v4
	v_cmp_gt_i32_e64 s11, 0, v18
	v_not_b32_e32 v5, v28
	v_ashrrev_i32_e32 v17, 31, v17
	v_xor_b32_e32 v7, s12, v7
	v_and_b32_e32 v3, v3, v6
	v_lshlrev_b32_e32 v4, 24, v4
	v_cmp_gt_i32_e64 s12, 0, v28
	v_not_b32_e32 v6, v29
	v_ashrrev_i32_e32 v5, 31, v5
	v_xor_b32_e32 v17, s11, v17
	v_and_b32_e32 v3, v3, v7
	v_cmp_gt_i32_e64 s11, 0, v29
	v_not_b32_e32 v7, v4
	v_ashrrev_i32_e32 v6, 31, v6
	v_xor_b32_e32 v5, s12, v5
	v_and_b32_e32 v3, v3, v17
	v_cmp_gt_i32_e64 s12, 0, v4
	v_ashrrev_i32_e32 v4, 31, v7
	v_xor_b32_e32 v6, s11, v6
	s_delay_alu instid0(VALU_DEP_4) | instskip(NEXT) | instid1(VALU_DEP_3)
	v_and_b32_e32 v3, v3, v5
	v_xor_b32_e32 v0, s12, v4
	s_delay_alu instid0(VALU_DEP_2)
	v_and_b32_e32 v5, v3, v6
	v_mov_b32_e32 v3, s16
	v_lshrrev_b32_e32 v6, 6, v13
	v_mov_b32_e32 v4, s17
	ds_store_2addr_b64 v19, v[1:2], v[3:4] offset0:2 offset1:3
	ds_store_2addr_b64 v20, v[1:2], v[3:4] offset0:2 offset1:3
	v_and_b32_e32 v0, v5, v0
	v_and_b32_e32 v5, 0x3fc, v6
	s_waitcnt lgkmcnt(0)
	s_barrier
	buffer_gl0_inv
	v_mbcnt_lo_u32_b32 v17, v0, 0
	v_add_nc_u32_e32 v1, v5, v26
	v_cmp_ne_u32_e64 s12, 0, v0
	; wave barrier
	s_delay_alu instid0(VALU_DEP_3) | instskip(NEXT) | instid1(VALU_DEP_3)
	v_cmp_eq_u32_e64 s11, 0, v17
	v_lshl_add_u32 v18, v1, 2, 16
	s_delay_alu instid0(VALU_DEP_2) | instskip(NEXT) | instid1(SALU_CYCLE_1)
	s_and_b32 s12, s12, s11
	s_and_saveexec_b32 s11, s12
	s_cbranch_execz .LBB153_44
; %bb.43:                               ;   in Loop: Header=BB153_2 Depth=1
	v_bcnt_u32_b32 v0, v0, 0
	ds_store_b32 v18, v0
.LBB153_44:                             ;   in Loop: Header=BB153_2 Depth=1
	s_or_b32 exec_lo, exec_lo, s11
	; wave barrier
	s_waitcnt lgkmcnt(0)
	s_barrier
	buffer_gl0_inv
	ds_load_2addr_b64 v[4:7], v19 offset0:2 offset1:3
	ds_load_2addr_b64 v[0:3], v20 offset0:2 offset1:3
	s_waitcnt lgkmcnt(1)
	v_add_nc_u32_e32 v28, v5, v4
	s_delay_alu instid0(VALU_DEP_1) | instskip(SKIP_1) | instid1(VALU_DEP_1)
	v_add3_u32 v28, v28, v6, v7
	s_waitcnt lgkmcnt(0)
	v_add3_u32 v28, v28, v0, v1
	s_delay_alu instid0(VALU_DEP_1) | instskip(NEXT) | instid1(VALU_DEP_1)
	v_add3_u32 v3, v28, v2, v3
	v_mov_b32_dpp v28, v3 row_shr:1 row_mask:0xf bank_mask:0xf
	s_delay_alu instid0(VALU_DEP_1) | instskip(NEXT) | instid1(VALU_DEP_1)
	v_cndmask_b32_e64 v28, v28, 0, s0
	v_add_nc_u32_e32 v3, v28, v3
	s_delay_alu instid0(VALU_DEP_1) | instskip(NEXT) | instid1(VALU_DEP_1)
	v_mov_b32_dpp v28, v3 row_shr:2 row_mask:0xf bank_mask:0xf
	v_cndmask_b32_e64 v28, 0, v28, s1
	s_delay_alu instid0(VALU_DEP_1) | instskip(NEXT) | instid1(VALU_DEP_1)
	v_add_nc_u32_e32 v3, v3, v28
	v_mov_b32_dpp v28, v3 row_shr:4 row_mask:0xf bank_mask:0xf
	s_delay_alu instid0(VALU_DEP_1) | instskip(NEXT) | instid1(VALU_DEP_1)
	v_cndmask_b32_e64 v28, 0, v28, s2
	v_add_nc_u32_e32 v3, v3, v28
	s_delay_alu instid0(VALU_DEP_1) | instskip(NEXT) | instid1(VALU_DEP_1)
	v_mov_b32_dpp v28, v3 row_shr:8 row_mask:0xf bank_mask:0xf
	v_cndmask_b32_e64 v28, 0, v28, s3
	s_delay_alu instid0(VALU_DEP_1) | instskip(SKIP_3) | instid1(VALU_DEP_1)
	v_add_nc_u32_e32 v3, v3, v28
	ds_swizzle_b32 v28, v3 offset:swizzle(BROADCAST,32,15)
	s_waitcnt lgkmcnt(0)
	v_cndmask_b32_e64 v28, v28, 0, s4
	v_add_nc_u32_e32 v3, v3, v28
	s_and_saveexec_b32 s11, s10
	s_cbranch_execz .LBB153_46
; %bb.45:                               ;   in Loop: Header=BB153_2 Depth=1
	ds_store_b32 v21, v3
.LBB153_46:                             ;   in Loop: Header=BB153_2 Depth=1
	s_or_b32 exec_lo, exec_lo, s11
	s_waitcnt lgkmcnt(0)
	s_barrier
	buffer_gl0_inv
	s_and_saveexec_b32 s11, s5
	s_cbranch_execz .LBB153_48
; %bb.47:                               ;   in Loop: Header=BB153_2 Depth=1
	ds_load_b32 v28, v23
	s_waitcnt lgkmcnt(0)
	v_mov_b32_dpp v29, v28 row_shr:1 row_mask:0xf bank_mask:0xf
	s_delay_alu instid0(VALU_DEP_1) | instskip(NEXT) | instid1(VALU_DEP_1)
	v_cndmask_b32_e64 v29, v29, 0, s8
	v_add_nc_u32_e32 v28, v29, v28
	s_delay_alu instid0(VALU_DEP_1) | instskip(NEXT) | instid1(VALU_DEP_1)
	v_mov_b32_dpp v29, v28 row_shr:2 row_mask:0xf bank_mask:0xf
	v_cndmask_b32_e64 v29, 0, v29, s9
	s_delay_alu instid0(VALU_DEP_1)
	v_add_nc_u32_e32 v28, v28, v29
	ds_store_b32 v23, v28
.LBB153_48:                             ;   in Loop: Header=BB153_2 Depth=1
	s_or_b32 exec_lo, exec_lo, s11
	v_mov_b32_e32 v28, 0
	s_waitcnt lgkmcnt(0)
	s_barrier
	buffer_gl0_inv
	s_and_saveexec_b32 s11, s6
	s_cbranch_execz .LBB153_50
; %bb.49:                               ;   in Loop: Header=BB153_2 Depth=1
	ds_load_b32 v28, v24
.LBB153_50:                             ;   in Loop: Header=BB153_2 Depth=1
	s_or_b32 exec_lo, exec_lo, s11
	s_waitcnt lgkmcnt(0)
	v_add_nc_u32_e32 v3, v28, v3
	ds_bpermute_b32 v3, v22, v3
	s_waitcnt lgkmcnt(0)
	v_cndmask_b32_e32 v3, v3, v28, vcc_lo
	s_delay_alu instid0(VALU_DEP_1) | instskip(NEXT) | instid1(VALU_DEP_1)
	v_cndmask_b32_e64 v3, v3, 0, s7
	v_add_nc_u32_e32 v4, v3, v4
	s_delay_alu instid0(VALU_DEP_1) | instskip(NEXT) | instid1(VALU_DEP_1)
	v_add_nc_u32_e32 v5, v4, v5
	v_add_nc_u32_e32 v6, v5, v6
	s_delay_alu instid0(VALU_DEP_1) | instskip(NEXT) | instid1(VALU_DEP_1)
	v_add_nc_u32_e32 v28, v6, v7
	;; [unrolled: 3-line block ×3, first 2 shown]
	v_add_nc_u32_e32 v1, v0, v2
	ds_store_2addr_b64 v19, v[3:4], v[5:6] offset0:2 offset1:3
	ds_store_2addr_b64 v20, v[28:29], v[0:1] offset0:2 offset1:3
	s_waitcnt lgkmcnt(0)
	s_barrier
	buffer_gl0_inv
	ds_load_b32 v0, v18
	v_lshlrev_b32_e32 v1, 3, v17
	s_waitcnt lgkmcnt(0)
	s_barrier
	buffer_gl0_inv
	v_lshl_add_u32 v0, v0, 3, v1
	v_dual_mov_b32 v1, s20 :: v_dual_mov_b32 v2, s21
	ds_store_b64 v0, v[13:14]
	s_waitcnt lgkmcnt(0)
	s_barrier
	buffer_gl0_inv
	ds_load_b64 v[13:14], v25
	s_waitcnt lgkmcnt(0)
	s_barrier
	buffer_gl0_inv
	ds_store_b64 v0, v[15:16]
	s_waitcnt lgkmcnt(0)
	s_barrier
	buffer_gl0_inv
	ds_load_b64 v[15:16], v25
	s_waitcnt lgkmcnt(0)
	s_barrier
	buffer_gl0_inv
	v_bfe_u32 v3, v13, 16, 1
	v_lshrrev_b32_e32 v4, 16, v13
	s_delay_alu instid0(VALU_DEP_2) | instskip(NEXT) | instid1(VALU_DEP_1)
	v_add_co_u32 v3, s11, v3, -1
	v_cndmask_b32_e64 v5, 0, 1, s11
	s_delay_alu instid0(VALU_DEP_3)
	v_lshlrev_b32_e32 v6, 30, v4
	v_lshlrev_b32_e32 v7, 29, v4
	;; [unrolled: 1-line block ×4, first 2 shown]
	v_cmp_ne_u32_e64 s11, 0, v5
	v_not_b32_e32 v5, v6
	v_cmp_gt_i32_e64 s12, 0, v6
	v_not_b32_e32 v6, v7
	v_lshlrev_b32_e32 v28, 26, v4
	v_xor_b32_e32 v3, s11, v3
	v_ashrrev_i32_e32 v5, 31, v5
	v_cmp_gt_i32_e64 s11, 0, v7
	v_not_b32_e32 v7, v17
	v_ashrrev_i32_e32 v6, 31, v6
	v_and_b32_e32 v3, exec_lo, v3
	v_xor_b32_e32 v5, s12, v5
	v_cmp_gt_i32_e64 s12, 0, v17
	v_not_b32_e32 v17, v18
	v_ashrrev_i32_e32 v7, 31, v7
	v_xor_b32_e32 v6, s11, v6
	v_and_b32_e32 v3, v3, v5
	v_lshlrev_b32_e32 v29, 25, v4
	v_cmp_gt_i32_e64 s11, 0, v18
	v_not_b32_e32 v5, v28
	v_ashrrev_i32_e32 v17, 31, v17
	v_xor_b32_e32 v7, s12, v7
	v_and_b32_e32 v3, v3, v6
	v_lshlrev_b32_e32 v4, 24, v4
	v_cmp_gt_i32_e64 s12, 0, v28
	v_not_b32_e32 v6, v29
	v_ashrrev_i32_e32 v5, 31, v5
	v_xor_b32_e32 v17, s11, v17
	v_and_b32_e32 v3, v3, v7
	v_cmp_gt_i32_e64 s11, 0, v29
	v_not_b32_e32 v7, v4
	v_ashrrev_i32_e32 v6, 31, v6
	v_xor_b32_e32 v5, s12, v5
	v_and_b32_e32 v3, v3, v17
	v_cmp_gt_i32_e64 s12, 0, v4
	v_ashrrev_i32_e32 v4, 31, v7
	v_xor_b32_e32 v6, s11, v6
	s_delay_alu instid0(VALU_DEP_4) | instskip(NEXT) | instid1(VALU_DEP_3)
	v_and_b32_e32 v3, v3, v5
	v_xor_b32_e32 v0, s12, v4
	s_delay_alu instid0(VALU_DEP_2)
	v_and_b32_e32 v5, v3, v6
	v_mov_b32_e32 v3, s16
	v_lshrrev_b32_e32 v6, 14, v13
	v_mov_b32_e32 v4, s17
	ds_store_2addr_b64 v19, v[1:2], v[3:4] offset0:2 offset1:3
	ds_store_2addr_b64 v20, v[1:2], v[3:4] offset0:2 offset1:3
	v_and_b32_e32 v0, v5, v0
	v_and_b32_e32 v5, 0x3fc, v6
	s_waitcnt lgkmcnt(0)
	s_barrier
	buffer_gl0_inv
	v_mbcnt_lo_u32_b32 v17, v0, 0
	v_add_nc_u32_e32 v1, v5, v26
	v_cmp_ne_u32_e64 s12, 0, v0
	; wave barrier
	s_delay_alu instid0(VALU_DEP_3) | instskip(NEXT) | instid1(VALU_DEP_3)
	v_cmp_eq_u32_e64 s11, 0, v17
	v_lshl_add_u32 v18, v1, 2, 16
	s_delay_alu instid0(VALU_DEP_2) | instskip(NEXT) | instid1(SALU_CYCLE_1)
	s_and_b32 s12, s12, s11
	s_and_saveexec_b32 s11, s12
	s_cbranch_execz .LBB153_52
; %bb.51:                               ;   in Loop: Header=BB153_2 Depth=1
	v_bcnt_u32_b32 v0, v0, 0
	ds_store_b32 v18, v0
.LBB153_52:                             ;   in Loop: Header=BB153_2 Depth=1
	s_or_b32 exec_lo, exec_lo, s11
	; wave barrier
	s_waitcnt lgkmcnt(0)
	s_barrier
	buffer_gl0_inv
	ds_load_2addr_b64 v[4:7], v19 offset0:2 offset1:3
	ds_load_2addr_b64 v[0:3], v20 offset0:2 offset1:3
	s_waitcnt lgkmcnt(1)
	v_add_nc_u32_e32 v28, v5, v4
	s_delay_alu instid0(VALU_DEP_1) | instskip(SKIP_1) | instid1(VALU_DEP_1)
	v_add3_u32 v28, v28, v6, v7
	s_waitcnt lgkmcnt(0)
	v_add3_u32 v28, v28, v0, v1
	s_delay_alu instid0(VALU_DEP_1) | instskip(NEXT) | instid1(VALU_DEP_1)
	v_add3_u32 v3, v28, v2, v3
	v_mov_b32_dpp v28, v3 row_shr:1 row_mask:0xf bank_mask:0xf
	s_delay_alu instid0(VALU_DEP_1) | instskip(NEXT) | instid1(VALU_DEP_1)
	v_cndmask_b32_e64 v28, v28, 0, s0
	v_add_nc_u32_e32 v3, v28, v3
	s_delay_alu instid0(VALU_DEP_1) | instskip(NEXT) | instid1(VALU_DEP_1)
	v_mov_b32_dpp v28, v3 row_shr:2 row_mask:0xf bank_mask:0xf
	v_cndmask_b32_e64 v28, 0, v28, s1
	s_delay_alu instid0(VALU_DEP_1) | instskip(NEXT) | instid1(VALU_DEP_1)
	v_add_nc_u32_e32 v3, v3, v28
	v_mov_b32_dpp v28, v3 row_shr:4 row_mask:0xf bank_mask:0xf
	s_delay_alu instid0(VALU_DEP_1) | instskip(NEXT) | instid1(VALU_DEP_1)
	v_cndmask_b32_e64 v28, 0, v28, s2
	v_add_nc_u32_e32 v3, v3, v28
	s_delay_alu instid0(VALU_DEP_1) | instskip(NEXT) | instid1(VALU_DEP_1)
	v_mov_b32_dpp v28, v3 row_shr:8 row_mask:0xf bank_mask:0xf
	v_cndmask_b32_e64 v28, 0, v28, s3
	s_delay_alu instid0(VALU_DEP_1) | instskip(SKIP_3) | instid1(VALU_DEP_1)
	v_add_nc_u32_e32 v3, v3, v28
	ds_swizzle_b32 v28, v3 offset:swizzle(BROADCAST,32,15)
	s_waitcnt lgkmcnt(0)
	v_cndmask_b32_e64 v28, v28, 0, s4
	v_add_nc_u32_e32 v3, v3, v28
	s_and_saveexec_b32 s11, s10
	s_cbranch_execz .LBB153_54
; %bb.53:                               ;   in Loop: Header=BB153_2 Depth=1
	ds_store_b32 v21, v3
.LBB153_54:                             ;   in Loop: Header=BB153_2 Depth=1
	s_or_b32 exec_lo, exec_lo, s11
	s_waitcnt lgkmcnt(0)
	s_barrier
	buffer_gl0_inv
	s_and_saveexec_b32 s11, s5
	s_cbranch_execz .LBB153_56
; %bb.55:                               ;   in Loop: Header=BB153_2 Depth=1
	ds_load_b32 v28, v23
	s_waitcnt lgkmcnt(0)
	v_mov_b32_dpp v29, v28 row_shr:1 row_mask:0xf bank_mask:0xf
	s_delay_alu instid0(VALU_DEP_1) | instskip(NEXT) | instid1(VALU_DEP_1)
	v_cndmask_b32_e64 v29, v29, 0, s8
	v_add_nc_u32_e32 v28, v29, v28
	s_delay_alu instid0(VALU_DEP_1) | instskip(NEXT) | instid1(VALU_DEP_1)
	v_mov_b32_dpp v29, v28 row_shr:2 row_mask:0xf bank_mask:0xf
	v_cndmask_b32_e64 v29, 0, v29, s9
	s_delay_alu instid0(VALU_DEP_1)
	v_add_nc_u32_e32 v28, v28, v29
	ds_store_b32 v23, v28
.LBB153_56:                             ;   in Loop: Header=BB153_2 Depth=1
	s_or_b32 exec_lo, exec_lo, s11
	v_mov_b32_e32 v28, 0
	s_waitcnt lgkmcnt(0)
	s_barrier
	buffer_gl0_inv
	s_and_saveexec_b32 s11, s6
	s_cbranch_execz .LBB153_58
; %bb.57:                               ;   in Loop: Header=BB153_2 Depth=1
	ds_load_b32 v28, v24
.LBB153_58:                             ;   in Loop: Header=BB153_2 Depth=1
	s_or_b32 exec_lo, exec_lo, s11
	s_waitcnt lgkmcnt(0)
	v_add_nc_u32_e32 v3, v28, v3
	ds_bpermute_b32 v3, v22, v3
	s_waitcnt lgkmcnt(0)
	v_cndmask_b32_e32 v3, v3, v28, vcc_lo
	s_delay_alu instid0(VALU_DEP_1) | instskip(NEXT) | instid1(VALU_DEP_1)
	v_cndmask_b32_e64 v3, v3, 0, s7
	v_add_nc_u32_e32 v4, v3, v4
	s_delay_alu instid0(VALU_DEP_1) | instskip(NEXT) | instid1(VALU_DEP_1)
	v_add_nc_u32_e32 v5, v4, v5
	v_add_nc_u32_e32 v6, v5, v6
	s_delay_alu instid0(VALU_DEP_1) | instskip(NEXT) | instid1(VALU_DEP_1)
	v_add_nc_u32_e32 v28, v6, v7
	;; [unrolled: 3-line block ×3, first 2 shown]
	v_add_nc_u32_e32 v1, v0, v2
	ds_store_2addr_b64 v19, v[3:4], v[5:6] offset0:2 offset1:3
	ds_store_2addr_b64 v20, v[28:29], v[0:1] offset0:2 offset1:3
	s_waitcnt lgkmcnt(0)
	s_barrier
	buffer_gl0_inv
	ds_load_b32 v0, v18
	v_lshlrev_b32_e32 v1, 3, v17
	s_waitcnt lgkmcnt(0)
	s_barrier
	buffer_gl0_inv
	v_lshl_add_u32 v0, v0, 3, v1
	ds_store_b64 v0, v[13:14]
	s_waitcnt lgkmcnt(0)
	s_barrier
	buffer_gl0_inv
	ds_load_b64 v[13:14], v25
	s_waitcnt lgkmcnt(0)
	s_barrier
	buffer_gl0_inv
	ds_store_b64 v0, v[15:16]
	s_waitcnt lgkmcnt(0)
	s_barrier
	buffer_gl0_inv
	v_bfe_u32 v1, v13, 24, 1
	v_lshrrev_b32_e32 v5, 24, v13
	s_delay_alu instid0(VALU_DEP_2) | instskip(NEXT) | instid1(VALU_DEP_1)
	v_add_co_u32 v1, s11, v1, -1
	v_cndmask_b32_e64 v2, 0, 1, s11
	s_delay_alu instid0(VALU_DEP_3)
	v_lshlrev_b32_e32 v3, 30, v5
	v_lshlrev_b32_e32 v4, 29, v5
	;; [unrolled: 1-line block ×4, first 2 shown]
	v_cmp_ne_u32_e64 s11, 0, v2
	v_not_b32_e32 v2, v3
	v_cmp_gt_i32_e64 s12, 0, v3
	v_not_b32_e32 v3, v4
	v_lshlrev_b32_e32 v17, 26, v5
	v_xor_b32_e32 v1, s11, v1
	v_ashrrev_i32_e32 v2, 31, v2
	v_cmp_gt_i32_e64 s11, 0, v4
	v_not_b32_e32 v4, v6
	v_ashrrev_i32_e32 v3, 31, v3
	v_and_b32_e32 v1, exec_lo, v1
	v_xor_b32_e32 v2, s12, v2
	v_cmp_gt_i32_e64 s12, 0, v6
	v_not_b32_e32 v6, v7
	v_ashrrev_i32_e32 v4, 31, v4
	v_xor_b32_e32 v3, s11, v3
	v_and_b32_e32 v1, v1, v2
	v_lshlrev_b32_e32 v18, 25, v5
	v_cmp_gt_i32_e64 s11, 0, v7
	v_not_b32_e32 v2, v17
	v_ashrrev_i32_e32 v6, 31, v6
	v_xor_b32_e32 v4, s12, v4
	v_and_b32_e32 v1, v1, v3
	v_cmp_gt_i32_e64 s12, 0, v17
	v_not_b32_e32 v3, v18
	v_ashrrev_i32_e32 v2, 31, v2
	v_xor_b32_e32 v6, s11, v6
	v_and_b32_e32 v1, v1, v4
	v_not_b32_e32 v4, v13
	v_cmp_gt_i32_e64 s11, 0, v18
	v_ashrrev_i32_e32 v3, 31, v3
	v_xor_b32_e32 v2, s12, v2
	v_and_b32_e32 v1, v1, v6
	v_cmp_gt_i32_e64 s12, 0, v13
	v_ashrrev_i32_e32 v4, 31, v4
	v_xor_b32_e32 v3, s11, v3
	ds_load_b64 v[17:18], v25
	v_and_b32_e32 v1, v1, v2
	s_waitcnt lgkmcnt(0)
	v_xor_b32_e32 v0, s12, v4
	s_barrier
	buffer_gl0_inv
	v_and_b32_e32 v3, v1, v3
	v_dual_mov_b32 v1, s20 :: v_dual_mov_b32 v2, s21
	s_delay_alu instid0(VALU_DEP_2)
	v_dual_mov_b32 v3, s16 :: v_dual_and_b32 v0, v3, v0
	v_mov_b32_e32 v4, s17
	ds_store_2addr_b64 v19, v[1:2], v[3:4] offset0:2 offset1:3
	ds_store_2addr_b64 v20, v[1:2], v[3:4] offset0:2 offset1:3
	v_mbcnt_lo_u32_b32 v15, v0, 0
	v_lshl_add_u32 v1, v5, 2, v26
	v_cmp_ne_u32_e64 s12, 0, v0
	s_waitcnt lgkmcnt(0)
	s_barrier
	v_cmp_eq_u32_e64 s11, 0, v15
	v_lshl_add_u32 v16, v1, 2, 16
	buffer_gl0_inv
	; wave barrier
	s_and_b32 s12, s12, s11
	s_delay_alu instid0(SALU_CYCLE_1)
	s_and_saveexec_b32 s11, s12
	s_cbranch_execz .LBB153_60
; %bb.59:                               ;   in Loop: Header=BB153_2 Depth=1
	v_bcnt_u32_b32 v0, v0, 0
	ds_store_b32 v16, v0
.LBB153_60:                             ;   in Loop: Header=BB153_2 Depth=1
	s_or_b32 exec_lo, exec_lo, s11
	; wave barrier
	s_waitcnt lgkmcnt(0)
	s_barrier
	buffer_gl0_inv
	ds_load_2addr_b64 v[4:7], v19 offset0:2 offset1:3
	ds_load_2addr_b64 v[0:3], v20 offset0:2 offset1:3
	s_waitcnt lgkmcnt(1)
	v_add_nc_u32_e32 v28, v5, v4
	s_delay_alu instid0(VALU_DEP_1) | instskip(SKIP_1) | instid1(VALU_DEP_1)
	v_add3_u32 v28, v28, v6, v7
	s_waitcnt lgkmcnt(0)
	v_add3_u32 v28, v28, v0, v1
	s_delay_alu instid0(VALU_DEP_1) | instskip(NEXT) | instid1(VALU_DEP_1)
	v_add3_u32 v3, v28, v2, v3
	v_mov_b32_dpp v28, v3 row_shr:1 row_mask:0xf bank_mask:0xf
	s_delay_alu instid0(VALU_DEP_1) | instskip(NEXT) | instid1(VALU_DEP_1)
	v_cndmask_b32_e64 v28, v28, 0, s0
	v_add_nc_u32_e32 v3, v28, v3
	s_delay_alu instid0(VALU_DEP_1) | instskip(NEXT) | instid1(VALU_DEP_1)
	v_mov_b32_dpp v28, v3 row_shr:2 row_mask:0xf bank_mask:0xf
	v_cndmask_b32_e64 v28, 0, v28, s1
	s_delay_alu instid0(VALU_DEP_1) | instskip(NEXT) | instid1(VALU_DEP_1)
	v_add_nc_u32_e32 v3, v3, v28
	v_mov_b32_dpp v28, v3 row_shr:4 row_mask:0xf bank_mask:0xf
	s_delay_alu instid0(VALU_DEP_1) | instskip(NEXT) | instid1(VALU_DEP_1)
	v_cndmask_b32_e64 v28, 0, v28, s2
	v_add_nc_u32_e32 v3, v3, v28
	s_delay_alu instid0(VALU_DEP_1) | instskip(NEXT) | instid1(VALU_DEP_1)
	v_mov_b32_dpp v28, v3 row_shr:8 row_mask:0xf bank_mask:0xf
	v_cndmask_b32_e64 v28, 0, v28, s3
	s_delay_alu instid0(VALU_DEP_1) | instskip(SKIP_3) | instid1(VALU_DEP_1)
	v_add_nc_u32_e32 v3, v3, v28
	ds_swizzle_b32 v28, v3 offset:swizzle(BROADCAST,32,15)
	s_waitcnt lgkmcnt(0)
	v_cndmask_b32_e64 v28, v28, 0, s4
	v_add_nc_u32_e32 v3, v3, v28
	s_and_saveexec_b32 s11, s10
	s_cbranch_execz .LBB153_62
; %bb.61:                               ;   in Loop: Header=BB153_2 Depth=1
	ds_store_b32 v21, v3
.LBB153_62:                             ;   in Loop: Header=BB153_2 Depth=1
	s_or_b32 exec_lo, exec_lo, s11
	s_waitcnt lgkmcnt(0)
	s_barrier
	buffer_gl0_inv
	s_and_saveexec_b32 s11, s5
	s_cbranch_execz .LBB153_64
; %bb.63:                               ;   in Loop: Header=BB153_2 Depth=1
	ds_load_b32 v28, v23
	s_waitcnt lgkmcnt(0)
	v_mov_b32_dpp v29, v28 row_shr:1 row_mask:0xf bank_mask:0xf
	s_delay_alu instid0(VALU_DEP_1) | instskip(NEXT) | instid1(VALU_DEP_1)
	v_cndmask_b32_e64 v29, v29, 0, s8
	v_add_nc_u32_e32 v28, v29, v28
	s_delay_alu instid0(VALU_DEP_1) | instskip(NEXT) | instid1(VALU_DEP_1)
	v_mov_b32_dpp v29, v28 row_shr:2 row_mask:0xf bank_mask:0xf
	v_cndmask_b32_e64 v29, 0, v29, s9
	s_delay_alu instid0(VALU_DEP_1)
	v_add_nc_u32_e32 v28, v28, v29
	ds_store_b32 v23, v28
.LBB153_64:                             ;   in Loop: Header=BB153_2 Depth=1
	s_or_b32 exec_lo, exec_lo, s11
	v_mov_b32_e32 v28, 0
	s_waitcnt lgkmcnt(0)
	s_barrier
	buffer_gl0_inv
	s_and_saveexec_b32 s11, s6
	s_cbranch_execz .LBB153_1
; %bb.65:                               ;   in Loop: Header=BB153_2 Depth=1
	ds_load_b32 v28, v24
	s_branch .LBB153_1
.LBB153_66:
	s_waitcnt lgkmcnt(0)
	v_add3_u32 v0, v13, v15, 0x80000000
	v_add3_u32 v1, v14, v16, 0x80000000
	v_lshlrev_b32_e32 v2, 3, v8
	s_add_u32 s0, s18, s14
	s_addc_u32 s1, s19, s15
	global_store_b64 v2, v[0:1], s[0:1]
	s_nop 0
	s_sendmsg sendmsg(MSG_DEALLOC_VGPRS)
	s_endpgm
	.section	.rodata,"a",@progbits
	.p2align	6, 0x0
	.amdhsa_kernel _Z17sort_pairs_kernelI22helper_blocked_blockedN15benchmark_utils11custom_typeIiiEELj128ELj1ELj10EEvPKT0_PS4_
		.amdhsa_group_segment_fixed_size 4112
		.amdhsa_private_segment_fixed_size 0
		.amdhsa_kernarg_size 272
		.amdhsa_user_sgpr_count 15
		.amdhsa_user_sgpr_dispatch_ptr 0
		.amdhsa_user_sgpr_queue_ptr 0
		.amdhsa_user_sgpr_kernarg_segment_ptr 1
		.amdhsa_user_sgpr_dispatch_id 0
		.amdhsa_user_sgpr_private_segment_size 0
		.amdhsa_wavefront_size32 1
		.amdhsa_uses_dynamic_stack 0
		.amdhsa_enable_private_segment 0
		.amdhsa_system_sgpr_workgroup_id_x 1
		.amdhsa_system_sgpr_workgroup_id_y 0
		.amdhsa_system_sgpr_workgroup_id_z 0
		.amdhsa_system_sgpr_workgroup_info 0
		.amdhsa_system_vgpr_workitem_id 2
		.amdhsa_next_free_vgpr 30
		.amdhsa_next_free_sgpr 23
		.amdhsa_reserve_vcc 1
		.amdhsa_float_round_mode_32 0
		.amdhsa_float_round_mode_16_64 0
		.amdhsa_float_denorm_mode_32 3
		.amdhsa_float_denorm_mode_16_64 3
		.amdhsa_dx10_clamp 1
		.amdhsa_ieee_mode 1
		.amdhsa_fp16_overflow 0
		.amdhsa_workgroup_processor_mode 1
		.amdhsa_memory_ordered 1
		.amdhsa_forward_progress 0
		.amdhsa_shared_vgpr_count 0
		.amdhsa_exception_fp_ieee_invalid_op 0
		.amdhsa_exception_fp_denorm_src 0
		.amdhsa_exception_fp_ieee_div_zero 0
		.amdhsa_exception_fp_ieee_overflow 0
		.amdhsa_exception_fp_ieee_underflow 0
		.amdhsa_exception_fp_ieee_inexact 0
		.amdhsa_exception_int_div_zero 0
	.end_amdhsa_kernel
	.section	.text._Z17sort_pairs_kernelI22helper_blocked_blockedN15benchmark_utils11custom_typeIiiEELj128ELj1ELj10EEvPKT0_PS4_,"axG",@progbits,_Z17sort_pairs_kernelI22helper_blocked_blockedN15benchmark_utils11custom_typeIiiEELj128ELj1ELj10EEvPKT0_PS4_,comdat
.Lfunc_end153:
	.size	_Z17sort_pairs_kernelI22helper_blocked_blockedN15benchmark_utils11custom_typeIiiEELj128ELj1ELj10EEvPKT0_PS4_, .Lfunc_end153-_Z17sort_pairs_kernelI22helper_blocked_blockedN15benchmark_utils11custom_typeIiiEELj128ELj1ELj10EEvPKT0_PS4_
                                        ; -- End function
	.section	.AMDGPU.csdata,"",@progbits
; Kernel info:
; codeLenInByte = 8320
; NumSgprs: 25
; NumVgprs: 30
; ScratchSize: 0
; MemoryBound: 0
; FloatMode: 240
; IeeeMode: 1
; LDSByteSize: 4112 bytes/workgroup (compile time only)
; SGPRBlocks: 3
; VGPRBlocks: 3
; NumSGPRsForWavesPerEU: 25
; NumVGPRsForWavesPerEU: 30
; Occupancy: 16
; WaveLimiterHint : 0
; COMPUTE_PGM_RSRC2:SCRATCH_EN: 0
; COMPUTE_PGM_RSRC2:USER_SGPR: 15
; COMPUTE_PGM_RSRC2:TRAP_HANDLER: 0
; COMPUTE_PGM_RSRC2:TGID_X_EN: 1
; COMPUTE_PGM_RSRC2:TGID_Y_EN: 0
; COMPUTE_PGM_RSRC2:TGID_Z_EN: 0
; COMPUTE_PGM_RSRC2:TIDIG_COMP_CNT: 2
	.section	.text._Z16sort_keys_kernelI22helper_blocked_blockedN15benchmark_utils11custom_typeIiiEELj128ELj3ELj10EEvPKT0_PS4_,"axG",@progbits,_Z16sort_keys_kernelI22helper_blocked_blockedN15benchmark_utils11custom_typeIiiEELj128ELj3ELj10EEvPKT0_PS4_,comdat
	.protected	_Z16sort_keys_kernelI22helper_blocked_blockedN15benchmark_utils11custom_typeIiiEELj128ELj3ELj10EEvPKT0_PS4_ ; -- Begin function _Z16sort_keys_kernelI22helper_blocked_blockedN15benchmark_utils11custom_typeIiiEELj128ELj3ELj10EEvPKT0_PS4_
	.globl	_Z16sort_keys_kernelI22helper_blocked_blockedN15benchmark_utils11custom_typeIiiEELj128ELj3ELj10EEvPKT0_PS4_
	.p2align	8
	.type	_Z16sort_keys_kernelI22helper_blocked_blockedN15benchmark_utils11custom_typeIiiEELj128ELj3ELj10EEvPKT0_PS4_,@function
_Z16sort_keys_kernelI22helper_blocked_blockedN15benchmark_utils11custom_typeIiiEELj128ELj3ELj10EEvPKT0_PS4_: ; @_Z16sort_keys_kernelI22helper_blocked_blockedN15benchmark_utils11custom_typeIiiEELj128ELj3ELj10EEvPKT0_PS4_
; %bb.0:
	s_clause 0x1
	s_load_b128 s[16:19], s[0:1], 0x0
	s_load_b32 s2, s[0:1], 0x1c
	s_mov_b32 s23, 0
	s_mul_i32 s22, s15, 0x180
	v_bfe_u32 v9, v0, 10, 10
	s_lshl_b64 s[20:21], s[22:23], 3
	s_mov_b32 s22, s23
	v_and_b32_e32 v8, 0x3ff, v0
	v_bfe_u32 v0, v0, 20, 10
	v_mbcnt_lo_u32_b32 v12, -1, 0
	s_mov_b32 s12, s23
	s_mov_b32 s13, s23
	v_lshlrev_b32_e32 v5, 3, v8
	s_delay_alu instid0(VALU_DEP_2)
	v_cmp_eq_u32_e64 s8, 0, v12
	s_waitcnt lgkmcnt(0)
	s_add_u32 s0, s16, s20
	s_addc_u32 s1, s17, s21
	s_clause 0x2
	global_load_b64 v[1:2], v5, s[0:1]
	global_load_b64 v[3:4], v5, s[0:1] offset:1024
	global_load_b64 v[5:6], v5, s[0:1] offset:2048
	s_lshr_b32 s0, s2, 16
	s_delay_alu instid0(SALU_CYCLE_1)
	v_mad_u32_u24 v0, v0, s0, v9
	s_and_b32 s0, s2, 0xffff
	s_delay_alu instid0(VALU_DEP_1) | instid1(SALU_CYCLE_1)
	v_mad_u64_u32 v[9:10], null, v0, s0, v[8:9]
	v_and_b32_e32 v10, 15, v12
	s_delay_alu instid0(VALU_DEP_1) | instskip(NEXT) | instid1(VALU_DEP_3)
	v_cmp_eq_u32_e64 s0, 0, v10
	v_lshrrev_b32_e32 v23, 5, v9
	v_add_nc_u32_e32 v9, -1, v12
	v_cmp_lt_u32_e64 s1, 1, v10
	v_cmp_lt_u32_e64 s2, 3, v10
	v_cmp_lt_u32_e64 s3, 7, v10
	s_delay_alu instid0(VALU_DEP_4) | instskip(SKIP_1) | instid1(VALU_DEP_1)
	v_cmp_gt_i32_e32 vcc_lo, 0, v9
	v_cndmask_b32_e32 v9, v9, v12, vcc_lo
	v_lshlrev_b32_e32 v24, 2, v9
	v_and_b32_e32 v9, 3, v12
	s_delay_alu instid0(VALU_DEP_1)
	v_cmp_eq_u32_e64 s10, 0, v9
	v_cmp_lt_u32_e64 s11, 1, v9
	v_mov_b32_e32 v9, s22
	v_lshrrev_b32_e32 v7, 5, v8
	v_lshlrev_b32_e32 v19, 5, v8
	v_cmp_gt_u32_e64 s6, 4, v8
	v_cmp_lt_u32_e64 s7, 31, v8
	v_cmp_eq_u32_e64 s9, 0, v8
	v_mul_u32_u24_e32 v11, 0x60, v7
	v_lshlrev_b32_e32 v25, 2, v7
	v_mad_i32_i24 v26, 0xffffffe4, v8, v19
	v_or_b32_e32 v22, 16, v19
	v_mov_b32_e32 v10, s23
	v_or_b32_e32 v0, v12, v11
	v_lshlrev_b32_e32 v13, 3, v11
	v_and_b32_e32 v11, 16, v12
	v_add_nc_u32_e32 v27, -4, v25
	s_delay_alu instid0(VALU_DEP_4) | instskip(SKIP_3) | instid1(VALU_DEP_3)
	v_lshlrev_b32_e32 v21, 3, v0
	v_and_b32_e32 v0, 0x60, v8
	v_mad_u32_u24 v20, v12, 24, v13
	v_cmp_eq_u32_e64 s4, 0, v11
	v_or_b32_e32 v13, 31, v0
	v_mul_u32_u24_e32 v0, 3, v0
	s_delay_alu instid0(VALU_DEP_2) | instskip(NEXT) | instid1(VALU_DEP_2)
	v_cmp_eq_u32_e64 s5, v13, v8
	v_or_b32_e32 v0, v12, v0
	v_dual_mov_b32 v11, s12 :: v_dual_mov_b32 v12, s13
	s_delay_alu instid0(VALU_DEP_2) | instskip(SKIP_1) | instid1(VALU_DEP_1)
	v_lshlrev_b32_e32 v28, 3, v0
	v_mul_u32_u24_e32 v0, 20, v8
	v_add_nc_u32_e32 v29, v26, v0
	s_branch .LBB154_2
.LBB154_1:                              ;   in Loop: Header=BB154_2 Depth=1
	s_barrier
	buffer_gl0_inv
	ds_store_b64 v6, v[13:14]
	ds_store_b64 v7, v[17:18]
	;; [unrolled: 1-line block ×3, first 2 shown]
	s_waitcnt lgkmcnt(0)
	s_barrier
	buffer_gl0_inv
	ds_load_2addr_b64 v[1:4], v29 offset1:1
	ds_load_b64 v[5:6], v29 offset:16
	s_add_i32 s23, s23, 1
	s_delay_alu instid0(SALU_CYCLE_1)
	s_cmp_eq_u32 s23, 10
	s_waitcnt lgkmcnt(1)
	v_xor_b32_e32 v1, 0x80000000, v1
	v_xor_b32_e32 v2, 0x80000000, v2
	;; [unrolled: 1-line block ×4, first 2 shown]
	s_waitcnt lgkmcnt(0)
	v_xor_b32_e32 v5, 0x80000000, v5
	v_xor_b32_e32 v6, 0x80000000, v6
	s_cbranch_scc1 .LBB154_18
.LBB154_2:                              ; =>This Loop Header: Depth=1
                                        ;     Child Loop BB154_4 Depth 2
	s_waitcnt vmcnt(2)
	v_xor_b32_e32 v2, 0x80000000, v2
	v_xor_b32_e32 v1, 0x80000000, v1
	s_waitcnt vmcnt(1)
	v_xor_b32_e32 v4, 0x80000000, v4
	v_xor_b32_e32 v3, 0x80000000, v3
	;; [unrolled: 3-line block ×3, first 2 shown]
	ds_store_2addr_b64 v20, v[1:2], v[3:4] offset1:1
	ds_store_b64 v20, v[5:6] offset:16
	; wave barrier
	ds_load_2addr_b64 v[0:3], v21 offset1:32
	ds_load_b64 v[4:5], v21 offset:512
	s_mov_b32 s15, 8
	s_mov_b32 s16, 32
	;; [unrolled: 1-line block ×3, first 2 shown]
	s_waitcnt lgkmcnt(0)
	s_barrier
	buffer_gl0_inv
	; wave barrier
	s_barrier
	s_branch .LBB154_4
.LBB154_3:                              ;   in Loop: Header=BB154_4 Depth=2
	s_barrier
	buffer_gl0_inv
	ds_store_b64 v6, v[13:14]
	ds_store_b64 v7, v[17:18]
	;; [unrolled: 1-line block ×3, first 2 shown]
	s_waitcnt lgkmcnt(0)
	s_barrier
	buffer_gl0_inv
	ds_load_2addr_b64 v[0:3], v28 offset1:32
	ds_load_b64 v[4:5], v28 offset:512
	s_add_i32 s16, s16, -8
	s_add_i32 s15, s15, 8
	s_add_i32 s17, s17, 8
	s_waitcnt lgkmcnt(0)
	s_barrier
	s_cbranch_execz .LBB154_1
.LBB154_4:                              ;   Parent Loop BB154_2 Depth=1
                                        ; =>  This Inner Loop Header: Depth=2
	s_min_i32 s13, s15, 32
	s_cmp_lt_u32 s17, 32
	v_dual_mov_b32 v14, v1 :: v_dual_mov_b32 v13, v0
	s_cselect_b32 vcc_lo, -1, 0
	s_cmp_gt_u32 s17, 24
	buffer_gl0_inv
	s_cselect_b32 s12, -1, 0
	s_sub_i32 s13, s13, 32
	v_lshrrev_b32_e32 v1, s17, v14
	s_add_i32 s14, s13, s16
	ds_store_2addr_b64 v19, v[9:10], v[11:12] offset0:2 offset1:3
	ds_store_2addr_b64 v22, v[9:10], v[11:12] offset0:2 offset1:3
	s_lshl_b32 s14, -1, s14
	s_waitcnt lgkmcnt(0)
	s_not_b32 s14, s14
	s_cmp_lg_u32 s13, s17
	s_barrier
	s_cselect_b32 s22, s14, -1
	s_max_i32 s24, s16, 0
	s_max_i32 s13, s17, 32
	v_and_b32_e32 v1, s22, v1
	s_sub_i32 s14, s13, s24
	s_sub_i32 s25, s13, 32
	;; [unrolled: 1-line block ×3, first 2 shown]
	v_lshrrev_b32_e32 v0, s25, v13
	s_min_i32 s13, s14, 32
	buffer_gl0_inv
	s_sub_i32 s13, s13, s25
	s_delay_alu instid0(SALU_CYCLE_1) | instskip(NEXT) | instid1(SALU_CYCLE_1)
	s_lshl_b32 s14, -1, s13
	; wave barrier
	s_not_b32 s14, s14
	s_cmp_lg_u32 s13, 32
	v_cndmask_b32_e32 v1, 0, v1, vcc_lo
	s_cselect_b32 s26, s14, -1
	s_delay_alu instid0(SALU_CYCLE_1) | instskip(NEXT) | instid1(VALU_DEP_1)
	v_and_b32_e32 v0, s26, v0
	v_lshlrev_b32_e32 v0, s24, v0
	s_delay_alu instid0(VALU_DEP_1) | instskip(NEXT) | instid1(VALU_DEP_1)
	v_cndmask_b32_e64 v0, 0, v0, s12
	v_or_b32_e32 v1, v1, v0
	s_delay_alu instid0(VALU_DEP_1)
	v_and_b32_e32 v0, 1, v1
	v_lshlrev_b32_e32 v6, 30, v1
	v_lshlrev_b32_e32 v7, 29, v1
	;; [unrolled: 1-line block ×4, first 2 shown]
	v_add_co_u32 v0, s13, v0, -1
	s_delay_alu instid0(VALU_DEP_1)
	v_cndmask_b32_e64 v16, 0, 1, s13
	v_not_b32_e32 v31, v6
	v_cmp_gt_i32_e64 s14, 0, v6
	v_not_b32_e32 v6, v7
	v_lshlrev_b32_e32 v18, 26, v1
	v_cmp_ne_u32_e64 s13, 0, v16
	v_ashrrev_i32_e32 v31, 31, v31
	v_lshlrev_b32_e32 v30, 25, v1
	v_ashrrev_i32_e32 v6, 31, v6
	v_lshlrev_b32_e32 v16, 24, v1
	v_xor_b32_e32 v0, s13, v0
	v_cmp_gt_i32_e64 s13, 0, v7
	v_not_b32_e32 v7, v15
	v_xor_b32_e32 v31, s14, v31
	v_cmp_gt_i32_e64 s14, 0, v15
	v_and_b32_e32 v0, exec_lo, v0
	v_not_b32_e32 v15, v17
	v_ashrrev_i32_e32 v7, 31, v7
	v_xor_b32_e32 v6, s13, v6
	v_cmp_gt_i32_e64 s13, 0, v17
	v_and_b32_e32 v0, v0, v31
	v_not_b32_e32 v17, v18
	v_ashrrev_i32_e32 v15, 31, v15
	v_xor_b32_e32 v7, s14, v7
	v_cmp_gt_i32_e64 s14, 0, v18
	v_and_b32_e32 v0, v0, v6
	v_not_b32_e32 v6, v30
	v_ashrrev_i32_e32 v17, 31, v17
	v_xor_b32_e32 v15, s13, v15
	v_cmp_gt_i32_e64 s13, 0, v30
	v_and_b32_e32 v0, v0, v7
	v_not_b32_e32 v7, v16
	v_ashrrev_i32_e32 v6, 31, v6
	v_xor_b32_e32 v17, s14, v17
	v_cmp_gt_i32_e64 s14, 0, v16
	v_and_b32_e32 v0, v0, v15
	v_mov_b32_e32 v16, v5
	v_ashrrev_i32_e32 v7, 31, v7
	v_xor_b32_e32 v6, s13, v6
	v_lshl_add_u32 v1, v1, 2, v23
	v_and_b32_e32 v0, v0, v17
	v_mov_b32_e32 v18, v3
	v_xor_b32_e32 v7, s14, v7
	v_mov_b32_e32 v17, v2
	v_mov_b32_e32 v15, v4
	v_and_b32_e32 v0, v0, v6
	v_lshl_add_u32 v31, v1, 2, 16
	s_delay_alu instid0(VALU_DEP_2) | instskip(NEXT) | instid1(VALU_DEP_1)
	v_and_b32_e32 v0, v0, v7
	v_mbcnt_lo_u32_b32 v30, v0, 0
	v_cmp_ne_u32_e64 s14, 0, v0
	s_delay_alu instid0(VALU_DEP_2) | instskip(NEXT) | instid1(VALU_DEP_1)
	v_cmp_eq_u32_e64 s13, 0, v30
	s_and_b32 s14, s13, s14
	s_delay_alu instid0(SALU_CYCLE_1)
	s_and_saveexec_b32 s13, s14
	s_cbranch_execz .LBB154_6
; %bb.5:                                ;   in Loop: Header=BB154_4 Depth=2
	v_bcnt_u32_b32 v0, v0, 0
	ds_store_b32 v31, v0
.LBB154_6:                              ;   in Loop: Header=BB154_4 Depth=2
	s_or_b32 exec_lo, exec_lo, s13
	v_lshrrev_b32_e32 v0, s25, v17
	v_lshrrev_b32_e32 v1, s17, v18
	; wave barrier
	s_delay_alu instid0(VALU_DEP_1) | instskip(NEXT) | instid1(VALU_DEP_1)
	v_and_b32_e32 v1, s22, v1
	v_dual_cndmask_b32 v1, 0, v1 :: v_dual_and_b32 v0, s26, v0
	s_delay_alu instid0(VALU_DEP_1) | instskip(NEXT) | instid1(VALU_DEP_1)
	v_lshlrev_b32_e32 v0, s24, v0
	v_cndmask_b32_e64 v0, 0, v0, s12
	s_delay_alu instid0(VALU_DEP_1) | instskip(NEXT) | instid1(VALU_DEP_1)
	v_or_b32_e32 v0, v1, v0
	v_and_b32_e32 v1, 1, v0
	v_lshlrev_b32_e32 v2, 30, v0
	v_lshlrev_b32_e32 v3, 29, v0
	;; [unrolled: 1-line block ×4, first 2 shown]
	v_add_co_u32 v1, s13, v1, -1
	s_delay_alu instid0(VALU_DEP_1)
	v_cndmask_b32_e64 v5, 0, 1, s13
	v_not_b32_e32 v33, v2
	v_cmp_gt_i32_e64 s14, 0, v2
	v_not_b32_e32 v2, v3
	v_lshlrev_b32_e32 v7, 26, v0
	v_cmp_ne_u32_e64 s13, 0, v5
	v_ashrrev_i32_e32 v33, 31, v33
	v_lshlrev_b32_e32 v32, 25, v0
	v_ashrrev_i32_e32 v2, 31, v2
	v_lshlrev_b32_e32 v5, 24, v0
	v_xor_b32_e32 v1, s13, v1
	v_cmp_gt_i32_e64 s13, 0, v3
	v_not_b32_e32 v3, v4
	v_xor_b32_e32 v33, s14, v33
	v_cmp_gt_i32_e64 s14, 0, v4
	v_and_b32_e32 v1, exec_lo, v1
	v_not_b32_e32 v4, v6
	v_ashrrev_i32_e32 v3, 31, v3
	v_xor_b32_e32 v2, s13, v2
	v_cmp_gt_i32_e64 s13, 0, v6
	v_and_b32_e32 v1, v1, v33
	v_not_b32_e32 v6, v7
	v_ashrrev_i32_e32 v4, 31, v4
	v_xor_b32_e32 v3, s14, v3
	v_cmp_gt_i32_e64 s14, 0, v7
	v_and_b32_e32 v1, v1, v2
	;; [unrolled: 5-line block ×3, first 2 shown]
	v_not_b32_e32 v3, v5
	v_ashrrev_i32_e32 v2, 31, v2
	v_xor_b32_e32 v6, s14, v6
	v_lshlrev_b32_e32 v0, 2, v0
	v_and_b32_e32 v1, v1, v4
	v_cmp_gt_i32_e64 s14, 0, v5
	v_ashrrev_i32_e32 v3, 31, v3
	v_xor_b32_e32 v2, s13, v2
	v_add_lshl_u32 v4, v0, v23, 2
	v_and_b32_e32 v1, v1, v6
	s_delay_alu instid0(VALU_DEP_4) | instskip(SKIP_3) | instid1(VALU_DEP_2)
	v_xor_b32_e32 v0, s14, v3
	ds_load_b32 v32, v4 offset:16
	v_and_b32_e32 v1, v1, v2
	v_add_nc_u32_e32 v34, 16, v4
	; wave barrier
	v_and_b32_e32 v0, v1, v0
	s_delay_alu instid0(VALU_DEP_1) | instskip(SKIP_1) | instid1(VALU_DEP_2)
	v_mbcnt_lo_u32_b32 v33, v0, 0
	v_cmp_ne_u32_e64 s14, 0, v0
	v_cmp_eq_u32_e64 s13, 0, v33
	s_delay_alu instid0(VALU_DEP_1) | instskip(NEXT) | instid1(SALU_CYCLE_1)
	s_and_b32 s14, s13, s14
	s_and_saveexec_b32 s13, s14
	s_cbranch_execz .LBB154_8
; %bb.7:                                ;   in Loop: Header=BB154_4 Depth=2
	s_waitcnt lgkmcnt(0)
	v_bcnt_u32_b32 v0, v0, v32
	ds_store_b32 v34, v0
.LBB154_8:                              ;   in Loop: Header=BB154_4 Depth=2
	s_or_b32 exec_lo, exec_lo, s13
	v_lshrrev_b32_e32 v0, s25, v15
	v_lshrrev_b32_e32 v1, s17, v16
	; wave barrier
	s_delay_alu instid0(VALU_DEP_1) | instskip(NEXT) | instid1(VALU_DEP_1)
	v_and_b32_e32 v1, s22, v1
	v_dual_cndmask_b32 v1, 0, v1 :: v_dual_and_b32 v0, s26, v0
	s_delay_alu instid0(VALU_DEP_1) | instskip(NEXT) | instid1(VALU_DEP_1)
	v_lshlrev_b32_e32 v0, s24, v0
	v_cndmask_b32_e64 v0, 0, v0, s12
	s_delay_alu instid0(VALU_DEP_1) | instskip(NEXT) | instid1(VALU_DEP_1)
	v_or_b32_e32 v0, v1, v0
	v_and_b32_e32 v1, 1, v0
	v_lshlrev_b32_e32 v2, 30, v0
	v_lshlrev_b32_e32 v3, 29, v0
	;; [unrolled: 1-line block ×4, first 2 shown]
	v_add_co_u32 v1, s12, v1, -1
	s_delay_alu instid0(VALU_DEP_1)
	v_cndmask_b32_e64 v5, 0, 1, s12
	v_not_b32_e32 v36, v2
	v_cmp_gt_i32_e64 s12, 0, v2
	v_not_b32_e32 v2, v3
	v_lshlrev_b32_e32 v7, 26, v0
	v_cmp_ne_u32_e32 vcc_lo, 0, v5
	v_ashrrev_i32_e32 v36, 31, v36
	v_lshlrev_b32_e32 v35, 25, v0
	v_ashrrev_i32_e32 v2, 31, v2
	v_lshlrev_b32_e32 v5, 24, v0
	v_xor_b32_e32 v1, vcc_lo, v1
	v_cmp_gt_i32_e32 vcc_lo, 0, v3
	v_not_b32_e32 v3, v4
	v_xor_b32_e32 v36, s12, v36
	v_cmp_gt_i32_e64 s12, 0, v4
	v_and_b32_e32 v1, exec_lo, v1
	v_not_b32_e32 v4, v6
	v_ashrrev_i32_e32 v3, 31, v3
	v_xor_b32_e32 v2, vcc_lo, v2
	v_cmp_gt_i32_e32 vcc_lo, 0, v6
	v_and_b32_e32 v1, v1, v36
	v_not_b32_e32 v6, v7
	v_ashrrev_i32_e32 v4, 31, v4
	v_xor_b32_e32 v3, s12, v3
	v_cmp_gt_i32_e64 s12, 0, v7
	v_and_b32_e32 v1, v1, v2
	v_not_b32_e32 v2, v35
	v_ashrrev_i32_e32 v6, 31, v6
	v_xor_b32_e32 v4, vcc_lo, v4
	v_cmp_gt_i32_e32 vcc_lo, 0, v35
	v_and_b32_e32 v1, v1, v3
	v_not_b32_e32 v3, v5
	v_ashrrev_i32_e32 v2, 31, v2
	v_xor_b32_e32 v6, s12, v6
	v_lshlrev_b32_e32 v0, 2, v0
	v_and_b32_e32 v1, v1, v4
	v_cmp_gt_i32_e64 s12, 0, v5
	v_ashrrev_i32_e32 v3, 31, v3
	v_xor_b32_e32 v2, vcc_lo, v2
	v_add_lshl_u32 v4, v0, v23, 2
	v_and_b32_e32 v1, v1, v6
	s_delay_alu instid0(VALU_DEP_4) | instskip(SKIP_3) | instid1(VALU_DEP_2)
	v_xor_b32_e32 v0, s12, v3
	ds_load_b32 v35, v4 offset:16
	v_and_b32_e32 v1, v1, v2
	v_add_nc_u32_e32 v37, 16, v4
	; wave barrier
	v_and_b32_e32 v0, v1, v0
	s_delay_alu instid0(VALU_DEP_1) | instskip(SKIP_1) | instid1(VALU_DEP_2)
	v_mbcnt_lo_u32_b32 v36, v0, 0
	v_cmp_ne_u32_e64 s12, 0, v0
	v_cmp_eq_u32_e32 vcc_lo, 0, v36
	s_delay_alu instid0(VALU_DEP_2) | instskip(NEXT) | instid1(SALU_CYCLE_1)
	s_and_b32 s13, vcc_lo, s12
	s_and_saveexec_b32 s12, s13
	s_cbranch_execz .LBB154_10
; %bb.9:                                ;   in Loop: Header=BB154_4 Depth=2
	s_waitcnt lgkmcnt(0)
	v_bcnt_u32_b32 v0, v0, v35
	ds_store_b32 v37, v0
.LBB154_10:                             ;   in Loop: Header=BB154_4 Depth=2
	s_or_b32 exec_lo, exec_lo, s12
	; wave barrier
	s_waitcnt lgkmcnt(0)
	s_barrier
	buffer_gl0_inv
	ds_load_2addr_b64 v[4:7], v19 offset0:2 offset1:3
	ds_load_2addr_b64 v[0:3], v22 offset0:2 offset1:3
	s_waitcnt lgkmcnt(1)
	v_add_nc_u32_e32 v38, v5, v4
	s_delay_alu instid0(VALU_DEP_1) | instskip(SKIP_1) | instid1(VALU_DEP_1)
	v_add3_u32 v38, v38, v6, v7
	s_waitcnt lgkmcnt(0)
	v_add3_u32 v38, v38, v0, v1
	s_delay_alu instid0(VALU_DEP_1) | instskip(NEXT) | instid1(VALU_DEP_1)
	v_add3_u32 v3, v38, v2, v3
	v_mov_b32_dpp v38, v3 row_shr:1 row_mask:0xf bank_mask:0xf
	s_delay_alu instid0(VALU_DEP_1) | instskip(NEXT) | instid1(VALU_DEP_1)
	v_cndmask_b32_e64 v38, v38, 0, s0
	v_add_nc_u32_e32 v3, v38, v3
	s_delay_alu instid0(VALU_DEP_1) | instskip(NEXT) | instid1(VALU_DEP_1)
	v_mov_b32_dpp v38, v3 row_shr:2 row_mask:0xf bank_mask:0xf
	v_cndmask_b32_e64 v38, 0, v38, s1
	s_delay_alu instid0(VALU_DEP_1) | instskip(NEXT) | instid1(VALU_DEP_1)
	v_add_nc_u32_e32 v3, v3, v38
	v_mov_b32_dpp v38, v3 row_shr:4 row_mask:0xf bank_mask:0xf
	s_delay_alu instid0(VALU_DEP_1) | instskip(NEXT) | instid1(VALU_DEP_1)
	v_cndmask_b32_e64 v38, 0, v38, s2
	v_add_nc_u32_e32 v3, v3, v38
	s_delay_alu instid0(VALU_DEP_1) | instskip(NEXT) | instid1(VALU_DEP_1)
	v_mov_b32_dpp v38, v3 row_shr:8 row_mask:0xf bank_mask:0xf
	v_cndmask_b32_e64 v38, 0, v38, s3
	s_delay_alu instid0(VALU_DEP_1) | instskip(SKIP_3) | instid1(VALU_DEP_1)
	v_add_nc_u32_e32 v3, v3, v38
	ds_swizzle_b32 v38, v3 offset:swizzle(BROADCAST,32,15)
	s_waitcnt lgkmcnt(0)
	v_cndmask_b32_e64 v38, v38, 0, s4
	v_add_nc_u32_e32 v3, v3, v38
	s_and_saveexec_b32 s12, s5
	s_cbranch_execz .LBB154_12
; %bb.11:                               ;   in Loop: Header=BB154_4 Depth=2
	ds_store_b32 v25, v3
.LBB154_12:                             ;   in Loop: Header=BB154_4 Depth=2
	s_or_b32 exec_lo, exec_lo, s12
	s_waitcnt lgkmcnt(0)
	s_barrier
	buffer_gl0_inv
	s_and_saveexec_b32 s12, s6
	s_cbranch_execz .LBB154_14
; %bb.13:                               ;   in Loop: Header=BB154_4 Depth=2
	ds_load_b32 v38, v26
	s_waitcnt lgkmcnt(0)
	v_mov_b32_dpp v39, v38 row_shr:1 row_mask:0xf bank_mask:0xf
	s_delay_alu instid0(VALU_DEP_1) | instskip(NEXT) | instid1(VALU_DEP_1)
	v_cndmask_b32_e64 v39, v39, 0, s10
	v_add_nc_u32_e32 v38, v39, v38
	s_delay_alu instid0(VALU_DEP_1) | instskip(NEXT) | instid1(VALU_DEP_1)
	v_mov_b32_dpp v39, v38 row_shr:2 row_mask:0xf bank_mask:0xf
	v_cndmask_b32_e64 v39, 0, v39, s11
	s_delay_alu instid0(VALU_DEP_1)
	v_add_nc_u32_e32 v38, v38, v39
	ds_store_b32 v26, v38
.LBB154_14:                             ;   in Loop: Header=BB154_4 Depth=2
	s_or_b32 exec_lo, exec_lo, s12
	v_mov_b32_e32 v38, 0
	s_waitcnt lgkmcnt(0)
	s_barrier
	buffer_gl0_inv
	s_and_saveexec_b32 s12, s7
	s_cbranch_execz .LBB154_16
; %bb.15:                               ;   in Loop: Header=BB154_4 Depth=2
	ds_load_b32 v38, v27
.LBB154_16:                             ;   in Loop: Header=BB154_4 Depth=2
	s_or_b32 exec_lo, exec_lo, s12
	s_waitcnt lgkmcnt(0)
	v_add_nc_u32_e32 v3, v38, v3
	s_cmp_gt_u32 s17, 55
	ds_bpermute_b32 v3, v24, v3
	s_waitcnt lgkmcnt(0)
	v_cndmask_b32_e64 v3, v3, v38, s8
	s_delay_alu instid0(VALU_DEP_1) | instskip(NEXT) | instid1(VALU_DEP_1)
	v_cndmask_b32_e64 v3, v3, 0, s9
	v_add_nc_u32_e32 v4, v3, v4
	s_delay_alu instid0(VALU_DEP_1) | instskip(NEXT) | instid1(VALU_DEP_1)
	v_add_nc_u32_e32 v5, v4, v5
	v_add_nc_u32_e32 v6, v5, v6
	s_delay_alu instid0(VALU_DEP_1) | instskip(NEXT) | instid1(VALU_DEP_1)
	v_add_nc_u32_e32 v38, v6, v7
	;; [unrolled: 3-line block ×3, first 2 shown]
	v_add_nc_u32_e32 v1, v0, v2
	ds_store_2addr_b64 v19, v[3:4], v[5:6] offset0:2 offset1:3
	ds_store_2addr_b64 v22, v[38:39], v[0:1] offset0:2 offset1:3
	s_waitcnt lgkmcnt(0)
	s_barrier
	buffer_gl0_inv
	ds_load_b32 v0, v34
	ds_load_b32 v1, v37
	ds_load_b32 v2, v31
	v_lshlrev_b32_e32 v3, 3, v30
	v_lshlrev_b32_e32 v4, 3, v33
	;; [unrolled: 1-line block ×5, first 2 shown]
	s_waitcnt lgkmcnt(0)
	v_lshlrev_b32_e32 v0, 3, v0
	v_lshlrev_b32_e32 v1, 3, v1
	v_lshl_add_u32 v6, v2, 3, v3
	s_delay_alu instid0(VALU_DEP_3) | instskip(NEXT) | instid1(VALU_DEP_3)
	v_add3_u32 v7, v4, v5, v0
	v_add3_u32 v30, v30, v31, v1
	s_cbranch_scc0 .LBB154_3
; %bb.17:                               ;   in Loop: Header=BB154_2 Depth=1
                                        ; implicit-def: $sgpr17
                                        ; implicit-def: $vgpr0_vgpr1
                                        ; implicit-def: $vgpr4_vgpr5
                                        ; implicit-def: $sgpr16
                                        ; implicit-def: $sgpr15
	s_branch .LBB154_1
.LBB154_18:
	v_lshlrev_b32_e32 v0, 3, v8
	s_add_u32 s0, s18, s20
	s_addc_u32 s1, s19, s21
	s_clause 0x2
	global_store_b64 v0, v[1:2], s[0:1]
	global_store_b64 v0, v[3:4], s[0:1] offset:1024
	global_store_b64 v0, v[5:6], s[0:1] offset:2048
	s_nop 0
	s_sendmsg sendmsg(MSG_DEALLOC_VGPRS)
	s_endpgm
	.section	.rodata,"a",@progbits
	.p2align	6, 0x0
	.amdhsa_kernel _Z16sort_keys_kernelI22helper_blocked_blockedN15benchmark_utils11custom_typeIiiEELj128ELj3ELj10EEvPKT0_PS4_
		.amdhsa_group_segment_fixed_size 4112
		.amdhsa_private_segment_fixed_size 0
		.amdhsa_kernarg_size 272
		.amdhsa_user_sgpr_count 15
		.amdhsa_user_sgpr_dispatch_ptr 0
		.amdhsa_user_sgpr_queue_ptr 0
		.amdhsa_user_sgpr_kernarg_segment_ptr 1
		.amdhsa_user_sgpr_dispatch_id 0
		.amdhsa_user_sgpr_private_segment_size 0
		.amdhsa_wavefront_size32 1
		.amdhsa_uses_dynamic_stack 0
		.amdhsa_enable_private_segment 0
		.amdhsa_system_sgpr_workgroup_id_x 1
		.amdhsa_system_sgpr_workgroup_id_y 0
		.amdhsa_system_sgpr_workgroup_id_z 0
		.amdhsa_system_sgpr_workgroup_info 0
		.amdhsa_system_vgpr_workitem_id 2
		.amdhsa_next_free_vgpr 40
		.amdhsa_next_free_sgpr 27
		.amdhsa_reserve_vcc 1
		.amdhsa_float_round_mode_32 0
		.amdhsa_float_round_mode_16_64 0
		.amdhsa_float_denorm_mode_32 3
		.amdhsa_float_denorm_mode_16_64 3
		.amdhsa_dx10_clamp 1
		.amdhsa_ieee_mode 1
		.amdhsa_fp16_overflow 0
		.amdhsa_workgroup_processor_mode 1
		.amdhsa_memory_ordered 1
		.amdhsa_forward_progress 0
		.amdhsa_shared_vgpr_count 0
		.amdhsa_exception_fp_ieee_invalid_op 0
		.amdhsa_exception_fp_denorm_src 0
		.amdhsa_exception_fp_ieee_div_zero 0
		.amdhsa_exception_fp_ieee_overflow 0
		.amdhsa_exception_fp_ieee_underflow 0
		.amdhsa_exception_fp_ieee_inexact 0
		.amdhsa_exception_int_div_zero 0
	.end_amdhsa_kernel
	.section	.text._Z16sort_keys_kernelI22helper_blocked_blockedN15benchmark_utils11custom_typeIiiEELj128ELj3ELj10EEvPKT0_PS4_,"axG",@progbits,_Z16sort_keys_kernelI22helper_blocked_blockedN15benchmark_utils11custom_typeIiiEELj128ELj3ELj10EEvPKT0_PS4_,comdat
.Lfunc_end154:
	.size	_Z16sort_keys_kernelI22helper_blocked_blockedN15benchmark_utils11custom_typeIiiEELj128ELj3ELj10EEvPKT0_PS4_, .Lfunc_end154-_Z16sort_keys_kernelI22helper_blocked_blockedN15benchmark_utils11custom_typeIiiEELj128ELj3ELj10EEvPKT0_PS4_
                                        ; -- End function
	.section	.AMDGPU.csdata,"",@progbits
; Kernel info:
; codeLenInByte = 2676
; NumSgprs: 29
; NumVgprs: 40
; ScratchSize: 0
; MemoryBound: 0
; FloatMode: 240
; IeeeMode: 1
; LDSByteSize: 4112 bytes/workgroup (compile time only)
; SGPRBlocks: 3
; VGPRBlocks: 4
; NumSGPRsForWavesPerEU: 29
; NumVGPRsForWavesPerEU: 40
; Occupancy: 16
; WaveLimiterHint : 1
; COMPUTE_PGM_RSRC2:SCRATCH_EN: 0
; COMPUTE_PGM_RSRC2:USER_SGPR: 15
; COMPUTE_PGM_RSRC2:TRAP_HANDLER: 0
; COMPUTE_PGM_RSRC2:TGID_X_EN: 1
; COMPUTE_PGM_RSRC2:TGID_Y_EN: 0
; COMPUTE_PGM_RSRC2:TGID_Z_EN: 0
; COMPUTE_PGM_RSRC2:TIDIG_COMP_CNT: 2
	.section	.text._Z17sort_pairs_kernelI22helper_blocked_blockedN15benchmark_utils11custom_typeIiiEELj128ELj3ELj10EEvPKT0_PS4_,"axG",@progbits,_Z17sort_pairs_kernelI22helper_blocked_blockedN15benchmark_utils11custom_typeIiiEELj128ELj3ELj10EEvPKT0_PS4_,comdat
	.protected	_Z17sort_pairs_kernelI22helper_blocked_blockedN15benchmark_utils11custom_typeIiiEELj128ELj3ELj10EEvPKT0_PS4_ ; -- Begin function _Z17sort_pairs_kernelI22helper_blocked_blockedN15benchmark_utils11custom_typeIiiEELj128ELj3ELj10EEvPKT0_PS4_
	.globl	_Z17sort_pairs_kernelI22helper_blocked_blockedN15benchmark_utils11custom_typeIiiEELj128ELj3ELj10EEvPKT0_PS4_
	.p2align	8
	.type	_Z17sort_pairs_kernelI22helper_blocked_blockedN15benchmark_utils11custom_typeIiiEELj128ELj3ELj10EEvPKT0_PS4_,@function
_Z17sort_pairs_kernelI22helper_blocked_blockedN15benchmark_utils11custom_typeIiiEELj128ELj3ELj10EEvPKT0_PS4_: ; @_Z17sort_pairs_kernelI22helper_blocked_blockedN15benchmark_utils11custom_typeIiiEELj128ELj3ELj10EEvPKT0_PS4_
; %bb.0:
	s_clause 0x1
	s_load_b128 s[16:19], s[0:1], 0x0
	s_load_b32 s11, s[0:1], 0x1c
	s_mov_b32 s23, 0
	s_mul_i32 s22, s15, 0x180
	v_mbcnt_lo_u32_b32 v5, -1, 0
	s_lshl_b64 s[20:21], s[22:23], 3
	s_mov_b32 s22, s23
	s_delay_alu instid0(SALU_CYCLE_1) | instskip(NEXT) | instid1(VALU_DEP_2)
	v_dual_mov_b32 v9, s22 :: v_dual_and_b32 v8, 0x3ff, v0
	v_dual_mov_b32 v10, s23 :: v_dual_and_b32 v11, 3, v5
	s_mov_b32 s12, s23
	s_delay_alu instid0(VALU_DEP_2)
	v_lshlrev_b32_e32 v3, 3, v8
	v_lshrrev_b32_e32 v12, 5, v8
	s_mov_b32 s13, s23
	v_cmp_eq_u32_e64 s9, 0, v11
	v_cmp_lt_u32_e64 s10, 1, v11
	v_add_nc_u32_e32 v7, -1, v5
	v_mul_u32_u24_e32 v11, 0x60, v12
	v_lshlrev_b32_e32 v32, 2, v12
	s_waitcnt lgkmcnt(0)
	s_add_u32 s0, s16, s20
	s_addc_u32 s1, s17, s21
	v_and_b32_e32 v4, 15, v5
	s_clause 0x2
	global_load_b64 v[1:2], v3, s[0:1]
	global_load_b64 v[15:16], v3, s[0:1] offset:1024
	global_load_b64 v[13:14], v3, s[0:1] offset:2048
	v_lshlrev_b32_e32 v12, 3, v11
	v_or_b32_e32 v11, v5, v11
	v_and_b32_e32 v6, 16, v5
	v_bfe_u32 v3, v0, 10, 10
	v_bfe_u32 v0, v0, 20, 10
	v_mad_u32_u24 v36, v5, 24, v12
	v_lshlrev_b32_e32 v37, 3, v11
	v_dual_mov_b32 v11, s12 :: v_dual_mov_b32 v12, s13
	v_cmp_gt_i32_e32 vcc_lo, 0, v7
	v_lshlrev_b32_e32 v29, 5, v8
	v_cmp_eq_u32_e64 s1, 0, v4
	v_cmp_lt_u32_e64 s2, 1, v4
	v_cmp_lt_u32_e64 s3, 3, v4
	;; [unrolled: 1-line block ×3, first 2 shown]
	v_cmp_eq_u32_e64 s5, 0, v6
	v_cndmask_b32_e32 v6, v7, v5, vcc_lo
	v_and_b32_e32 v4, 0x60, v8
	s_lshr_b32 s14, s11, 16
	s_and_b32 s11, s11, 0xffff
	v_mad_u32_u24 v0, v0, s14, v3
	v_lshlrev_b32_e32 v31, 2, v6
	v_mul_u32_u24_e32 v6, 3, v4
	v_or_b32_e32 v17, 31, v4
	v_mul_u32_u24_e32 v7, 20, v8
	v_mad_u64_u32 v[3:4], null, v0, s11, v[8:9]
	v_mad_i32_i24 v33, 0xffffffe4, v8, v29
	v_or_b32_e32 v0, v5, v6
	v_cmp_eq_u32_e64 s0, 0, v5
	v_cmp_gt_u32_e64 s6, 4, v8
	v_cmp_lt_u32_e64 s7, 31, v8
	v_cmp_eq_u32_e64 s8, 0, v8
	v_or_b32_e32 v30, 16, v29
	v_cmp_eq_u32_e64 s11, v17, v8
	v_add_nc_u32_e32 v34, -4, v32
	v_add_nc_u32_e32 v35, v33, v7
	v_lshlrev_b32_e32 v38, 3, v0
	v_lshrrev_b32_e32 v39, 5, v3
	s_waitcnt vmcnt(2)
	v_add_nc_u32_e32 v5, 1, v2
	v_add_nc_u32_e32 v4, 1, v1
	s_waitcnt vmcnt(1)
	v_add_nc_u32_e32 v7, 1, v16
	v_add_nc_u32_e32 v6, 1, v15
	;; [unrolled: 3-line block ×3, first 2 shown]
	s_branch .LBB155_2
.LBB155_1:                              ;   in Loop: Header=BB155_2 Depth=1
	s_barrier
	buffer_gl0_inv
	ds_store_b64 v40, v[13:14]
	ds_store_b64 v41, v[23:24]
	;; [unrolled: 1-line block ×3, first 2 shown]
	s_waitcnt lgkmcnt(0)
	s_barrier
	buffer_gl0_inv
	ds_load_2addr_b64 v[21:24], v35 offset1:1
	ds_load_b64 v[13:14], v35 offset:16
	s_waitcnt lgkmcnt(0)
	s_barrier
	buffer_gl0_inv
	ds_store_b64 v40, v[17:18]
	ds_store_b64 v41, v[15:16]
	;; [unrolled: 1-line block ×3, first 2 shown]
	s_waitcnt lgkmcnt(0)
	s_barrier
	buffer_gl0_inv
	ds_load_2addr_b64 v[4:7], v35 offset1:1
	ds_load_b64 v[17:18], v35 offset:16
	s_add_i32 s23, s23, 1
	s_delay_alu instid0(SALU_CYCLE_1)
	s_cmp_lg_u32 s23, 10
	v_xor_b32_e32 v1, 0x80000000, v21
	v_xor_b32_e32 v2, 0x80000000, v22
	;; [unrolled: 1-line block ×6, first 2 shown]
	s_cbranch_scc0 .LBB155_18
.LBB155_2:                              ; =>This Loop Header: Depth=1
                                        ;     Child Loop BB155_4 Depth 2
	v_xor_b32_e32 v2, 0x80000000, v2
	v_xor_b32_e32 v1, 0x80000000, v1
	;; [unrolled: 1-line block ×6, first 2 shown]
	ds_store_2addr_b64 v36, v[1:2], v[15:16] offset1:1
	ds_store_b64 v36, v[13:14] offset:16
	; wave barrier
	ds_load_2addr_b64 v[0:3], v37 offset1:32
	ds_load_b64 v[25:26], v37 offset:512
	; wave barrier
	s_waitcnt lgkmcnt(5)
	ds_store_2addr_b64 v36, v[4:5], v[6:7] offset1:1
	s_waitcnt lgkmcnt(5)
	ds_store_b64 v36, v[17:18] offset:16
	; wave barrier
	ds_load_2addr_b64 v[4:7], v37 offset1:32
	ds_load_b64 v[27:28], v37 offset:512
	s_mov_b32 s15, 8
	s_mov_b32 s16, 32
	;; [unrolled: 1-line block ×3, first 2 shown]
	s_waitcnt lgkmcnt(0)
	s_barrier
	s_branch .LBB155_4
.LBB155_3:                              ;   in Loop: Header=BB155_4 Depth=2
	s_barrier
	buffer_gl0_inv
	ds_store_b64 v40, v[13:14]
	ds_store_b64 v41, v[23:24]
	;; [unrolled: 1-line block ×3, first 2 shown]
	s_waitcnt lgkmcnt(0)
	s_barrier
	buffer_gl0_inv
	ds_load_2addr_b64 v[0:3], v38 offset1:32
	ds_load_b64 v[25:26], v38 offset:512
	s_waitcnt lgkmcnt(0)
	s_barrier
	buffer_gl0_inv
	ds_store_b64 v40, v[17:18]
	ds_store_b64 v41, v[15:16]
	;; [unrolled: 1-line block ×3, first 2 shown]
	s_waitcnt lgkmcnt(0)
	s_barrier
	buffer_gl0_inv
	ds_load_2addr_b64 v[4:7], v38 offset1:32
	ds_load_b64 v[27:28], v38 offset:512
	s_add_i32 s16, s16, -8
	s_add_i32 s15, s15, 8
	s_add_i32 s17, s17, 8
	s_waitcnt lgkmcnt(0)
	s_barrier
	s_cbranch_execz .LBB155_1
.LBB155_4:                              ;   Parent Loop BB155_2 Depth=1
                                        ; =>  This Inner Loop Header: Depth=2
	s_min_i32 s13, s15, 32
	s_cmp_lt_u32 s17, 32
	v_dual_mov_b32 v14, v1 :: v_dual_mov_b32 v13, v0
	s_cselect_b32 vcc_lo, -1, 0
	s_cmp_gt_u32 s17, 24
	buffer_gl0_inv
	s_cselect_b32 s12, -1, 0
	s_sub_i32 s13, s13, 32
	v_lshrrev_b32_e32 v1, s17, v14
	s_add_i32 s14, s13, s16
	ds_store_2addr_b64 v29, v[9:10], v[11:12] offset0:2 offset1:3
	ds_store_2addr_b64 v30, v[9:10], v[11:12] offset0:2 offset1:3
	s_lshl_b32 s14, -1, s14
	s_waitcnt lgkmcnt(0)
	s_not_b32 s14, s14
	s_cmp_lg_u32 s13, s17
	s_barrier
	s_cselect_b32 s22, s14, -1
	s_max_i32 s24, s16, 0
	s_max_i32 s13, s17, 32
	v_and_b32_e32 v1, s22, v1
	s_sub_i32 s14, s13, s24
	s_sub_i32 s25, s13, 32
	;; [unrolled: 1-line block ×3, first 2 shown]
	v_lshrrev_b32_e32 v0, s25, v13
	s_min_i32 s13, s14, 32
	buffer_gl0_inv
	s_sub_i32 s13, s13, s25
	s_delay_alu instid0(SALU_CYCLE_1) | instskip(NEXT) | instid1(SALU_CYCLE_1)
	s_lshl_b32 s14, -1, s13
	; wave barrier
	s_not_b32 s14, s14
	s_cmp_lg_u32 s13, 32
	v_cndmask_b32_e32 v1, 0, v1, vcc_lo
	s_cselect_b32 s26, s14, -1
	v_mov_b32_e32 v24, v3
	v_dual_mov_b32 v23, v2 :: v_dual_and_b32 v0, s26, v0
	s_delay_alu instid0(VALU_DEP_1) | instskip(NEXT) | instid1(VALU_DEP_1)
	v_lshlrev_b32_e32 v0, s24, v0
	v_cndmask_b32_e64 v0, 0, v0, s12
	s_delay_alu instid0(VALU_DEP_1) | instskip(NEXT) | instid1(VALU_DEP_1)
	v_or_b32_e32 v1, v1, v0
	v_and_b32_e32 v0, 1, v1
	v_lshlrev_b32_e32 v15, 30, v1
	v_lshlrev_b32_e32 v16, 29, v1
	;; [unrolled: 1-line block ×4, first 2 shown]
	v_add_co_u32 v0, s13, v0, -1
	s_delay_alu instid0(VALU_DEP_1)
	v_cndmask_b32_e64 v18, 0, 1, s13
	v_not_b32_e32 v22, v15
	v_cmp_gt_i32_e64 s14, 0, v15
	v_not_b32_e32 v15, v16
	v_lshlrev_b32_e32 v20, 26, v1
	v_cmp_ne_u32_e64 s13, 0, v18
	v_ashrrev_i32_e32 v22, 31, v22
	v_lshlrev_b32_e32 v21, 25, v1
	v_ashrrev_i32_e32 v15, 31, v15
	v_lshlrev_b32_e32 v18, 24, v1
	v_xor_b32_e32 v0, s13, v0
	v_cmp_gt_i32_e64 s13, 0, v16
	v_not_b32_e32 v16, v17
	v_xor_b32_e32 v22, s14, v22
	v_cmp_gt_i32_e64 s14, 0, v17
	v_and_b32_e32 v0, exec_lo, v0
	v_not_b32_e32 v17, v19
	v_ashrrev_i32_e32 v16, 31, v16
	v_xor_b32_e32 v15, s13, v15
	v_cmp_gt_i32_e64 s13, 0, v19
	v_and_b32_e32 v0, v0, v22
	v_not_b32_e32 v19, v20
	v_ashrrev_i32_e32 v17, 31, v17
	v_xor_b32_e32 v16, s14, v16
	v_cmp_gt_i32_e64 s14, 0, v20
	v_and_b32_e32 v0, v0, v15
	v_not_b32_e32 v15, v21
	v_ashrrev_i32_e32 v19, 31, v19
	v_xor_b32_e32 v17, s13, v17
	v_cmp_gt_i32_e64 s13, 0, v21
	v_dual_mov_b32 v21, v25 :: v_dual_and_b32 v0, v0, v16
	v_not_b32_e32 v16, v18
	v_ashrrev_i32_e32 v15, 31, v15
	v_xor_b32_e32 v19, s14, v19
	v_cmp_gt_i32_e64 s14, 0, v18
	v_and_b32_e32 v0, v0, v17
	v_ashrrev_i32_e32 v16, 31, v16
	v_xor_b32_e32 v15, s13, v15
	v_mov_b32_e32 v22, v26
	v_lshl_add_u32 v1, v1, 2, v39
	v_and_b32_e32 v0, v0, v19
	v_xor_b32_e32 v19, s14, v16
	v_dual_mov_b32 v18, v5 :: v_dual_mov_b32 v17, v4
	s_delay_alu instid0(VALU_DEP_4) | instskip(NEXT) | instid1(VALU_DEP_4)
	v_lshl_add_u32 v26, v1, 2, 16
	v_and_b32_e32 v0, v0, v15
	v_dual_mov_b32 v16, v7 :: v_dual_mov_b32 v15, v6
	s_delay_alu instid0(VALU_DEP_2) | instskip(SKIP_1) | instid1(VALU_DEP_2)
	v_dual_mov_b32 v19, v27 :: v_dual_and_b32 v0, v0, v19
	v_mov_b32_e32 v20, v28
	v_mbcnt_lo_u32_b32 v25, v0, 0
	v_cmp_ne_u32_e64 s14, 0, v0
	s_delay_alu instid0(VALU_DEP_2) | instskip(NEXT) | instid1(VALU_DEP_1)
	v_cmp_eq_u32_e64 s13, 0, v25
	s_and_b32 s14, s13, s14
	s_delay_alu instid0(SALU_CYCLE_1)
	s_and_saveexec_b32 s13, s14
	s_cbranch_execz .LBB155_6
; %bb.5:                                ;   in Loop: Header=BB155_4 Depth=2
	v_bcnt_u32_b32 v0, v0, 0
	ds_store_b32 v26, v0
.LBB155_6:                              ;   in Loop: Header=BB155_4 Depth=2
	s_or_b32 exec_lo, exec_lo, s13
	v_lshrrev_b32_e32 v0, s25, v23
	v_lshrrev_b32_e32 v1, s17, v24
	; wave barrier
	s_delay_alu instid0(VALU_DEP_1) | instskip(NEXT) | instid1(VALU_DEP_1)
	v_and_b32_e32 v1, s22, v1
	v_dual_cndmask_b32 v1, 0, v1 :: v_dual_and_b32 v0, s26, v0
	s_delay_alu instid0(VALU_DEP_1) | instskip(NEXT) | instid1(VALU_DEP_1)
	v_lshlrev_b32_e32 v0, s24, v0
	v_cndmask_b32_e64 v0, 0, v0, s12
	s_delay_alu instid0(VALU_DEP_1) | instskip(NEXT) | instid1(VALU_DEP_1)
	v_or_b32_e32 v0, v1, v0
	v_and_b32_e32 v1, 1, v0
	v_lshlrev_b32_e32 v2, 30, v0
	v_lshlrev_b32_e32 v3, 29, v0
	;; [unrolled: 1-line block ×4, first 2 shown]
	v_add_co_u32 v1, s13, v1, -1
	s_delay_alu instid0(VALU_DEP_1)
	v_cndmask_b32_e64 v5, 0, 1, s13
	v_not_b32_e32 v28, v2
	v_cmp_gt_i32_e64 s14, 0, v2
	v_not_b32_e32 v2, v3
	v_lshlrev_b32_e32 v7, 26, v0
	v_cmp_ne_u32_e64 s13, 0, v5
	v_ashrrev_i32_e32 v28, 31, v28
	v_lshlrev_b32_e32 v27, 25, v0
	v_ashrrev_i32_e32 v2, 31, v2
	v_lshlrev_b32_e32 v5, 24, v0
	v_xor_b32_e32 v1, s13, v1
	v_cmp_gt_i32_e64 s13, 0, v3
	v_not_b32_e32 v3, v4
	v_xor_b32_e32 v28, s14, v28
	v_cmp_gt_i32_e64 s14, 0, v4
	v_and_b32_e32 v1, exec_lo, v1
	v_not_b32_e32 v4, v6
	v_ashrrev_i32_e32 v3, 31, v3
	v_xor_b32_e32 v2, s13, v2
	v_cmp_gt_i32_e64 s13, 0, v6
	v_and_b32_e32 v1, v1, v28
	v_not_b32_e32 v6, v7
	v_ashrrev_i32_e32 v4, 31, v4
	v_xor_b32_e32 v3, s14, v3
	v_cmp_gt_i32_e64 s14, 0, v7
	v_and_b32_e32 v1, v1, v2
	;; [unrolled: 5-line block ×3, first 2 shown]
	v_not_b32_e32 v3, v5
	v_ashrrev_i32_e32 v2, 31, v2
	v_xor_b32_e32 v6, s14, v6
	v_lshlrev_b32_e32 v0, 2, v0
	v_and_b32_e32 v1, v1, v4
	v_cmp_gt_i32_e64 s14, 0, v5
	v_ashrrev_i32_e32 v3, 31, v3
	v_xor_b32_e32 v2, s13, v2
	v_add_lshl_u32 v4, v0, v39, 2
	v_and_b32_e32 v1, v1, v6
	s_delay_alu instid0(VALU_DEP_4) | instskip(SKIP_3) | instid1(VALU_DEP_2)
	v_xor_b32_e32 v0, s14, v3
	ds_load_b32 v27, v4 offset:16
	v_and_b32_e32 v1, v1, v2
	v_add_nc_u32_e32 v40, 16, v4
	; wave barrier
	v_and_b32_e32 v0, v1, v0
	s_delay_alu instid0(VALU_DEP_1) | instskip(SKIP_1) | instid1(VALU_DEP_2)
	v_mbcnt_lo_u32_b32 v28, v0, 0
	v_cmp_ne_u32_e64 s14, 0, v0
	v_cmp_eq_u32_e64 s13, 0, v28
	s_delay_alu instid0(VALU_DEP_1) | instskip(NEXT) | instid1(SALU_CYCLE_1)
	s_and_b32 s14, s13, s14
	s_and_saveexec_b32 s13, s14
	s_cbranch_execz .LBB155_8
; %bb.7:                                ;   in Loop: Header=BB155_4 Depth=2
	s_waitcnt lgkmcnt(0)
	v_bcnt_u32_b32 v0, v0, v27
	ds_store_b32 v40, v0
.LBB155_8:                              ;   in Loop: Header=BB155_4 Depth=2
	s_or_b32 exec_lo, exec_lo, s13
	v_lshrrev_b32_e32 v0, s25, v21
	v_lshrrev_b32_e32 v1, s17, v22
	; wave barrier
	s_delay_alu instid0(VALU_DEP_1) | instskip(NEXT) | instid1(VALU_DEP_1)
	v_and_b32_e32 v1, s22, v1
	v_dual_cndmask_b32 v1, 0, v1 :: v_dual_and_b32 v0, s26, v0
	s_delay_alu instid0(VALU_DEP_1) | instskip(NEXT) | instid1(VALU_DEP_1)
	v_lshlrev_b32_e32 v0, s24, v0
	v_cndmask_b32_e64 v0, 0, v0, s12
	s_delay_alu instid0(VALU_DEP_1) | instskip(NEXT) | instid1(VALU_DEP_1)
	v_or_b32_e32 v0, v1, v0
	v_and_b32_e32 v1, 1, v0
	v_lshlrev_b32_e32 v2, 30, v0
	v_lshlrev_b32_e32 v3, 29, v0
	;; [unrolled: 1-line block ×4, first 2 shown]
	v_add_co_u32 v1, s12, v1, -1
	s_delay_alu instid0(VALU_DEP_1)
	v_cndmask_b32_e64 v5, 0, 1, s12
	v_not_b32_e32 v42, v2
	v_cmp_gt_i32_e64 s12, 0, v2
	v_not_b32_e32 v2, v3
	v_lshlrev_b32_e32 v7, 26, v0
	v_cmp_ne_u32_e32 vcc_lo, 0, v5
	v_ashrrev_i32_e32 v42, 31, v42
	v_lshlrev_b32_e32 v41, 25, v0
	v_ashrrev_i32_e32 v2, 31, v2
	v_lshlrev_b32_e32 v5, 24, v0
	v_xor_b32_e32 v1, vcc_lo, v1
	v_cmp_gt_i32_e32 vcc_lo, 0, v3
	v_not_b32_e32 v3, v4
	v_xor_b32_e32 v42, s12, v42
	v_cmp_gt_i32_e64 s12, 0, v4
	v_and_b32_e32 v1, exec_lo, v1
	v_not_b32_e32 v4, v6
	v_ashrrev_i32_e32 v3, 31, v3
	v_xor_b32_e32 v2, vcc_lo, v2
	v_cmp_gt_i32_e32 vcc_lo, 0, v6
	v_and_b32_e32 v1, v1, v42
	v_not_b32_e32 v6, v7
	v_ashrrev_i32_e32 v4, 31, v4
	v_xor_b32_e32 v3, s12, v3
	v_cmp_gt_i32_e64 s12, 0, v7
	v_and_b32_e32 v1, v1, v2
	v_not_b32_e32 v2, v41
	v_ashrrev_i32_e32 v6, 31, v6
	v_xor_b32_e32 v4, vcc_lo, v4
	v_cmp_gt_i32_e32 vcc_lo, 0, v41
	v_and_b32_e32 v1, v1, v3
	v_not_b32_e32 v3, v5
	v_ashrrev_i32_e32 v2, 31, v2
	v_xor_b32_e32 v6, s12, v6
	v_lshlrev_b32_e32 v0, 2, v0
	v_and_b32_e32 v1, v1, v4
	v_cmp_gt_i32_e64 s12, 0, v5
	v_ashrrev_i32_e32 v3, 31, v3
	v_xor_b32_e32 v2, vcc_lo, v2
	v_add_lshl_u32 v4, v0, v39, 2
	v_and_b32_e32 v1, v1, v6
	s_delay_alu instid0(VALU_DEP_4) | instskip(SKIP_3) | instid1(VALU_DEP_2)
	v_xor_b32_e32 v0, s12, v3
	ds_load_b32 v41, v4 offset:16
	v_and_b32_e32 v1, v1, v2
	v_add_nc_u32_e32 v43, 16, v4
	; wave barrier
	v_and_b32_e32 v0, v1, v0
	s_delay_alu instid0(VALU_DEP_1) | instskip(SKIP_1) | instid1(VALU_DEP_2)
	v_mbcnt_lo_u32_b32 v42, v0, 0
	v_cmp_ne_u32_e64 s12, 0, v0
	v_cmp_eq_u32_e32 vcc_lo, 0, v42
	s_delay_alu instid0(VALU_DEP_2) | instskip(NEXT) | instid1(SALU_CYCLE_1)
	s_and_b32 s13, vcc_lo, s12
	s_and_saveexec_b32 s12, s13
	s_cbranch_execz .LBB155_10
; %bb.9:                                ;   in Loop: Header=BB155_4 Depth=2
	s_waitcnt lgkmcnt(0)
	v_bcnt_u32_b32 v0, v0, v41
	ds_store_b32 v43, v0
.LBB155_10:                             ;   in Loop: Header=BB155_4 Depth=2
	s_or_b32 exec_lo, exec_lo, s12
	; wave barrier
	s_waitcnt lgkmcnt(0)
	s_barrier
	buffer_gl0_inv
	ds_load_2addr_b64 v[4:7], v29 offset0:2 offset1:3
	ds_load_2addr_b64 v[0:3], v30 offset0:2 offset1:3
	s_waitcnt lgkmcnt(1)
	v_add_nc_u32_e32 v44, v5, v4
	s_delay_alu instid0(VALU_DEP_1) | instskip(SKIP_1) | instid1(VALU_DEP_1)
	v_add3_u32 v44, v44, v6, v7
	s_waitcnt lgkmcnt(0)
	v_add3_u32 v44, v44, v0, v1
	s_delay_alu instid0(VALU_DEP_1) | instskip(NEXT) | instid1(VALU_DEP_1)
	v_add3_u32 v3, v44, v2, v3
	v_mov_b32_dpp v44, v3 row_shr:1 row_mask:0xf bank_mask:0xf
	s_delay_alu instid0(VALU_DEP_1) | instskip(NEXT) | instid1(VALU_DEP_1)
	v_cndmask_b32_e64 v44, v44, 0, s1
	v_add_nc_u32_e32 v3, v44, v3
	s_delay_alu instid0(VALU_DEP_1) | instskip(NEXT) | instid1(VALU_DEP_1)
	v_mov_b32_dpp v44, v3 row_shr:2 row_mask:0xf bank_mask:0xf
	v_cndmask_b32_e64 v44, 0, v44, s2
	s_delay_alu instid0(VALU_DEP_1) | instskip(NEXT) | instid1(VALU_DEP_1)
	v_add_nc_u32_e32 v3, v3, v44
	v_mov_b32_dpp v44, v3 row_shr:4 row_mask:0xf bank_mask:0xf
	s_delay_alu instid0(VALU_DEP_1) | instskip(NEXT) | instid1(VALU_DEP_1)
	v_cndmask_b32_e64 v44, 0, v44, s3
	v_add_nc_u32_e32 v3, v3, v44
	s_delay_alu instid0(VALU_DEP_1) | instskip(NEXT) | instid1(VALU_DEP_1)
	v_mov_b32_dpp v44, v3 row_shr:8 row_mask:0xf bank_mask:0xf
	v_cndmask_b32_e64 v44, 0, v44, s4
	s_delay_alu instid0(VALU_DEP_1) | instskip(SKIP_3) | instid1(VALU_DEP_1)
	v_add_nc_u32_e32 v3, v3, v44
	ds_swizzle_b32 v44, v3 offset:swizzle(BROADCAST,32,15)
	s_waitcnt lgkmcnt(0)
	v_cndmask_b32_e64 v44, v44, 0, s5
	v_add_nc_u32_e32 v3, v3, v44
	s_and_saveexec_b32 s12, s11
	s_cbranch_execz .LBB155_12
; %bb.11:                               ;   in Loop: Header=BB155_4 Depth=2
	ds_store_b32 v32, v3
.LBB155_12:                             ;   in Loop: Header=BB155_4 Depth=2
	s_or_b32 exec_lo, exec_lo, s12
	s_waitcnt lgkmcnt(0)
	s_barrier
	buffer_gl0_inv
	s_and_saveexec_b32 s12, s6
	s_cbranch_execz .LBB155_14
; %bb.13:                               ;   in Loop: Header=BB155_4 Depth=2
	ds_load_b32 v44, v33
	s_waitcnt lgkmcnt(0)
	v_mov_b32_dpp v45, v44 row_shr:1 row_mask:0xf bank_mask:0xf
	s_delay_alu instid0(VALU_DEP_1) | instskip(NEXT) | instid1(VALU_DEP_1)
	v_cndmask_b32_e64 v45, v45, 0, s9
	v_add_nc_u32_e32 v44, v45, v44
	s_delay_alu instid0(VALU_DEP_1) | instskip(NEXT) | instid1(VALU_DEP_1)
	v_mov_b32_dpp v45, v44 row_shr:2 row_mask:0xf bank_mask:0xf
	v_cndmask_b32_e64 v45, 0, v45, s10
	s_delay_alu instid0(VALU_DEP_1)
	v_add_nc_u32_e32 v44, v44, v45
	ds_store_b32 v33, v44
.LBB155_14:                             ;   in Loop: Header=BB155_4 Depth=2
	s_or_b32 exec_lo, exec_lo, s12
	v_mov_b32_e32 v44, 0
	s_waitcnt lgkmcnt(0)
	s_barrier
	buffer_gl0_inv
	s_and_saveexec_b32 s12, s7
	s_cbranch_execz .LBB155_16
; %bb.15:                               ;   in Loop: Header=BB155_4 Depth=2
	ds_load_b32 v44, v34
.LBB155_16:                             ;   in Loop: Header=BB155_4 Depth=2
	s_or_b32 exec_lo, exec_lo, s12
	s_waitcnt lgkmcnt(0)
	v_add_nc_u32_e32 v3, v44, v3
	s_cmp_gt_u32 s17, 55
	ds_bpermute_b32 v3, v31, v3
	s_waitcnt lgkmcnt(0)
	v_cndmask_b32_e64 v3, v3, v44, s0
	s_delay_alu instid0(VALU_DEP_1) | instskip(NEXT) | instid1(VALU_DEP_1)
	v_cndmask_b32_e64 v3, v3, 0, s8
	v_add_nc_u32_e32 v4, v3, v4
	s_delay_alu instid0(VALU_DEP_1) | instskip(NEXT) | instid1(VALU_DEP_1)
	v_add_nc_u32_e32 v5, v4, v5
	v_add_nc_u32_e32 v6, v5, v6
	s_delay_alu instid0(VALU_DEP_1) | instskip(SKIP_1) | instid1(VALU_DEP_2)
	v_add_nc_u32_e32 v44, v6, v7
	v_lshlrev_b32_e32 v7, 3, v41
	v_add_nc_u32_e32 v45, v44, v0
	s_delay_alu instid0(VALU_DEP_1) | instskip(NEXT) | instid1(VALU_DEP_1)
	v_add_nc_u32_e32 v0, v45, v1
	v_add_nc_u32_e32 v1, v0, v2
	ds_store_2addr_b64 v29, v[3:4], v[5:6] offset0:2 offset1:3
	ds_store_2addr_b64 v30, v[44:45], v[0:1] offset0:2 offset1:3
	s_waitcnt lgkmcnt(0)
	s_barrier
	buffer_gl0_inv
	ds_load_b32 v0, v40
	ds_load_b32 v1, v43
	;; [unrolled: 1-line block ×3, first 2 shown]
	v_lshlrev_b32_e32 v3, 3, v25
	v_lshlrev_b32_e32 v4, 3, v28
	;; [unrolled: 1-line block ×4, first 2 shown]
	s_waitcnt lgkmcnt(0)
	v_lshlrev_b32_e32 v0, 3, v0
	v_lshlrev_b32_e32 v1, 3, v1
	v_lshl_add_u32 v40, v2, 3, v3
	s_delay_alu instid0(VALU_DEP_3) | instskip(NEXT) | instid1(VALU_DEP_3)
	v_add3_u32 v41, v4, v5, v0
	v_add3_u32 v42, v6, v7, v1
	s_cbranch_scc0 .LBB155_3
; %bb.17:                               ;   in Loop: Header=BB155_2 Depth=1
                                        ; implicit-def: $sgpr17
                                        ; implicit-def: $vgpr4_vgpr5
                                        ; implicit-def: $vgpr27_vgpr28
                                        ; implicit-def: $vgpr0_vgpr1
                                        ; implicit-def: $vgpr25_vgpr26
                                        ; implicit-def: $sgpr16
                                        ; implicit-def: $sgpr15
	s_branch .LBB155_1
.LBB155_18:
	s_waitcnt lgkmcnt(1)
	v_add_nc_u32_e32 v0, v1, v4
	v_add_nc_u32_e32 v1, v2, v5
	v_add_nc_u32_e32 v2, v15, v6
	v_lshlrev_b32_e32 v6, 3, v8
	v_add_nc_u32_e32 v3, v16, v7
	s_waitcnt lgkmcnt(0)
	v_add_nc_u32_e32 v4, v13, v17
	v_add_nc_u32_e32 v5, v14, v18
	s_add_u32 s0, s18, s20
	s_addc_u32 s1, s19, s21
	s_clause 0x2
	global_store_b64 v6, v[0:1], s[0:1]
	global_store_b64 v6, v[2:3], s[0:1] offset:1024
	global_store_b64 v6, v[4:5], s[0:1] offset:2048
	s_nop 0
	s_sendmsg sendmsg(MSG_DEALLOC_VGPRS)
	s_endpgm
	.section	.rodata,"a",@progbits
	.p2align	6, 0x0
	.amdhsa_kernel _Z17sort_pairs_kernelI22helper_blocked_blockedN15benchmark_utils11custom_typeIiiEELj128ELj3ELj10EEvPKT0_PS4_
		.amdhsa_group_segment_fixed_size 4112
		.amdhsa_private_segment_fixed_size 0
		.amdhsa_kernarg_size 272
		.amdhsa_user_sgpr_count 15
		.amdhsa_user_sgpr_dispatch_ptr 0
		.amdhsa_user_sgpr_queue_ptr 0
		.amdhsa_user_sgpr_kernarg_segment_ptr 1
		.amdhsa_user_sgpr_dispatch_id 0
		.amdhsa_user_sgpr_private_segment_size 0
		.amdhsa_wavefront_size32 1
		.amdhsa_uses_dynamic_stack 0
		.amdhsa_enable_private_segment 0
		.amdhsa_system_sgpr_workgroup_id_x 1
		.amdhsa_system_sgpr_workgroup_id_y 0
		.amdhsa_system_sgpr_workgroup_id_z 0
		.amdhsa_system_sgpr_workgroup_info 0
		.amdhsa_system_vgpr_workitem_id 2
		.amdhsa_next_free_vgpr 46
		.amdhsa_next_free_sgpr 27
		.amdhsa_reserve_vcc 1
		.amdhsa_float_round_mode_32 0
		.amdhsa_float_round_mode_16_64 0
		.amdhsa_float_denorm_mode_32 3
		.amdhsa_float_denorm_mode_16_64 3
		.amdhsa_dx10_clamp 1
		.amdhsa_ieee_mode 1
		.amdhsa_fp16_overflow 0
		.amdhsa_workgroup_processor_mode 1
		.amdhsa_memory_ordered 1
		.amdhsa_forward_progress 0
		.amdhsa_shared_vgpr_count 0
		.amdhsa_exception_fp_ieee_invalid_op 0
		.amdhsa_exception_fp_denorm_src 0
		.amdhsa_exception_fp_ieee_div_zero 0
		.amdhsa_exception_fp_ieee_overflow 0
		.amdhsa_exception_fp_ieee_underflow 0
		.amdhsa_exception_fp_ieee_inexact 0
		.amdhsa_exception_int_div_zero 0
	.end_amdhsa_kernel
	.section	.text._Z17sort_pairs_kernelI22helper_blocked_blockedN15benchmark_utils11custom_typeIiiEELj128ELj3ELj10EEvPKT0_PS4_,"axG",@progbits,_Z17sort_pairs_kernelI22helper_blocked_blockedN15benchmark_utils11custom_typeIiiEELj128ELj3ELj10EEvPKT0_PS4_,comdat
.Lfunc_end155:
	.size	_Z17sort_pairs_kernelI22helper_blocked_blockedN15benchmark_utils11custom_typeIiiEELj128ELj3ELj10EEvPKT0_PS4_, .Lfunc_end155-_Z17sort_pairs_kernelI22helper_blocked_blockedN15benchmark_utils11custom_typeIiiEELj128ELj3ELj10EEvPKT0_PS4_
                                        ; -- End function
	.section	.AMDGPU.csdata,"",@progbits
; Kernel info:
; codeLenInByte = 2892
; NumSgprs: 29
; NumVgprs: 46
; ScratchSize: 0
; MemoryBound: 0
; FloatMode: 240
; IeeeMode: 1
; LDSByteSize: 4112 bytes/workgroup (compile time only)
; SGPRBlocks: 3
; VGPRBlocks: 5
; NumSGPRsForWavesPerEU: 29
; NumVGPRsForWavesPerEU: 46
; Occupancy: 16
; WaveLimiterHint : 1
; COMPUTE_PGM_RSRC2:SCRATCH_EN: 0
; COMPUTE_PGM_RSRC2:USER_SGPR: 15
; COMPUTE_PGM_RSRC2:TRAP_HANDLER: 0
; COMPUTE_PGM_RSRC2:TGID_X_EN: 1
; COMPUTE_PGM_RSRC2:TGID_Y_EN: 0
; COMPUTE_PGM_RSRC2:TGID_Z_EN: 0
; COMPUTE_PGM_RSRC2:TIDIG_COMP_CNT: 2
	.section	.text._Z16sort_keys_kernelI22helper_blocked_blockedN15benchmark_utils11custom_typeIiiEELj128ELj4ELj10EEvPKT0_PS4_,"axG",@progbits,_Z16sort_keys_kernelI22helper_blocked_blockedN15benchmark_utils11custom_typeIiiEELj128ELj4ELj10EEvPKT0_PS4_,comdat
	.protected	_Z16sort_keys_kernelI22helper_blocked_blockedN15benchmark_utils11custom_typeIiiEELj128ELj4ELj10EEvPKT0_PS4_ ; -- Begin function _Z16sort_keys_kernelI22helper_blocked_blockedN15benchmark_utils11custom_typeIiiEELj128ELj4ELj10EEvPKT0_PS4_
	.globl	_Z16sort_keys_kernelI22helper_blocked_blockedN15benchmark_utils11custom_typeIiiEELj128ELj4ELj10EEvPKT0_PS4_
	.p2align	8
	.type	_Z16sort_keys_kernelI22helper_blocked_blockedN15benchmark_utils11custom_typeIiiEELj128ELj4ELj10EEvPKT0_PS4_,@function
_Z16sort_keys_kernelI22helper_blocked_blockedN15benchmark_utils11custom_typeIiiEELj128ELj4ELj10EEvPKT0_PS4_: ; @_Z16sort_keys_kernelI22helper_blocked_blockedN15benchmark_utils11custom_typeIiiEELj128ELj4ELj10EEvPKT0_PS4_
; %bb.0:
	s_clause 0x1
	s_load_b128 s[16:19], s[0:1], 0x0
	s_load_b32 s3, s[0:1], 0x1c
	v_mbcnt_lo_u32_b32 v7, -1, 0
	s_mov_b32 s23, 0
	s_lshl_b32 s22, s15, 9
	v_bfe_u32 v9, v0, 10, 10
	s_lshl_b64 s[20:21], s[22:23], 3
	v_add_nc_u32_e32 v12, -1, v7
	s_mov_b32 s22, s23
	v_and_b32_e32 v8, 0x3ff, v0
	v_bfe_u32 v0, v0, 20, 10
	v_and_b32_e32 v11, 3, v7
	v_cmp_gt_i32_e32 vcc_lo, 0, v12
	v_cmp_eq_u32_e64 s12, 0, v7
	v_lshlrev_b32_e32 v1, 3, v8
	s_waitcnt lgkmcnt(0)
	s_add_u32 s0, s16, s20
	s_addc_u32 s1, s17, s21
	s_mov_b32 s16, s23
	s_clause 0x3
	global_load_b64 v[5:6], v1, s[0:1]
	global_load_b64 v[13:14], v1, s[0:1] offset:1024
	global_load_b64 v[3:4], v1, s[0:1] offset:2048
	;; [unrolled: 1-line block ×3, first 2 shown]
	s_lshr_b32 s1, s3, 16
	s_and_b32 s3, s3, 0xffff
	v_mad_u32_u24 v0, v0, s1, v9
	s_mov_b32 s17, s23
	v_and_b32_e32 v21, 28, v7
	s_delay_alu instid0(VALU_DEP_2) | instskip(SKIP_2) | instid1(VALU_DEP_2)
	v_mad_u64_u32 v[9:10], null, v0, s3, v[8:9]
	v_and_b32_e32 v0, 15, v7
	v_or_b32_e32 v10, 31, v8
	v_cmp_eq_u32_e64 s4, 0, v0
	s_delay_alu instid0(VALU_DEP_4)
	v_lshrrev_b32_e32 v27, 5, v9
	v_and_b32_e32 v9, 16, v7
	v_cmp_lt_u32_e64 s5, 1, v0
	v_cmp_lt_u32_e64 s6, 3, v0
	;; [unrolled: 1-line block ×3, first 2 shown]
	v_cmp_eq_u32_e64 s9, v10, v8
	v_cmp_eq_u32_e64 s8, 0, v9
	v_cndmask_b32_e32 v0, v12, v7, vcc_lo
	v_lshrrev_b32_e32 v9, 3, v8
	v_lshlrev_b32_e32 v10, 2, v8
	s_delay_alu instid0(VALU_DEP_3) | instskip(NEXT) | instid1(VALU_DEP_3)
	v_lshlrev_b32_e32 v28, 2, v0
	v_and_b32_e32 v29, 12, v9
	s_delay_alu instid0(VALU_DEP_3)
	v_and_or_b32 v0, 0x180, v10, v7
	v_dual_mov_b32 v9, s22 :: v_dual_lshlrev_b32 v22, 5, v8
	v_mov_b32_e32 v10, s23
	v_cmp_eq_u32_e64 s0, 0, v11
	v_cmp_eq_u32_e64 s1, 1, v11
	;; [unrolled: 1-line block ×4, first 2 shown]
	v_cmp_lt_u32_e64 s14, 1, v11
	v_mov_b32_e32 v11, s16
	v_mad_i32_i24 v30, 0xffffffe4, v8, v22
	v_lshlrev_b32_e32 v32, 3, v0
	v_mul_u32_u24_e32 v0, 28, v8
	v_or_b32_e32 v26, 16, v22
	v_cmp_gt_u32_e64 s10, 4, v8
	v_cmp_lt_u32_e64 s11, 31, v8
	v_cmp_eq_u32_e64 s13, 0, v8
	v_dual_mov_b32 v12, s17 :: v_dual_add_nc_u32 v31, -4, v29
	v_or_b32_e32 v23, 32, v21
	v_or_b32_e32 v24, 64, v21
	;; [unrolled: 1-line block ×3, first 2 shown]
	v_add_nc_u32_e32 v33, v30, v0
	s_branch .LBB156_2
.LBB156_1:                              ;   in Loop: Header=BB156_2 Depth=1
	s_barrier
	buffer_gl0_inv
	ds_store_b64 v34, v[13:14]
	ds_store_b64 v35, v[19:20]
	;; [unrolled: 1-line block ×4, first 2 shown]
	s_waitcnt lgkmcnt(0)
	s_barrier
	buffer_gl0_inv
	ds_load_2addr_b64 v[0:3], v33 offset1:1
	ds_load_2addr_b64 v[15:18], v33 offset0:2 offset1:3
	s_add_i32 s23, s23, 1
	s_delay_alu instid0(SALU_CYCLE_1)
	s_cmp_eq_u32 s23, 10
	s_waitcnt lgkmcnt(1)
	v_xor_b32_e32 v5, 0x80000000, v0
	v_xor_b32_e32 v6, 0x80000000, v1
	;; [unrolled: 1-line block ×4, first 2 shown]
	s_waitcnt lgkmcnt(0)
	v_xor_b32_e32 v3, 0x80000000, v15
	v_xor_b32_e32 v4, 0x80000000, v16
	;; [unrolled: 1-line block ×4, first 2 shown]
	s_cbranch_scc1 .LBB156_20
.LBB156_2:                              ; =>This Loop Header: Depth=1
                                        ;     Child Loop BB156_4 Depth 2
	s_waitcnt vmcnt(3)
	v_xor_b32_e32 v0, 0x80000000, v6
	v_xor_b32_e32 v5, 0x80000000, v5
	s_waitcnt vmcnt(2)
	v_xor_b32_e32 v6, 0x80000000, v13
	v_xor_b32_e32 v7, 0x80000000, v14
	s_waitcnt vmcnt(1)
	v_xor_b32_e32 v3, 0x80000000, v3
	ds_bpermute_b32 v13, v21, v0
	ds_bpermute_b32 v14, v21, v5
	s_waitcnt vmcnt(0)
	v_xor_b32_e32 v15, 0x80000000, v1
	ds_bpermute_b32 v1, v21, v7
	ds_bpermute_b32 v16, v21, v6
	v_xor_b32_e32 v4, 0x80000000, v4
	ds_bpermute_b32 v17, v23, v0
	ds_bpermute_b32 v20, v21, v3
	;; [unrolled: 3-line block ×3, first 2 shown]
	ds_bpermute_b32 v34, v21, v15
	ds_bpermute_b32 v35, v23, v7
	;; [unrolled: 1-line block ×9, first 2 shown]
	s_waitcnt lgkmcnt(16)
	v_cndmask_b32_e64 v13, 0, v13, s0
	s_waitcnt lgkmcnt(15)
	v_cndmask_b32_e64 v14, 0, v14, s0
	ds_bpermute_b32 v42, v24, v6
	ds_bpermute_b32 v43, v24, v7
	;; [unrolled: 1-line block ×3, first 2 shown]
	s_waitcnt lgkmcnt(17)
	v_cndmask_b32_e64 v1, v13, v1, s1
	s_waitcnt lgkmcnt(16)
	v_cndmask_b32_e64 v13, v14, v16, s1
	ds_bpermute_b32 v14, v25, v0
	s_waitcnt lgkmcnt(16)
	v_cndmask_b32_e64 v0, 0, v17, s0
	ds_bpermute_b32 v6, v25, v6
	s_waitcnt lgkmcnt(15)
	v_cndmask_b32_e64 v16, 0, v18, s0
	v_cndmask_b32_e64 v13, v13, v20, s2
	s_waitcnt lgkmcnt(14)
	v_cndmask_b32_e64 v1, v1, v19, s2
	s_waitcnt lgkmcnt(12)
	v_cndmask_b32_e64 v17, v0, v35, s1
	ds_bpermute_b32 v18, v24, v4
	ds_bpermute_b32 v19, v24, v3
	v_cndmask_b32_e64 v0, v13, v34, s3
	ds_bpermute_b32 v13, v23, v2
	ds_bpermute_b32 v4, v25, v4
	;; [unrolled: 1-line block ×3, first 2 shown]
	s_waitcnt lgkmcnt(16)
	v_cndmask_b32_e64 v16, v16, v36, s1
	s_waitcnt lgkmcnt(15)
	v_cndmask_b32_e64 v1, v1, v37, s3
	ds_bpermute_b32 v34, v23, v15
	ds_bpermute_b32 v35, v24, v2
	;; [unrolled: 1-line block ×5, first 2 shown]
	s_waitcnt lgkmcnt(19)
	v_cndmask_b32_e64 v2, v17, v39, s2
	s_waitcnt lgkmcnt(17)
	v_cndmask_b32_e64 v3, 0, v41, s0
	v_cndmask_b32_e64 v17, 0, v40, s0
	s_waitcnt lgkmcnt(11)
	v_cndmask_b32_e64 v14, 0, v14, s0
	v_cndmask_b32_e64 v5, 0, v5, s0
	;; [unrolled: 1-line block ×6, first 2 shown]
	s_waitcnt lgkmcnt(10)
	v_cndmask_b32_e64 v5, v5, v6, s1
	s_waitcnt lgkmcnt(7)
	v_cndmask_b32_e64 v3, v2, v13, s3
	v_cndmask_b32_e64 v6, v38, v18, s2
	;; [unrolled: 1-line block ×3, first 2 shown]
	s_waitcnt lgkmcnt(6)
	v_cndmask_b32_e64 v7, v7, v4, s2
	s_waitcnt lgkmcnt(5)
	v_cndmask_b32_e64 v14, v5, v20, s2
	s_waitcnt lgkmcnt(4)
	v_cndmask_b32_e64 v2, v16, v34, s3
	s_waitcnt lgkmcnt(3)
	v_cndmask_b32_e64 v5, v6, v35, s3
	s_waitcnt lgkmcnt(2)
	v_cndmask_b32_e64 v4, v13, v36, s3
	s_waitcnt lgkmcnt(1)
	v_cndmask_b32_e64 v7, v7, v37, s3
	s_waitcnt lgkmcnt(0)
	v_cndmask_b32_e64 v6, v14, v15, s3
	s_mov_b32 s22, 8
	s_mov_b32 s24, 32
	;; [unrolled: 1-line block ×3, first 2 shown]
	s_barrier
	s_branch .LBB156_4
.LBB156_3:                              ;   in Loop: Header=BB156_4 Depth=2
	s_barrier
	buffer_gl0_inv
	ds_store_b64 v34, v[13:14]
	ds_store_b64 v35, v[19:20]
	;; [unrolled: 1-line block ×4, first 2 shown]
	s_waitcnt lgkmcnt(0)
	s_barrier
	buffer_gl0_inv
	ds_load_2addr_b64 v[0:3], v32 offset1:32
	ds_load_2addr_b64 v[4:7], v32 offset0:64 offset1:96
	s_add_i32 s24, s24, -8
	s_add_i32 s22, s22, 8
	s_add_i32 s25, s25, 8
	s_waitcnt lgkmcnt(0)
	s_barrier
	s_cbranch_execz .LBB156_1
.LBB156_4:                              ;   Parent Loop BB156_2 Depth=1
                                        ; =>  This Inner Loop Header: Depth=2
	s_min_i32 s16, s22, 32
	s_cmp_lt_u32 s25, 32
	v_dual_mov_b32 v14, v1 :: v_dual_mov_b32 v13, v0
	s_cselect_b32 vcc_lo, -1, 0
	s_cmp_gt_u32 s25, 24
	buffer_gl0_inv
	s_cselect_b32 s15, -1, 0
	s_sub_i32 s16, s16, 32
	v_lshrrev_b32_e32 v1, s25, v14
	s_add_i32 s17, s16, s24
	ds_store_2addr_b64 v22, v[9:10], v[11:12] offset0:2 offset1:3
	ds_store_2addr_b64 v26, v[9:10], v[11:12] offset0:2 offset1:3
	s_lshl_b32 s17, -1, s17
	s_waitcnt lgkmcnt(0)
	s_not_b32 s17, s17
	s_cmp_lg_u32 s16, s25
	s_barrier
	s_cselect_b32 s26, s17, -1
	s_max_i32 s27, s24, 0
	s_max_i32 s16, s25, 32
	v_and_b32_e32 v1, s26, v1
	s_sub_i32 s17, s16, s27
	s_sub_i32 s28, s16, 32
	;; [unrolled: 1-line block ×3, first 2 shown]
	v_lshrrev_b32_e32 v0, s28, v13
	s_min_i32 s16, s17, 32
	buffer_gl0_inv
	s_sub_i32 s16, s16, s28
	s_delay_alu instid0(SALU_CYCLE_1) | instskip(NEXT) | instid1(SALU_CYCLE_1)
	s_lshl_b32 s17, -1, s16
	; wave barrier
	s_not_b32 s17, s17
	s_cmp_lg_u32 s16, 32
	v_cndmask_b32_e32 v1, 0, v1, vcc_lo
	s_cselect_b32 s29, s17, -1
	s_delay_alu instid0(SALU_CYCLE_1) | instskip(NEXT) | instid1(VALU_DEP_1)
	v_and_b32_e32 v0, s29, v0
	v_lshlrev_b32_e32 v0, s27, v0
	s_delay_alu instid0(VALU_DEP_1) | instskip(NEXT) | instid1(VALU_DEP_1)
	v_cndmask_b32_e64 v0, 0, v0, s15
	v_or_b32_e32 v1, v1, v0
	s_delay_alu instid0(VALU_DEP_1)
	v_and_b32_e32 v0, 1, v1
	v_lshlrev_b32_e32 v15, 30, v1
	v_lshlrev_b32_e32 v16, 29, v1
	;; [unrolled: 1-line block ×4, first 2 shown]
	v_add_co_u32 v0, s16, v0, -1
	s_delay_alu instid0(VALU_DEP_1)
	v_cndmask_b32_e64 v18, 0, 1, s16
	v_not_b32_e32 v35, v15
	v_cmp_gt_i32_e64 s17, 0, v15
	v_not_b32_e32 v15, v16
	v_lshlrev_b32_e32 v20, 26, v1
	v_cmp_ne_u32_e64 s16, 0, v18
	v_ashrrev_i32_e32 v35, 31, v35
	v_lshlrev_b32_e32 v34, 25, v1
	v_ashrrev_i32_e32 v15, 31, v15
	v_lshlrev_b32_e32 v18, 24, v1
	v_xor_b32_e32 v0, s16, v0
	v_cmp_gt_i32_e64 s16, 0, v16
	v_not_b32_e32 v16, v17
	v_xor_b32_e32 v35, s17, v35
	v_cmp_gt_i32_e64 s17, 0, v17
	v_and_b32_e32 v0, exec_lo, v0
	v_not_b32_e32 v17, v19
	v_ashrrev_i32_e32 v16, 31, v16
	v_xor_b32_e32 v15, s16, v15
	v_cmp_gt_i32_e64 s16, 0, v19
	v_and_b32_e32 v0, v0, v35
	v_not_b32_e32 v19, v20
	v_ashrrev_i32_e32 v17, 31, v17
	v_xor_b32_e32 v16, s17, v16
	v_cmp_gt_i32_e64 s17, 0, v20
	v_and_b32_e32 v0, v0, v15
	;; [unrolled: 5-line block ×4, first 2 shown]
	v_ashrrev_i32_e32 v16, 31, v16
	v_xor_b32_e32 v15, s16, v15
	v_lshl_add_u32 v1, v1, 2, v27
	v_mov_b32_e32 v18, v5
	v_and_b32_e32 v0, v0, v19
	v_xor_b32_e32 v16, s17, v16
	v_dual_mov_b32 v20, v3 :: v_dual_mov_b32 v19, v2
	v_mov_b32_e32 v17, v4
	s_delay_alu instid0(VALU_DEP_4) | instskip(SKIP_1) | instid1(VALU_DEP_2)
	v_and_b32_e32 v0, v0, v15
	v_lshl_add_u32 v35, v1, 2, 16
	v_and_b32_e32 v0, v0, v16
	v_dual_mov_b32 v16, v7 :: v_dual_mov_b32 v15, v6
	s_delay_alu instid0(VALU_DEP_2) | instskip(SKIP_1) | instid1(VALU_DEP_2)
	v_mbcnt_lo_u32_b32 v34, v0, 0
	v_cmp_ne_u32_e64 s17, 0, v0
	v_cmp_eq_u32_e64 s16, 0, v34
	s_delay_alu instid0(VALU_DEP_1) | instskip(NEXT) | instid1(SALU_CYCLE_1)
	s_and_b32 s17, s16, s17
	s_and_saveexec_b32 s16, s17
	s_cbranch_execz .LBB156_6
; %bb.5:                                ;   in Loop: Header=BB156_4 Depth=2
	v_bcnt_u32_b32 v0, v0, 0
	ds_store_b32 v35, v0
.LBB156_6:                              ;   in Loop: Header=BB156_4 Depth=2
	s_or_b32 exec_lo, exec_lo, s16
	v_lshrrev_b32_e32 v0, s28, v19
	v_lshrrev_b32_e32 v1, s25, v20
	; wave barrier
	s_delay_alu instid0(VALU_DEP_1) | instskip(NEXT) | instid1(VALU_DEP_1)
	v_and_b32_e32 v1, s26, v1
	v_dual_cndmask_b32 v1, 0, v1 :: v_dual_and_b32 v0, s29, v0
	s_delay_alu instid0(VALU_DEP_1) | instskip(NEXT) | instid1(VALU_DEP_1)
	v_lshlrev_b32_e32 v0, s27, v0
	v_cndmask_b32_e64 v0, 0, v0, s15
	s_delay_alu instid0(VALU_DEP_1) | instskip(NEXT) | instid1(VALU_DEP_1)
	v_or_b32_e32 v0, v1, v0
	v_and_b32_e32 v1, 1, v0
	v_lshlrev_b32_e32 v2, 30, v0
	v_lshlrev_b32_e32 v3, 29, v0
	v_lshlrev_b32_e32 v4, 28, v0
	v_lshlrev_b32_e32 v6, 27, v0
	v_add_co_u32 v1, s16, v1, -1
	s_delay_alu instid0(VALU_DEP_1)
	v_cndmask_b32_e64 v5, 0, 1, s16
	v_not_b32_e32 v37, v2
	v_cmp_gt_i32_e64 s17, 0, v2
	v_not_b32_e32 v2, v3
	v_lshlrev_b32_e32 v7, 26, v0
	v_cmp_ne_u32_e64 s16, 0, v5
	v_ashrrev_i32_e32 v37, 31, v37
	v_lshlrev_b32_e32 v36, 25, v0
	v_ashrrev_i32_e32 v2, 31, v2
	v_lshlrev_b32_e32 v5, 24, v0
	v_xor_b32_e32 v1, s16, v1
	v_cmp_gt_i32_e64 s16, 0, v3
	v_not_b32_e32 v3, v4
	v_xor_b32_e32 v37, s17, v37
	v_cmp_gt_i32_e64 s17, 0, v4
	v_and_b32_e32 v1, exec_lo, v1
	v_not_b32_e32 v4, v6
	v_ashrrev_i32_e32 v3, 31, v3
	v_xor_b32_e32 v2, s16, v2
	v_cmp_gt_i32_e64 s16, 0, v6
	v_and_b32_e32 v1, v1, v37
	v_not_b32_e32 v6, v7
	v_ashrrev_i32_e32 v4, 31, v4
	v_xor_b32_e32 v3, s17, v3
	v_cmp_gt_i32_e64 s17, 0, v7
	v_and_b32_e32 v1, v1, v2
	;; [unrolled: 5-line block ×3, first 2 shown]
	v_not_b32_e32 v3, v5
	v_ashrrev_i32_e32 v2, 31, v2
	v_xor_b32_e32 v6, s17, v6
	v_lshlrev_b32_e32 v0, 2, v0
	v_and_b32_e32 v1, v1, v4
	v_cmp_gt_i32_e64 s17, 0, v5
	v_ashrrev_i32_e32 v3, 31, v3
	v_xor_b32_e32 v2, s16, v2
	v_add_lshl_u32 v4, v0, v27, 2
	v_and_b32_e32 v1, v1, v6
	s_delay_alu instid0(VALU_DEP_4) | instskip(SKIP_3) | instid1(VALU_DEP_2)
	v_xor_b32_e32 v0, s17, v3
	ds_load_b32 v36, v4 offset:16
	v_and_b32_e32 v1, v1, v2
	v_add_nc_u32_e32 v38, 16, v4
	; wave barrier
	v_and_b32_e32 v0, v1, v0
	s_delay_alu instid0(VALU_DEP_1) | instskip(SKIP_1) | instid1(VALU_DEP_2)
	v_mbcnt_lo_u32_b32 v37, v0, 0
	v_cmp_ne_u32_e64 s17, 0, v0
	v_cmp_eq_u32_e64 s16, 0, v37
	s_delay_alu instid0(VALU_DEP_1) | instskip(NEXT) | instid1(SALU_CYCLE_1)
	s_and_b32 s17, s16, s17
	s_and_saveexec_b32 s16, s17
	s_cbranch_execz .LBB156_8
; %bb.7:                                ;   in Loop: Header=BB156_4 Depth=2
	s_waitcnt lgkmcnt(0)
	v_bcnt_u32_b32 v0, v0, v36
	ds_store_b32 v38, v0
.LBB156_8:                              ;   in Loop: Header=BB156_4 Depth=2
	s_or_b32 exec_lo, exec_lo, s16
	v_lshrrev_b32_e32 v0, s28, v17
	v_lshrrev_b32_e32 v1, s25, v18
	; wave barrier
	s_delay_alu instid0(VALU_DEP_1) | instskip(NEXT) | instid1(VALU_DEP_1)
	v_and_b32_e32 v1, s26, v1
	v_dual_cndmask_b32 v1, 0, v1 :: v_dual_and_b32 v0, s29, v0
	s_delay_alu instid0(VALU_DEP_1) | instskip(NEXT) | instid1(VALU_DEP_1)
	v_lshlrev_b32_e32 v0, s27, v0
	v_cndmask_b32_e64 v0, 0, v0, s15
	s_delay_alu instid0(VALU_DEP_1) | instskip(NEXT) | instid1(VALU_DEP_1)
	v_or_b32_e32 v0, v1, v0
	v_and_b32_e32 v1, 1, v0
	v_lshlrev_b32_e32 v2, 30, v0
	v_lshlrev_b32_e32 v3, 29, v0
	;; [unrolled: 1-line block ×4, first 2 shown]
	v_add_co_u32 v1, s16, v1, -1
	s_delay_alu instid0(VALU_DEP_1)
	v_cndmask_b32_e64 v5, 0, 1, s16
	v_not_b32_e32 v40, v2
	v_cmp_gt_i32_e64 s17, 0, v2
	v_not_b32_e32 v2, v3
	v_lshlrev_b32_e32 v7, 26, v0
	v_cmp_ne_u32_e64 s16, 0, v5
	v_ashrrev_i32_e32 v40, 31, v40
	v_lshlrev_b32_e32 v39, 25, v0
	v_ashrrev_i32_e32 v2, 31, v2
	v_lshlrev_b32_e32 v5, 24, v0
	v_xor_b32_e32 v1, s16, v1
	v_cmp_gt_i32_e64 s16, 0, v3
	v_not_b32_e32 v3, v4
	v_xor_b32_e32 v40, s17, v40
	v_cmp_gt_i32_e64 s17, 0, v4
	v_and_b32_e32 v1, exec_lo, v1
	v_not_b32_e32 v4, v6
	v_ashrrev_i32_e32 v3, 31, v3
	v_xor_b32_e32 v2, s16, v2
	v_cmp_gt_i32_e64 s16, 0, v6
	v_and_b32_e32 v1, v1, v40
	v_not_b32_e32 v6, v7
	v_ashrrev_i32_e32 v4, 31, v4
	v_xor_b32_e32 v3, s17, v3
	v_cmp_gt_i32_e64 s17, 0, v7
	v_and_b32_e32 v1, v1, v2
	;; [unrolled: 5-line block ×3, first 2 shown]
	v_not_b32_e32 v3, v5
	v_ashrrev_i32_e32 v2, 31, v2
	v_xor_b32_e32 v6, s17, v6
	v_lshlrev_b32_e32 v0, 2, v0
	v_and_b32_e32 v1, v1, v4
	v_cmp_gt_i32_e64 s17, 0, v5
	v_ashrrev_i32_e32 v3, 31, v3
	v_xor_b32_e32 v2, s16, v2
	v_add_lshl_u32 v4, v0, v27, 2
	v_and_b32_e32 v1, v1, v6
	s_delay_alu instid0(VALU_DEP_4) | instskip(SKIP_3) | instid1(VALU_DEP_2)
	v_xor_b32_e32 v0, s17, v3
	ds_load_b32 v39, v4 offset:16
	v_and_b32_e32 v1, v1, v2
	v_add_nc_u32_e32 v41, 16, v4
	; wave barrier
	v_and_b32_e32 v0, v1, v0
	s_delay_alu instid0(VALU_DEP_1) | instskip(SKIP_1) | instid1(VALU_DEP_2)
	v_mbcnt_lo_u32_b32 v40, v0, 0
	v_cmp_ne_u32_e64 s17, 0, v0
	v_cmp_eq_u32_e64 s16, 0, v40
	s_delay_alu instid0(VALU_DEP_1) | instskip(NEXT) | instid1(SALU_CYCLE_1)
	s_and_b32 s17, s16, s17
	s_and_saveexec_b32 s16, s17
	s_cbranch_execz .LBB156_10
; %bb.9:                                ;   in Loop: Header=BB156_4 Depth=2
	s_waitcnt lgkmcnt(0)
	v_bcnt_u32_b32 v0, v0, v39
	ds_store_b32 v41, v0
.LBB156_10:                             ;   in Loop: Header=BB156_4 Depth=2
	s_or_b32 exec_lo, exec_lo, s16
	v_lshrrev_b32_e32 v0, s28, v15
	v_lshrrev_b32_e32 v1, s25, v16
	; wave barrier
	s_delay_alu instid0(VALU_DEP_1) | instskip(NEXT) | instid1(VALU_DEP_1)
	v_and_b32_e32 v1, s26, v1
	v_dual_cndmask_b32 v1, 0, v1 :: v_dual_and_b32 v0, s29, v0
	s_delay_alu instid0(VALU_DEP_1) | instskip(NEXT) | instid1(VALU_DEP_1)
	v_lshlrev_b32_e32 v0, s27, v0
	v_cndmask_b32_e64 v0, 0, v0, s15
	s_delay_alu instid0(VALU_DEP_1) | instskip(NEXT) | instid1(VALU_DEP_1)
	v_or_b32_e32 v0, v1, v0
	v_and_b32_e32 v1, 1, v0
	v_lshlrev_b32_e32 v2, 30, v0
	v_lshlrev_b32_e32 v3, 29, v0
	;; [unrolled: 1-line block ×4, first 2 shown]
	v_add_co_u32 v1, s15, v1, -1
	s_delay_alu instid0(VALU_DEP_1)
	v_cndmask_b32_e64 v5, 0, 1, s15
	v_not_b32_e32 v43, v2
	v_cmp_gt_i32_e64 s15, 0, v2
	v_not_b32_e32 v2, v3
	v_lshlrev_b32_e32 v7, 26, v0
	v_cmp_ne_u32_e32 vcc_lo, 0, v5
	v_ashrrev_i32_e32 v43, 31, v43
	v_lshlrev_b32_e32 v42, 25, v0
	v_ashrrev_i32_e32 v2, 31, v2
	v_lshlrev_b32_e32 v5, 24, v0
	v_xor_b32_e32 v1, vcc_lo, v1
	v_cmp_gt_i32_e32 vcc_lo, 0, v3
	v_not_b32_e32 v3, v4
	v_xor_b32_e32 v43, s15, v43
	v_cmp_gt_i32_e64 s15, 0, v4
	v_and_b32_e32 v1, exec_lo, v1
	v_not_b32_e32 v4, v6
	v_ashrrev_i32_e32 v3, 31, v3
	v_xor_b32_e32 v2, vcc_lo, v2
	v_cmp_gt_i32_e32 vcc_lo, 0, v6
	v_and_b32_e32 v1, v1, v43
	v_not_b32_e32 v6, v7
	v_ashrrev_i32_e32 v4, 31, v4
	v_xor_b32_e32 v3, s15, v3
	v_cmp_gt_i32_e64 s15, 0, v7
	v_and_b32_e32 v1, v1, v2
	v_not_b32_e32 v2, v42
	v_ashrrev_i32_e32 v6, 31, v6
	v_xor_b32_e32 v4, vcc_lo, v4
	v_cmp_gt_i32_e32 vcc_lo, 0, v42
	v_and_b32_e32 v1, v1, v3
	v_not_b32_e32 v3, v5
	v_ashrrev_i32_e32 v2, 31, v2
	v_xor_b32_e32 v6, s15, v6
	v_lshlrev_b32_e32 v0, 2, v0
	v_and_b32_e32 v1, v1, v4
	v_cmp_gt_i32_e64 s15, 0, v5
	v_ashrrev_i32_e32 v3, 31, v3
	v_xor_b32_e32 v2, vcc_lo, v2
	v_add_lshl_u32 v4, v0, v27, 2
	v_and_b32_e32 v1, v1, v6
	s_delay_alu instid0(VALU_DEP_4) | instskip(SKIP_3) | instid1(VALU_DEP_2)
	v_xor_b32_e32 v0, s15, v3
	ds_load_b32 v42, v4 offset:16
	v_and_b32_e32 v1, v1, v2
	v_add_nc_u32_e32 v44, 16, v4
	; wave barrier
	v_and_b32_e32 v0, v1, v0
	s_delay_alu instid0(VALU_DEP_1) | instskip(SKIP_1) | instid1(VALU_DEP_2)
	v_mbcnt_lo_u32_b32 v43, v0, 0
	v_cmp_ne_u32_e64 s15, 0, v0
	v_cmp_eq_u32_e32 vcc_lo, 0, v43
	s_delay_alu instid0(VALU_DEP_2) | instskip(NEXT) | instid1(SALU_CYCLE_1)
	s_and_b32 s16, vcc_lo, s15
	s_and_saveexec_b32 s15, s16
	s_cbranch_execz .LBB156_12
; %bb.11:                               ;   in Loop: Header=BB156_4 Depth=2
	s_waitcnt lgkmcnt(0)
	v_bcnt_u32_b32 v0, v0, v42
	ds_store_b32 v44, v0
.LBB156_12:                             ;   in Loop: Header=BB156_4 Depth=2
	s_or_b32 exec_lo, exec_lo, s15
	; wave barrier
	s_waitcnt lgkmcnt(0)
	s_barrier
	buffer_gl0_inv
	ds_load_2addr_b64 v[4:7], v22 offset0:2 offset1:3
	ds_load_2addr_b64 v[0:3], v26 offset0:2 offset1:3
	s_waitcnt lgkmcnt(1)
	v_add_nc_u32_e32 v45, v5, v4
	s_delay_alu instid0(VALU_DEP_1) | instskip(SKIP_1) | instid1(VALU_DEP_1)
	v_add3_u32 v45, v45, v6, v7
	s_waitcnt lgkmcnt(0)
	v_add3_u32 v45, v45, v0, v1
	s_delay_alu instid0(VALU_DEP_1) | instskip(NEXT) | instid1(VALU_DEP_1)
	v_add3_u32 v3, v45, v2, v3
	v_mov_b32_dpp v45, v3 row_shr:1 row_mask:0xf bank_mask:0xf
	s_delay_alu instid0(VALU_DEP_1) | instskip(NEXT) | instid1(VALU_DEP_1)
	v_cndmask_b32_e64 v45, v45, 0, s4
	v_add_nc_u32_e32 v3, v45, v3
	s_delay_alu instid0(VALU_DEP_1) | instskip(NEXT) | instid1(VALU_DEP_1)
	v_mov_b32_dpp v45, v3 row_shr:2 row_mask:0xf bank_mask:0xf
	v_cndmask_b32_e64 v45, 0, v45, s5
	s_delay_alu instid0(VALU_DEP_1) | instskip(NEXT) | instid1(VALU_DEP_1)
	v_add_nc_u32_e32 v3, v3, v45
	v_mov_b32_dpp v45, v3 row_shr:4 row_mask:0xf bank_mask:0xf
	s_delay_alu instid0(VALU_DEP_1) | instskip(NEXT) | instid1(VALU_DEP_1)
	v_cndmask_b32_e64 v45, 0, v45, s6
	v_add_nc_u32_e32 v3, v3, v45
	s_delay_alu instid0(VALU_DEP_1) | instskip(NEXT) | instid1(VALU_DEP_1)
	v_mov_b32_dpp v45, v3 row_shr:8 row_mask:0xf bank_mask:0xf
	v_cndmask_b32_e64 v45, 0, v45, s7
	s_delay_alu instid0(VALU_DEP_1) | instskip(SKIP_3) | instid1(VALU_DEP_1)
	v_add_nc_u32_e32 v3, v3, v45
	ds_swizzle_b32 v45, v3 offset:swizzle(BROADCAST,32,15)
	s_waitcnt lgkmcnt(0)
	v_cndmask_b32_e64 v45, v45, 0, s8
	v_add_nc_u32_e32 v3, v3, v45
	s_and_saveexec_b32 s15, s9
	s_cbranch_execz .LBB156_14
; %bb.13:                               ;   in Loop: Header=BB156_4 Depth=2
	ds_store_b32 v29, v3
.LBB156_14:                             ;   in Loop: Header=BB156_4 Depth=2
	s_or_b32 exec_lo, exec_lo, s15
	s_waitcnt lgkmcnt(0)
	s_barrier
	buffer_gl0_inv
	s_and_saveexec_b32 s15, s10
	s_cbranch_execz .LBB156_16
; %bb.15:                               ;   in Loop: Header=BB156_4 Depth=2
	ds_load_b32 v45, v30
	s_waitcnt lgkmcnt(0)
	v_mov_b32_dpp v46, v45 row_shr:1 row_mask:0xf bank_mask:0xf
	s_delay_alu instid0(VALU_DEP_1) | instskip(NEXT) | instid1(VALU_DEP_1)
	v_cndmask_b32_e64 v46, v46, 0, s0
	v_add_nc_u32_e32 v45, v46, v45
	s_delay_alu instid0(VALU_DEP_1) | instskip(NEXT) | instid1(VALU_DEP_1)
	v_mov_b32_dpp v46, v45 row_shr:2 row_mask:0xf bank_mask:0xf
	v_cndmask_b32_e64 v46, 0, v46, s14
	s_delay_alu instid0(VALU_DEP_1)
	v_add_nc_u32_e32 v45, v45, v46
	ds_store_b32 v30, v45
.LBB156_16:                             ;   in Loop: Header=BB156_4 Depth=2
	s_or_b32 exec_lo, exec_lo, s15
	v_mov_b32_e32 v45, 0
	s_waitcnt lgkmcnt(0)
	s_barrier
	buffer_gl0_inv
	s_and_saveexec_b32 s15, s11
	s_cbranch_execz .LBB156_18
; %bb.17:                               ;   in Loop: Header=BB156_4 Depth=2
	ds_load_b32 v45, v31
.LBB156_18:                             ;   in Loop: Header=BB156_4 Depth=2
	s_or_b32 exec_lo, exec_lo, s15
	s_waitcnt lgkmcnt(0)
	v_add_nc_u32_e32 v3, v45, v3
	s_cmp_gt_u32 s25, 55
	ds_bpermute_b32 v3, v28, v3
	s_waitcnt lgkmcnt(0)
	v_cndmask_b32_e64 v3, v3, v45, s12
	s_delay_alu instid0(VALU_DEP_1) | instskip(NEXT) | instid1(VALU_DEP_1)
	v_cndmask_b32_e64 v3, v3, 0, s13
	v_add_nc_u32_e32 v4, v3, v4
	s_delay_alu instid0(VALU_DEP_1) | instskip(NEXT) | instid1(VALU_DEP_1)
	v_add_nc_u32_e32 v5, v4, v5
	v_add_nc_u32_e32 v6, v5, v6
	s_delay_alu instid0(VALU_DEP_1) | instskip(SKIP_1) | instid1(VALU_DEP_2)
	v_add_nc_u32_e32 v45, v6, v7
	v_lshlrev_b32_e32 v7, 3, v40
	v_add_nc_u32_e32 v46, v45, v0
	s_delay_alu instid0(VALU_DEP_1) | instskip(NEXT) | instid1(VALU_DEP_1)
	v_add_nc_u32_e32 v0, v46, v1
	v_add_nc_u32_e32 v1, v0, v2
	ds_store_2addr_b64 v22, v[3:4], v[5:6] offset0:2 offset1:3
	ds_store_2addr_b64 v26, v[45:46], v[0:1] offset0:2 offset1:3
	s_waitcnt lgkmcnt(0)
	s_barrier
	buffer_gl0_inv
	ds_load_b32 v0, v38
	ds_load_b32 v1, v41
	;; [unrolled: 1-line block ×4, first 2 shown]
	v_lshlrev_b32_e32 v4, 3, v34
	v_lshlrev_b32_e32 v5, 3, v37
	;; [unrolled: 1-line block ×6, first 2 shown]
	s_waitcnt lgkmcnt(0)
	v_lshlrev_b32_e32 v0, 3, v0
	v_lshlrev_b32_e32 v1, 3, v1
	;; [unrolled: 1-line block ×3, first 2 shown]
	v_lshl_add_u32 v34, v3, 3, v4
	s_delay_alu instid0(VALU_DEP_4) | instskip(NEXT) | instid1(VALU_DEP_4)
	v_add3_u32 v35, v5, v6, v0
	v_add3_u32 v36, v7, v36, v1
	s_delay_alu instid0(VALU_DEP_4)
	v_add3_u32 v37, v37, v38, v2
	s_cbranch_scc0 .LBB156_3
; %bb.19:                               ;   in Loop: Header=BB156_2 Depth=1
                                        ; implicit-def: $sgpr25
                                        ; implicit-def: $vgpr0_vgpr1
                                        ; implicit-def: $vgpr4_vgpr5
                                        ; implicit-def: $sgpr24
                                        ; implicit-def: $sgpr22
	s_branch .LBB156_1
.LBB156_20:
	v_lshlrev_b32_e32 v0, 3, v8
	s_add_u32 s0, s18, s20
	s_addc_u32 s1, s19, s21
	s_clause 0x3
	global_store_b64 v0, v[5:6], s[0:1]
	global_store_b64 v0, v[13:14], s[0:1] offset:1024
	global_store_b64 v0, v[3:4], s[0:1] offset:2048
	;; [unrolled: 1-line block ×3, first 2 shown]
	s_nop 0
	s_sendmsg sendmsg(MSG_DEALLOC_VGPRS)
	s_endpgm
	.section	.rodata,"a",@progbits
	.p2align	6, 0x0
	.amdhsa_kernel _Z16sort_keys_kernelI22helper_blocked_blockedN15benchmark_utils11custom_typeIiiEELj128ELj4ELj10EEvPKT0_PS4_
		.amdhsa_group_segment_fixed_size 4112
		.amdhsa_private_segment_fixed_size 0
		.amdhsa_kernarg_size 272
		.amdhsa_user_sgpr_count 15
		.amdhsa_user_sgpr_dispatch_ptr 0
		.amdhsa_user_sgpr_queue_ptr 0
		.amdhsa_user_sgpr_kernarg_segment_ptr 1
		.amdhsa_user_sgpr_dispatch_id 0
		.amdhsa_user_sgpr_private_segment_size 0
		.amdhsa_wavefront_size32 1
		.amdhsa_uses_dynamic_stack 0
		.amdhsa_enable_private_segment 0
		.amdhsa_system_sgpr_workgroup_id_x 1
		.amdhsa_system_sgpr_workgroup_id_y 0
		.amdhsa_system_sgpr_workgroup_id_z 0
		.amdhsa_system_sgpr_workgroup_info 0
		.amdhsa_system_vgpr_workitem_id 2
		.amdhsa_next_free_vgpr 47
		.amdhsa_next_free_sgpr 30
		.amdhsa_reserve_vcc 1
		.amdhsa_float_round_mode_32 0
		.amdhsa_float_round_mode_16_64 0
		.amdhsa_float_denorm_mode_32 3
		.amdhsa_float_denorm_mode_16_64 3
		.amdhsa_dx10_clamp 1
		.amdhsa_ieee_mode 1
		.amdhsa_fp16_overflow 0
		.amdhsa_workgroup_processor_mode 1
		.amdhsa_memory_ordered 1
		.amdhsa_forward_progress 0
		.amdhsa_shared_vgpr_count 0
		.amdhsa_exception_fp_ieee_invalid_op 0
		.amdhsa_exception_fp_denorm_src 0
		.amdhsa_exception_fp_ieee_div_zero 0
		.amdhsa_exception_fp_ieee_overflow 0
		.amdhsa_exception_fp_ieee_underflow 0
		.amdhsa_exception_fp_ieee_inexact 0
		.amdhsa_exception_int_div_zero 0
	.end_amdhsa_kernel
	.section	.text._Z16sort_keys_kernelI22helper_blocked_blockedN15benchmark_utils11custom_typeIiiEELj128ELj4ELj10EEvPKT0_PS4_,"axG",@progbits,_Z16sort_keys_kernelI22helper_blocked_blockedN15benchmark_utils11custom_typeIiiEELj128ELj4ELj10EEvPKT0_PS4_,comdat
.Lfunc_end156:
	.size	_Z16sort_keys_kernelI22helper_blocked_blockedN15benchmark_utils11custom_typeIiiEELj128ELj4ELj10EEvPKT0_PS4_, .Lfunc_end156-_Z16sort_keys_kernelI22helper_blocked_blockedN15benchmark_utils11custom_typeIiiEELj128ELj4ELj10EEvPKT0_PS4_
                                        ; -- End function
	.section	.AMDGPU.csdata,"",@progbits
; Kernel info:
; codeLenInByte = 3708
; NumSgprs: 32
; NumVgprs: 47
; ScratchSize: 0
; MemoryBound: 0
; FloatMode: 240
; IeeeMode: 1
; LDSByteSize: 4112 bytes/workgroup (compile time only)
; SGPRBlocks: 3
; VGPRBlocks: 5
; NumSGPRsForWavesPerEU: 32
; NumVGPRsForWavesPerEU: 47
; Occupancy: 16
; WaveLimiterHint : 1
; COMPUTE_PGM_RSRC2:SCRATCH_EN: 0
; COMPUTE_PGM_RSRC2:USER_SGPR: 15
; COMPUTE_PGM_RSRC2:TRAP_HANDLER: 0
; COMPUTE_PGM_RSRC2:TGID_X_EN: 1
; COMPUTE_PGM_RSRC2:TGID_Y_EN: 0
; COMPUTE_PGM_RSRC2:TGID_Z_EN: 0
; COMPUTE_PGM_RSRC2:TIDIG_COMP_CNT: 2
	.section	.text._Z17sort_pairs_kernelI22helper_blocked_blockedN15benchmark_utils11custom_typeIiiEELj128ELj4ELj10EEvPKT0_PS4_,"axG",@progbits,_Z17sort_pairs_kernelI22helper_blocked_blockedN15benchmark_utils11custom_typeIiiEELj128ELj4ELj10EEvPKT0_PS4_,comdat
	.protected	_Z17sort_pairs_kernelI22helper_blocked_blockedN15benchmark_utils11custom_typeIiiEELj128ELj4ELj10EEvPKT0_PS4_ ; -- Begin function _Z17sort_pairs_kernelI22helper_blocked_blockedN15benchmark_utils11custom_typeIiiEELj128ELj4ELj10EEvPKT0_PS4_
	.globl	_Z17sort_pairs_kernelI22helper_blocked_blockedN15benchmark_utils11custom_typeIiiEELj128ELj4ELj10EEvPKT0_PS4_
	.p2align	8
	.type	_Z17sort_pairs_kernelI22helper_blocked_blockedN15benchmark_utils11custom_typeIiiEELj128ELj4ELj10EEvPKT0_PS4_,@function
_Z17sort_pairs_kernelI22helper_blocked_blockedN15benchmark_utils11custom_typeIiiEELj128ELj4ELj10EEvPKT0_PS4_: ; @_Z17sort_pairs_kernelI22helper_blocked_blockedN15benchmark_utils11custom_typeIiiEELj128ELj4ELj10EEvPKT0_PS4_
; %bb.0:
	s_clause 0x1
	s_load_b128 s[16:19], s[0:1], 0x0
	s_load_b32 s14, s[0:1], 0x1c
	v_mbcnt_lo_u32_b32 v9, -1, 0
	s_mov_b32 s23, 0
	s_lshl_b32 s22, s15, 9
	v_bfe_u32 v8, v0, 10, 10
	s_lshl_b64 s[20:21], s[22:23], 3
	v_add_nc_u32_e32 v14, -1, v9
	v_and_b32_e32 v11, 16, v9
	v_and_b32_e32 v7, 3, v9
	;; [unrolled: 1-line block ×4, first 2 shown]
	v_cmp_gt_i32_e32 vcc_lo, 0, v14
	v_and_b32_e32 v18, 0x3ff, v0
	v_cmp_eq_u32_e64 s9, 0, v11
	v_bfe_u32 v0, v0, 20, 10
	v_cmp_eq_u32_e64 s2, 1, v7
	v_cndmask_b32_e32 v11, v14, v9, vcc_lo
	v_lshlrev_b32_e32 v3, 3, v18
	v_mul_u32_u24_e32 v19, 28, v18
	s_waitcnt lgkmcnt(0)
	s_add_u32 s0, s16, s20
	s_addc_u32 s1, s17, s21
	s_lshr_b32 s15, s14, 16
	s_clause 0x3
	global_load_b64 v[1:2], v3, s[0:1]
	global_load_b64 v[12:13], v3, s[0:1] offset:1024
	global_load_b64 v[5:6], v3, s[0:1] offset:2048
	global_load_b64 v[3:4], v3, s[0:1] offset:3072
	v_mad_u32_u24 v0, v0, s15, v8
	v_lshlrev_b32_e32 v37, 5, v18
	v_lshrrev_b32_e32 v14, 3, v18
	v_lshlrev_b32_e32 v15, 2, v18
	s_and_b32 s14, s14, 0xffff
	v_cmp_eq_u32_e64 s1, 0, v7
	v_cmp_eq_u32_e64 s3, 2, v7
	;; [unrolled: 1-line block ×3, first 2 shown]
	v_cmp_lt_u32_e64 s13, 1, v7
	v_mad_u64_u32 v[7:8], null, v0, s14, v[18:19]
	v_cmp_eq_u32_e64 s5, 0, v10
	v_cmp_lt_u32_e64 s6, 1, v10
	v_cmp_lt_u32_e64 s7, 3, v10
	;; [unrolled: 1-line block ×3, first 2 shown]
	v_or_b32_e32 v10, 31, v18
	v_and_b32_e32 v39, 12, v14
	v_and_or_b32 v0, 0x180, v15, v9
	v_mad_i32_i24 v41, 0xffffffe4, v18, v37
	v_cmp_eq_u32_e64 s0, 0, v9
	v_or_b32_e32 v34, 32, v33
	v_or_b32_e32 v35, 64, v33
	;; [unrolled: 1-line block ×3, first 2 shown]
	v_cmp_gt_u32_e64 s10, 4, v18
	v_cmp_lt_u32_e64 s11, 31, v18
	v_cmp_eq_u32_e64 s12, 0, v18
	v_or_b32_e32 v38, 16, v37
	v_cmp_eq_u32_e64 s14, v10, v18
	v_lshlrev_b32_e32 v40, 2, v11
	v_add_nc_u32_e32 v42, -4, v39
	v_lshlrev_b32_e32 v43, 3, v0
	v_lshrrev_b32_e32 v44, 5, v7
	v_add_nc_u32_e32 v45, v41, v19
	s_mov_b32 s22, s23
	s_mov_b32 s24, s23
	;; [unrolled: 1-line block ×4, first 2 shown]
	s_waitcnt vmcnt(3)
	v_add_nc_u32_e32 v15, 1, v2
	v_add_nc_u32_e32 v14, 1, v1
	s_waitcnt vmcnt(2)
	v_add_nc_u32_e32 v17, 1, v13
	v_add_nc_u32_e32 v16, 1, v12
	;; [unrolled: 3-line block ×4, first 2 shown]
	s_branch .LBB157_2
.LBB157_1:                              ;   in Loop: Header=BB157_2 Depth=1
	s_barrier
	buffer_gl0_inv
	ds_store_b64 v46, v[16:17]
	ds_store_b64 v47, v[27:28]
	;; [unrolled: 1-line block ×4, first 2 shown]
	s_waitcnt lgkmcnt(0)
	s_barrier
	buffer_gl0_inv
	ds_load_2addr_b64 v[1:4], v45 offset1:1
	ds_load_2addr_b64 v[27:30], v45 offset0:2 offset1:3
	s_waitcnt lgkmcnt(0)
	s_barrier
	buffer_gl0_inv
	ds_store_b64 v46, v[21:22]
	ds_store_b64 v47, v[19:20]
	;; [unrolled: 1-line block ×4, first 2 shown]
	s_waitcnt lgkmcnt(0)
	s_barrier
	buffer_gl0_inv
	ds_load_2addr_b64 v[14:17], v45 offset1:1
	ds_load_2addr_b64 v[8:11], v45 offset0:2 offset1:3
	s_add_i32 s26, s26, 1
	s_delay_alu instid0(SALU_CYCLE_1)
	s_cmp_lg_u32 s26, 10
	v_xor_b32_e32 v1, 0x80000000, v1
	v_xor_b32_e32 v2, 0x80000000, v2
	;; [unrolled: 1-line block ×8, first 2 shown]
	s_cbranch_scc0 .LBB157_20
.LBB157_2:                              ; =>This Loop Header: Depth=1
                                        ;     Child Loop BB157_4 Depth 2
	v_xor_b32_e32 v0, 0x80000000, v2
	v_xor_b32_e32 v2, 0x80000000, v1
	;; [unrolled: 1-line block ×5, first 2 shown]
	ds_bpermute_b32 v1, v33, v0
	ds_bpermute_b32 v3, v33, v2
	v_xor_b32_e32 v5, 0x80000000, v5
	ds_bpermute_b32 v19, v33, v12
	v_xor_b32_e32 v6, 0x80000000, v6
	ds_bpermute_b32 v20, v33, v7
	ds_bpermute_b32 v22, v34, v0
	v_xor_b32_e32 v4, 0x80000000, v4
	ds_bpermute_b32 v21, v33, v5
	ds_bpermute_b32 v23, v33, v6
	;; [unrolled: 1-line block ×12, first 2 shown]
	s_waitcnt lgkmcnt(16)
	v_cndmask_b32_e64 v1, 0, v1, s1
	ds_bpermute_b32 v48, v35, v12
	s_waitcnt lgkmcnt(16)
	v_cndmask_b32_e64 v3, 0, v3, s1
	ds_bpermute_b32 v46, v34, v13
	ds_bpermute_b32 v47, v34, v4
	s_waitcnt lgkmcnt(17)
	v_cndmask_b32_e64 v1, v1, v19, s2
	ds_bpermute_b32 v19, v35, v5
	ds_bpermute_b32 v50, v35, v6
	s_waitcnt lgkmcnt(17)
	v_cndmask_b32_e64 v22, 0, v22, s1
	v_cndmask_b32_e64 v3, v3, v20, s2
	s_waitcnt lgkmcnt(15)
	v_cndmask_b32_e64 v1, v1, v23, s3
	s_waitcnt lgkmcnt(14)
	v_cndmask_b32_e64 v20, 0, v25, s1
	ds_bpermute_b32 v23, v36, v0
	s_waitcnt lgkmcnt(14)
	v_cndmask_b32_e64 v0, v22, v27, s2
	v_cndmask_b32_e64 v3, v3, v21, s3
	s_waitcnt lgkmcnt(13)
	v_cndmask_b32_e64 v22, 0, v32, s1
	s_waitcnt lgkmcnt(11)
	;; [unrolled: 2-line block ×4, first 2 shown]
	v_cndmask_b32_e64 v21, 0, v31, s1
	ds_bpermute_b32 v25, v36, v2
	v_cndmask_b32_e64 v2, v0, v30, s3
	s_waitcnt lgkmcnt(8)
	v_cndmask_b32_e64 v22, v22, v49, s2
	v_cndmask_b32_e64 v0, v3, v24, s4
	ds_bpermute_b32 v12, v36, v12
	ds_bpermute_b32 v24, v33, v15
	ds_bpermute_b32 v26, v33, v14
	s_waitcnt lgkmcnt(10)
	v_cndmask_b32_e64 v20, v20, v29, s3
	s_waitcnt lgkmcnt(9)
	v_cndmask_b32_e64 v21, v21, v48, s2
	;; [unrolled: 2-line block ×3, first 2 shown]
	ds_bpermute_b32 v22, v35, v4
	ds_bpermute_b32 v7, v36, v7
	;; [unrolled: 1-line block ×4, first 2 shown]
	v_cndmask_b32_e64 v3, v2, v47, s4
	v_cndmask_b32_e64 v2, v20, v46, s4
	s_waitcnt lgkmcnt(9)
	v_cndmask_b32_e64 v20, v21, v50, s3
	ds_bpermute_b32 v21, v35, v13
	ds_bpermute_b32 v6, v36, v6
	;; [unrolled: 1-line block ×7, first 2 shown]
	s_waitcnt lgkmcnt(15)
	v_cndmask_b32_e64 v23, 0, v23, s1
	ds_bpermute_b32 v30, v36, v4
	ds_bpermute_b32 v13, v36, v13
	;; [unrolled: 1-line block ×6, first 2 shown]
	s_waitcnt lgkmcnt(20)
	v_cndmask_b32_e64 v25, 0, v25, s1
	s_waitcnt lgkmcnt(19)
	v_cndmask_b32_e64 v4, v23, v12, s2
	;; [unrolled: 2-line block ×6, first 2 shown]
	ds_bpermute_b32 v25, v35, v17
	s_waitcnt lgkmcnt(15)
	v_cndmask_b32_e64 v12, v12, v27, s2
	s_waitcnt lgkmcnt(14)
	v_cndmask_b32_e64 v20, v23, v28, s2
	;; [unrolled: 2-line block ×3, first 2 shown]
	v_cndmask_b32_e64 v4, v19, v21, s4
	s_waitcnt lgkmcnt(11)
	v_cndmask_b32_e64 v19, v7, v29, s3
	s_waitcnt lgkmcnt(10)
	v_cndmask_b32_e64 v12, v12, v31, s3
	s_waitcnt lgkmcnt(9)
	v_cndmask_b32_e64 v20, v20, v32, s3
	s_waitcnt lgkmcnt(8)
	v_cndmask_b32_e64 v21, 0, v46, s1
	s_waitcnt lgkmcnt(7)
	v_cndmask_b32_e64 v22, 0, v47, s1
	s_waitcnt lgkmcnt(6)
	v_cndmask_b32_e64 v7, v6, v30, s4
	s_waitcnt lgkmcnt(5)
	v_cndmask_b32_e64 v6, v19, v13, s4
	s_waitcnt lgkmcnt(4)
	v_cndmask_b32_e64 v13, v12, v48, s4
	s_waitcnt lgkmcnt(3)
	v_cndmask_b32_e64 v12, v20, v49, s4
	s_waitcnt lgkmcnt(2)
	v_cndmask_b32_e64 v19, v21, v50, s2
	s_waitcnt lgkmcnt(1)
	v_cndmask_b32_e64 v20, v22, v51, s2
	ds_bpermute_b32 v21, v34, v9
	ds_bpermute_b32 v22, v35, v15
	;; [unrolled: 1-line block ×19, first 2 shown]
	s_mov_b32 s27, 8
	s_waitcnt lgkmcnt(18)
	v_cndmask_b32_e64 v19, v19, v21, s3
	s_waitcnt lgkmcnt(17)
	v_cndmask_b32_e64 v21, 0, v22, s1
	;; [unrolled: 2-line block ×5, first 2 shown]
	s_mov_b32 s28, 32
	v_cndmask_b32_e64 v21, v21, v25, s2
	s_waitcnt lgkmcnt(13)
	v_cndmask_b32_e64 v22, v22, v26, s2
	s_waitcnt lgkmcnt(12)
	;; [unrolled: 2-line block ×14, first 2 shown]
	v_cndmask_b32_e64 v10, v21, v10, s4
	s_mov_b32 s29, 0
	s_barrier
	s_branch .LBB157_4
.LBB157_3:                              ;   in Loop: Header=BB157_4 Depth=2
	s_barrier
	buffer_gl0_inv
	ds_store_b64 v46, v[16:17]
	ds_store_b64 v47, v[27:28]
	;; [unrolled: 1-line block ×4, first 2 shown]
	s_waitcnt lgkmcnt(0)
	s_barrier
	buffer_gl0_inv
	ds_load_2addr_b64 v[0:3], v43 offset1:32
	ds_load_2addr_b64 v[4:7], v43 offset0:64 offset1:96
	s_waitcnt lgkmcnt(0)
	s_barrier
	buffer_gl0_inv
	ds_store_b64 v46, v[21:22]
	ds_store_b64 v47, v[19:20]
	ds_store_b64 v48, v[25:26]
	ds_store_b64 v49, v[23:24]
	s_waitcnt lgkmcnt(0)
	s_barrier
	buffer_gl0_inv
	ds_load_2addr_b64 v[12:15], v43 offset1:32
	ds_load_2addr_b64 v[8:11], v43 offset0:64 offset1:96
	s_add_i32 s28, s28, -8
	s_add_i32 s27, s27, 8
	s_add_i32 s29, s29, 8
	s_waitcnt lgkmcnt(0)
	s_barrier
	s_cbranch_execz .LBB157_1
.LBB157_4:                              ;   Parent Loop BB157_2 Depth=1
                                        ; =>  This Inner Loop Header: Depth=2
	s_min_i32 s16, s27, 32
	s_cmp_lt_u32 s29, 32
	v_dual_mov_b32 v17, v1 :: v_dual_mov_b32 v16, v0
	s_cselect_b32 vcc_lo, -1, 0
	s_cmp_gt_u32 s29, 24
	v_mov_b32_e32 v30, v7
	s_cselect_b32 s15, -1, 0
	s_sub_i32 s16, s16, 32
	v_lshrrev_b32_e32 v1, s29, v17
	s_add_i32 s17, s16, s28
	v_mov_b32_e32 v32, v5
	s_lshl_b32 s17, -1, s17
	buffer_gl0_inv
	s_not_b32 s17, s17
	s_cmp_lg_u32 s16, s29
	v_mov_b32_e32 v28, v3
	s_cselect_b32 s30, s17, -1
	s_max_i32 s31, s28, 0
	s_max_i32 s16, s29, 32
	v_and_b32_e32 v1, s30, v1
	s_sub_i32 s17, s16, s31
	s_sub_i32 s33, s16, 32
	;; [unrolled: 1-line block ×3, first 2 shown]
	v_lshrrev_b32_e32 v0, s33, v16
	s_min_i32 s16, s17, 32
	v_cndmask_b32_e32 v1, 0, v1, vcc_lo
	s_sub_i32 s16, s16, s33
	v_mov_b32_e32 v27, v2
	s_lshl_b32 s17, -1, s16
	v_mov_b32_e32 v29, v6
	s_not_b32 s17, s17
	s_cmp_lg_u32 s16, 32
	v_mov_b32_e32 v31, v4
	s_cselect_b32 s34, s17, -1
	s_delay_alu instid0(SALU_CYCLE_1) | instskip(NEXT) | instid1(VALU_DEP_1)
	v_and_b32_e32 v0, s34, v0
	v_lshlrev_b32_e32 v0, s31, v0
	s_delay_alu instid0(VALU_DEP_1) | instskip(NEXT) | instid1(VALU_DEP_1)
	v_cndmask_b32_e64 v0, 0, v0, s15
	v_or_b32_e32 v46, v1, v0
	s_delay_alu instid0(VALU_DEP_1)
	v_and_b32_e32 v0, 1, v46
	v_lshlrev_b32_e32 v1, 30, v46
	v_lshlrev_b32_e32 v19, 29, v46
	v_lshlrev_b32_e32 v20, 28, v46
	v_lshlrev_b32_e32 v22, 27, v46
	v_add_co_u32 v0, s16, v0, -1
	s_delay_alu instid0(VALU_DEP_1)
	v_cndmask_b32_e64 v21, 0, 1, s16
	v_not_b32_e32 v25, v1
	v_cmp_gt_i32_e64 s17, 0, v1
	v_lshlrev_b32_e32 v23, 26, v46
	v_lshlrev_b32_e32 v24, 25, v46
	v_cmp_ne_u32_e64 s16, 0, v21
	v_ashrrev_i32_e32 v25, 31, v25
	v_lshlrev_b32_e32 v21, 24, v46
	s_delay_alu instid0(VALU_DEP_3) | instskip(NEXT) | instid1(VALU_DEP_3)
	v_xor_b32_e32 v0, s16, v0
	v_xor_b32_e32 v25, s17, v25
	s_delay_alu instid0(VALU_DEP_2) | instskip(NEXT) | instid1(VALU_DEP_1)
	v_and_b32_e32 v0, exec_lo, v0
	v_and_b32_e32 v0, v0, v25
	v_mov_b32_e32 v26, v9
	v_not_b32_e32 v1, v19
	v_cmp_gt_i32_e64 s16, 0, v19
	v_mov_b32_e32 v25, v8
	v_not_b32_e32 v19, v20
	v_cmp_gt_i32_e64 s17, 0, v20
	v_ashrrev_i32_e32 v1, 31, v1
	v_not_b32_e32 v20, v22
	s_delay_alu instid0(VALU_DEP_4) | instskip(NEXT) | instid1(VALU_DEP_3)
	v_ashrrev_i32_e32 v19, 31, v19
	v_xor_b32_e32 v1, s16, v1
	v_cmp_gt_i32_e64 s16, 0, v22
	v_not_b32_e32 v22, v23
	v_ashrrev_i32_e32 v20, 31, v20
	v_xor_b32_e32 v19, s17, v19
	v_and_b32_e32 v0, v0, v1
	v_cmp_gt_i32_e64 s17, 0, v23
	v_not_b32_e32 v1, v24
	v_ashrrev_i32_e32 v22, 31, v22
	v_xor_b32_e32 v20, s16, v20
	v_and_b32_e32 v0, v0, v19
	;; [unrolled: 5-line block ×3, first 2 shown]
	v_cmp_gt_i32_e64 s17, 0, v21
	v_ashrrev_i32_e32 v23, 31, v19
	v_xor_b32_e32 v1, s16, v1
	v_mov_b32_e32 v20, v15
	v_and_b32_e32 v0, v0, v22
	v_dual_mov_b32 v22, v13 :: v_dual_mov_b32 v21, v12
	v_xor_b32_e32 v12, s17, v23
	v_mov_b32_e32 v24, v11
	s_delay_alu instid0(VALU_DEP_4) | instskip(SKIP_2) | instid1(VALU_DEP_3)
	v_dual_mov_b32 v23, v10 :: v_dual_and_b32 v0, v0, v1
	v_mov_b32_e32 v1, s22
	v_dual_mov_b32 v9, s24 :: v_dual_mov_b32 v2, s23
	v_and_b32_e32 v0, v0, v12
	v_mov_b32_e32 v10, s25
	ds_store_2addr_b64 v37, v[1:2], v[9:10] offset0:2 offset1:3
	ds_store_2addr_b64 v38, v[1:2], v[9:10] offset0:2 offset1:3
	v_mbcnt_lo_u32_b32 v8, v0, 0
	v_lshl_add_u32 v1, v46, 2, v44
	v_cmp_ne_u32_e64 s17, 0, v0
	v_mov_b32_e32 v19, v14
	s_waitcnt lgkmcnt(0)
	v_cmp_eq_u32_e64 s16, 0, v8
	v_lshl_add_u32 v9, v1, 2, 16
	s_barrier
	buffer_gl0_inv
	s_and_b32 s17, s16, s17
	; wave barrier
	s_delay_alu instid0(SALU_CYCLE_1)
	s_and_saveexec_b32 s16, s17
	s_cbranch_execz .LBB157_6
; %bb.5:                                ;   in Loop: Header=BB157_4 Depth=2
	v_bcnt_u32_b32 v0, v0, 0
	ds_store_b32 v9, v0
.LBB157_6:                              ;   in Loop: Header=BB157_4 Depth=2
	s_or_b32 exec_lo, exec_lo, s16
	v_lshrrev_b32_e32 v0, s33, v27
	v_lshrrev_b32_e32 v1, s29, v28
	; wave barrier
	s_delay_alu instid0(VALU_DEP_1) | instskip(NEXT) | instid1(VALU_DEP_1)
	v_and_b32_e32 v1, s30, v1
	v_dual_cndmask_b32 v1, 0, v1 :: v_dual_and_b32 v0, s34, v0
	s_delay_alu instid0(VALU_DEP_1) | instskip(NEXT) | instid1(VALU_DEP_1)
	v_lshlrev_b32_e32 v0, s31, v0
	v_cndmask_b32_e64 v0, 0, v0, s15
	s_delay_alu instid0(VALU_DEP_1) | instskip(NEXT) | instid1(VALU_DEP_1)
	v_or_b32_e32 v0, v1, v0
	v_and_b32_e32 v1, 1, v0
	v_lshlrev_b32_e32 v2, 30, v0
	v_lshlrev_b32_e32 v3, 29, v0
	v_lshlrev_b32_e32 v4, 28, v0
	v_lshlrev_b32_e32 v6, 27, v0
	v_add_co_u32 v1, s16, v1, -1
	s_delay_alu instid0(VALU_DEP_1)
	v_cndmask_b32_e64 v5, 0, 1, s16
	v_not_b32_e32 v11, v2
	v_cmp_gt_i32_e64 s17, 0, v2
	v_not_b32_e32 v2, v3
	v_lshlrev_b32_e32 v7, 26, v0
	v_cmp_ne_u32_e64 s16, 0, v5
	v_ashrrev_i32_e32 v11, 31, v11
	v_lshlrev_b32_e32 v10, 25, v0
	v_ashrrev_i32_e32 v2, 31, v2
	v_lshlrev_b32_e32 v5, 24, v0
	v_xor_b32_e32 v1, s16, v1
	v_cmp_gt_i32_e64 s16, 0, v3
	v_not_b32_e32 v3, v4
	v_xor_b32_e32 v11, s17, v11
	v_cmp_gt_i32_e64 s17, 0, v4
	v_and_b32_e32 v1, exec_lo, v1
	v_not_b32_e32 v4, v6
	v_ashrrev_i32_e32 v3, 31, v3
	v_xor_b32_e32 v2, s16, v2
	v_cmp_gt_i32_e64 s16, 0, v6
	v_and_b32_e32 v1, v1, v11
	v_not_b32_e32 v6, v7
	v_ashrrev_i32_e32 v4, 31, v4
	v_xor_b32_e32 v3, s17, v3
	v_cmp_gt_i32_e64 s17, 0, v7
	v_and_b32_e32 v1, v1, v2
	;; [unrolled: 5-line block ×3, first 2 shown]
	v_not_b32_e32 v3, v5
	v_ashrrev_i32_e32 v2, 31, v2
	v_xor_b32_e32 v6, s17, v6
	v_lshlrev_b32_e32 v0, 2, v0
	v_and_b32_e32 v1, v1, v4
	v_cmp_gt_i32_e64 s17, 0, v5
	v_ashrrev_i32_e32 v3, 31, v3
	v_xor_b32_e32 v2, s16, v2
	v_add_lshl_u32 v4, v0, v44, 2
	v_and_b32_e32 v1, v1, v6
	s_delay_alu instid0(VALU_DEP_4) | instskip(SKIP_3) | instid1(VALU_DEP_2)
	v_xor_b32_e32 v0, s17, v3
	ds_load_b32 v10, v4 offset:16
	v_and_b32_e32 v1, v1, v2
	v_add_nc_u32_e32 v12, 16, v4
	; wave barrier
	v_and_b32_e32 v0, v1, v0
	s_delay_alu instid0(VALU_DEP_1) | instskip(SKIP_1) | instid1(VALU_DEP_2)
	v_mbcnt_lo_u32_b32 v11, v0, 0
	v_cmp_ne_u32_e64 s17, 0, v0
	v_cmp_eq_u32_e64 s16, 0, v11
	s_delay_alu instid0(VALU_DEP_1) | instskip(NEXT) | instid1(SALU_CYCLE_1)
	s_and_b32 s17, s16, s17
	s_and_saveexec_b32 s16, s17
	s_cbranch_execz .LBB157_8
; %bb.7:                                ;   in Loop: Header=BB157_4 Depth=2
	s_waitcnt lgkmcnt(0)
	v_bcnt_u32_b32 v0, v0, v10
	ds_store_b32 v12, v0
.LBB157_8:                              ;   in Loop: Header=BB157_4 Depth=2
	s_or_b32 exec_lo, exec_lo, s16
	v_lshrrev_b32_e32 v0, s33, v31
	v_lshrrev_b32_e32 v1, s29, v32
	; wave barrier
	s_delay_alu instid0(VALU_DEP_1) | instskip(NEXT) | instid1(VALU_DEP_1)
	v_and_b32_e32 v1, s30, v1
	v_dual_cndmask_b32 v1, 0, v1 :: v_dual_and_b32 v0, s34, v0
	s_delay_alu instid0(VALU_DEP_1) | instskip(NEXT) | instid1(VALU_DEP_1)
	v_lshlrev_b32_e32 v0, s31, v0
	v_cndmask_b32_e64 v0, 0, v0, s15
	s_delay_alu instid0(VALU_DEP_1) | instskip(NEXT) | instid1(VALU_DEP_1)
	v_or_b32_e32 v0, v1, v0
	v_and_b32_e32 v1, 1, v0
	v_lshlrev_b32_e32 v2, 30, v0
	v_lshlrev_b32_e32 v3, 29, v0
	;; [unrolled: 1-line block ×4, first 2 shown]
	v_add_co_u32 v1, s16, v1, -1
	s_delay_alu instid0(VALU_DEP_1)
	v_cndmask_b32_e64 v5, 0, 1, s16
	v_not_b32_e32 v14, v2
	v_cmp_gt_i32_e64 s17, 0, v2
	v_not_b32_e32 v2, v3
	v_lshlrev_b32_e32 v7, 26, v0
	v_cmp_ne_u32_e64 s16, 0, v5
	v_ashrrev_i32_e32 v14, 31, v14
	v_lshlrev_b32_e32 v13, 25, v0
	v_ashrrev_i32_e32 v2, 31, v2
	v_lshlrev_b32_e32 v5, 24, v0
	v_xor_b32_e32 v1, s16, v1
	v_cmp_gt_i32_e64 s16, 0, v3
	v_not_b32_e32 v3, v4
	v_xor_b32_e32 v14, s17, v14
	v_cmp_gt_i32_e64 s17, 0, v4
	v_and_b32_e32 v1, exec_lo, v1
	v_not_b32_e32 v4, v6
	v_ashrrev_i32_e32 v3, 31, v3
	v_xor_b32_e32 v2, s16, v2
	v_cmp_gt_i32_e64 s16, 0, v6
	v_and_b32_e32 v1, v1, v14
	v_not_b32_e32 v6, v7
	v_ashrrev_i32_e32 v4, 31, v4
	v_xor_b32_e32 v3, s17, v3
	v_cmp_gt_i32_e64 s17, 0, v7
	v_and_b32_e32 v1, v1, v2
	;; [unrolled: 5-line block ×3, first 2 shown]
	v_not_b32_e32 v3, v5
	v_ashrrev_i32_e32 v2, 31, v2
	v_xor_b32_e32 v6, s17, v6
	v_lshlrev_b32_e32 v0, 2, v0
	v_and_b32_e32 v1, v1, v4
	v_cmp_gt_i32_e64 s17, 0, v5
	v_ashrrev_i32_e32 v3, 31, v3
	v_xor_b32_e32 v2, s16, v2
	v_add_lshl_u32 v4, v0, v44, 2
	v_and_b32_e32 v1, v1, v6
	s_delay_alu instid0(VALU_DEP_4) | instskip(SKIP_3) | instid1(VALU_DEP_2)
	v_xor_b32_e32 v0, s17, v3
	ds_load_b32 v13, v4 offset:16
	v_and_b32_e32 v1, v1, v2
	v_add_nc_u32_e32 v15, 16, v4
	; wave barrier
	v_and_b32_e32 v0, v1, v0
	s_delay_alu instid0(VALU_DEP_1) | instskip(SKIP_1) | instid1(VALU_DEP_2)
	v_mbcnt_lo_u32_b32 v14, v0, 0
	v_cmp_ne_u32_e64 s17, 0, v0
	v_cmp_eq_u32_e64 s16, 0, v14
	s_delay_alu instid0(VALU_DEP_1) | instskip(NEXT) | instid1(SALU_CYCLE_1)
	s_and_b32 s17, s16, s17
	s_and_saveexec_b32 s16, s17
	s_cbranch_execz .LBB157_10
; %bb.9:                                ;   in Loop: Header=BB157_4 Depth=2
	s_waitcnt lgkmcnt(0)
	v_bcnt_u32_b32 v0, v0, v13
	ds_store_b32 v15, v0
.LBB157_10:                             ;   in Loop: Header=BB157_4 Depth=2
	s_or_b32 exec_lo, exec_lo, s16
	v_lshrrev_b32_e32 v0, s33, v29
	v_lshrrev_b32_e32 v1, s29, v30
	; wave barrier
	s_delay_alu instid0(VALU_DEP_1) | instskip(NEXT) | instid1(VALU_DEP_1)
	v_and_b32_e32 v1, s30, v1
	v_dual_cndmask_b32 v1, 0, v1 :: v_dual_and_b32 v0, s34, v0
	s_delay_alu instid0(VALU_DEP_1) | instskip(NEXT) | instid1(VALU_DEP_1)
	v_lshlrev_b32_e32 v0, s31, v0
	v_cndmask_b32_e64 v0, 0, v0, s15
	s_delay_alu instid0(VALU_DEP_1) | instskip(NEXT) | instid1(VALU_DEP_1)
	v_or_b32_e32 v0, v1, v0
	v_and_b32_e32 v1, 1, v0
	v_lshlrev_b32_e32 v2, 30, v0
	v_lshlrev_b32_e32 v3, 29, v0
	;; [unrolled: 1-line block ×4, first 2 shown]
	v_add_co_u32 v1, s15, v1, -1
	s_delay_alu instid0(VALU_DEP_1)
	v_cndmask_b32_e64 v5, 0, 1, s15
	v_not_b32_e32 v47, v2
	v_cmp_gt_i32_e64 s15, 0, v2
	v_not_b32_e32 v2, v3
	v_lshlrev_b32_e32 v7, 26, v0
	v_cmp_ne_u32_e32 vcc_lo, 0, v5
	v_ashrrev_i32_e32 v47, 31, v47
	v_lshlrev_b32_e32 v46, 25, v0
	v_ashrrev_i32_e32 v2, 31, v2
	v_lshlrev_b32_e32 v5, 24, v0
	v_xor_b32_e32 v1, vcc_lo, v1
	v_cmp_gt_i32_e32 vcc_lo, 0, v3
	v_not_b32_e32 v3, v4
	v_xor_b32_e32 v47, s15, v47
	v_cmp_gt_i32_e64 s15, 0, v4
	v_and_b32_e32 v1, exec_lo, v1
	v_not_b32_e32 v4, v6
	v_ashrrev_i32_e32 v3, 31, v3
	v_xor_b32_e32 v2, vcc_lo, v2
	v_cmp_gt_i32_e32 vcc_lo, 0, v6
	v_and_b32_e32 v1, v1, v47
	v_not_b32_e32 v6, v7
	v_ashrrev_i32_e32 v4, 31, v4
	v_xor_b32_e32 v3, s15, v3
	v_cmp_gt_i32_e64 s15, 0, v7
	v_and_b32_e32 v1, v1, v2
	v_not_b32_e32 v2, v46
	v_ashrrev_i32_e32 v6, 31, v6
	v_xor_b32_e32 v4, vcc_lo, v4
	v_cmp_gt_i32_e32 vcc_lo, 0, v46
	v_and_b32_e32 v1, v1, v3
	v_not_b32_e32 v3, v5
	v_ashrrev_i32_e32 v2, 31, v2
	v_xor_b32_e32 v6, s15, v6
	v_lshlrev_b32_e32 v0, 2, v0
	v_and_b32_e32 v1, v1, v4
	v_cmp_gt_i32_e64 s15, 0, v5
	v_ashrrev_i32_e32 v3, 31, v3
	v_xor_b32_e32 v2, vcc_lo, v2
	v_add_lshl_u32 v4, v0, v44, 2
	v_and_b32_e32 v1, v1, v6
	s_delay_alu instid0(VALU_DEP_4) | instskip(SKIP_3) | instid1(VALU_DEP_2)
	v_xor_b32_e32 v0, s15, v3
	ds_load_b32 v46, v4 offset:16
	v_and_b32_e32 v1, v1, v2
	v_add_nc_u32_e32 v48, 16, v4
	; wave barrier
	v_and_b32_e32 v0, v1, v0
	s_delay_alu instid0(VALU_DEP_1) | instskip(SKIP_1) | instid1(VALU_DEP_2)
	v_mbcnt_lo_u32_b32 v47, v0, 0
	v_cmp_ne_u32_e64 s15, 0, v0
	v_cmp_eq_u32_e32 vcc_lo, 0, v47
	s_delay_alu instid0(VALU_DEP_2) | instskip(NEXT) | instid1(SALU_CYCLE_1)
	s_and_b32 s16, vcc_lo, s15
	s_and_saveexec_b32 s15, s16
	s_cbranch_execz .LBB157_12
; %bb.11:                               ;   in Loop: Header=BB157_4 Depth=2
	s_waitcnt lgkmcnt(0)
	v_bcnt_u32_b32 v0, v0, v46
	ds_store_b32 v48, v0
.LBB157_12:                             ;   in Loop: Header=BB157_4 Depth=2
	s_or_b32 exec_lo, exec_lo, s15
	; wave barrier
	s_waitcnt lgkmcnt(0)
	s_barrier
	buffer_gl0_inv
	ds_load_2addr_b64 v[4:7], v37 offset0:2 offset1:3
	ds_load_2addr_b64 v[0:3], v38 offset0:2 offset1:3
	s_waitcnt lgkmcnt(1)
	v_add_nc_u32_e32 v49, v5, v4
	s_delay_alu instid0(VALU_DEP_1) | instskip(SKIP_1) | instid1(VALU_DEP_1)
	v_add3_u32 v49, v49, v6, v7
	s_waitcnt lgkmcnt(0)
	v_add3_u32 v49, v49, v0, v1
	s_delay_alu instid0(VALU_DEP_1) | instskip(NEXT) | instid1(VALU_DEP_1)
	v_add3_u32 v3, v49, v2, v3
	v_mov_b32_dpp v49, v3 row_shr:1 row_mask:0xf bank_mask:0xf
	s_delay_alu instid0(VALU_DEP_1) | instskip(NEXT) | instid1(VALU_DEP_1)
	v_cndmask_b32_e64 v49, v49, 0, s5
	v_add_nc_u32_e32 v3, v49, v3
	s_delay_alu instid0(VALU_DEP_1) | instskip(NEXT) | instid1(VALU_DEP_1)
	v_mov_b32_dpp v49, v3 row_shr:2 row_mask:0xf bank_mask:0xf
	v_cndmask_b32_e64 v49, 0, v49, s6
	s_delay_alu instid0(VALU_DEP_1) | instskip(NEXT) | instid1(VALU_DEP_1)
	v_add_nc_u32_e32 v3, v3, v49
	v_mov_b32_dpp v49, v3 row_shr:4 row_mask:0xf bank_mask:0xf
	s_delay_alu instid0(VALU_DEP_1) | instskip(NEXT) | instid1(VALU_DEP_1)
	v_cndmask_b32_e64 v49, 0, v49, s7
	v_add_nc_u32_e32 v3, v3, v49
	s_delay_alu instid0(VALU_DEP_1) | instskip(NEXT) | instid1(VALU_DEP_1)
	v_mov_b32_dpp v49, v3 row_shr:8 row_mask:0xf bank_mask:0xf
	v_cndmask_b32_e64 v49, 0, v49, s8
	s_delay_alu instid0(VALU_DEP_1) | instskip(SKIP_3) | instid1(VALU_DEP_1)
	v_add_nc_u32_e32 v3, v3, v49
	ds_swizzle_b32 v49, v3 offset:swizzle(BROADCAST,32,15)
	s_waitcnt lgkmcnt(0)
	v_cndmask_b32_e64 v49, v49, 0, s9
	v_add_nc_u32_e32 v3, v3, v49
	s_and_saveexec_b32 s15, s14
	s_cbranch_execz .LBB157_14
; %bb.13:                               ;   in Loop: Header=BB157_4 Depth=2
	ds_store_b32 v39, v3
.LBB157_14:                             ;   in Loop: Header=BB157_4 Depth=2
	s_or_b32 exec_lo, exec_lo, s15
	s_waitcnt lgkmcnt(0)
	s_barrier
	buffer_gl0_inv
	s_and_saveexec_b32 s15, s10
	s_cbranch_execz .LBB157_16
; %bb.15:                               ;   in Loop: Header=BB157_4 Depth=2
	ds_load_b32 v49, v41
	s_waitcnt lgkmcnt(0)
	v_mov_b32_dpp v50, v49 row_shr:1 row_mask:0xf bank_mask:0xf
	s_delay_alu instid0(VALU_DEP_1) | instskip(NEXT) | instid1(VALU_DEP_1)
	v_cndmask_b32_e64 v50, v50, 0, s1
	v_add_nc_u32_e32 v49, v50, v49
	s_delay_alu instid0(VALU_DEP_1) | instskip(NEXT) | instid1(VALU_DEP_1)
	v_mov_b32_dpp v50, v49 row_shr:2 row_mask:0xf bank_mask:0xf
	v_cndmask_b32_e64 v50, 0, v50, s13
	s_delay_alu instid0(VALU_DEP_1)
	v_add_nc_u32_e32 v49, v49, v50
	ds_store_b32 v41, v49
.LBB157_16:                             ;   in Loop: Header=BB157_4 Depth=2
	s_or_b32 exec_lo, exec_lo, s15
	v_mov_b32_e32 v49, 0
	s_waitcnt lgkmcnt(0)
	s_barrier
	buffer_gl0_inv
	s_and_saveexec_b32 s15, s11
	s_cbranch_execz .LBB157_18
; %bb.17:                               ;   in Loop: Header=BB157_4 Depth=2
	ds_load_b32 v49, v42
.LBB157_18:                             ;   in Loop: Header=BB157_4 Depth=2
	s_or_b32 exec_lo, exec_lo, s15
	s_waitcnt lgkmcnt(0)
	v_add_nc_u32_e32 v3, v49, v3
	s_cmp_gt_u32 s29, 55
	ds_bpermute_b32 v3, v40, v3
	s_waitcnt lgkmcnt(0)
	v_cndmask_b32_e64 v3, v3, v49, s0
	s_delay_alu instid0(VALU_DEP_1) | instskip(NEXT) | instid1(VALU_DEP_1)
	v_cndmask_b32_e64 v3, v3, 0, s12
	v_add_nc_u32_e32 v4, v3, v4
	s_delay_alu instid0(VALU_DEP_1) | instskip(NEXT) | instid1(VALU_DEP_1)
	v_add_nc_u32_e32 v5, v4, v5
	v_add_nc_u32_e32 v6, v5, v6
	s_delay_alu instid0(VALU_DEP_1) | instskip(SKIP_1) | instid1(VALU_DEP_2)
	v_add_nc_u32_e32 v49, v6, v7
	v_lshlrev_b32_e32 v7, 3, v14
	v_add_nc_u32_e32 v50, v49, v0
	s_delay_alu instid0(VALU_DEP_1) | instskip(NEXT) | instid1(VALU_DEP_1)
	v_add_nc_u32_e32 v0, v50, v1
	v_add_nc_u32_e32 v1, v0, v2
	ds_store_2addr_b64 v37, v[3:4], v[5:6] offset0:2 offset1:3
	ds_store_2addr_b64 v38, v[49:50], v[0:1] offset0:2 offset1:3
	s_waitcnt lgkmcnt(0)
	s_barrier
	buffer_gl0_inv
	ds_load_b32 v0, v12
	ds_load_b32 v1, v15
	;; [unrolled: 1-line block ×4, first 2 shown]
	v_lshlrev_b32_e32 v4, 3, v8
	v_lshlrev_b32_e32 v5, 3, v11
	;; [unrolled: 1-line block ×6, first 2 shown]
	s_waitcnt lgkmcnt(0)
	v_lshlrev_b32_e32 v0, 3, v0
	v_lshlrev_b32_e32 v1, 3, v1
	;; [unrolled: 1-line block ×3, first 2 shown]
	v_lshl_add_u32 v46, v3, 3, v4
	s_delay_alu instid0(VALU_DEP_4) | instskip(NEXT) | instid1(VALU_DEP_4)
	v_add3_u32 v47, v5, v6, v0
	v_add3_u32 v48, v7, v8, v1
	s_delay_alu instid0(VALU_DEP_4)
	v_add3_u32 v49, v9, v10, v2
	s_cbranch_scc0 .LBB157_3
; %bb.19:                               ;   in Loop: Header=BB157_2 Depth=1
                                        ; implicit-def: $sgpr29
                                        ; implicit-def: $vgpr12_vgpr13
                                        ; implicit-def: $vgpr8_vgpr9
                                        ; implicit-def: $vgpr0_vgpr1
                                        ; implicit-def: $vgpr4_vgpr5
                                        ; implicit-def: $sgpr28
                                        ; implicit-def: $sgpr27
	s_branch .LBB157_1
.LBB157_20:
	s_waitcnt lgkmcnt(1)
	v_add_nc_u32_e32 v0, v1, v14
	v_add_nc_u32_e32 v1, v2, v15
	v_lshlrev_b32_e32 v7, 3, v18
	v_add_nc_u32_e32 v12, v12, v16
	v_add_nc_u32_e32 v13, v13, v17
	s_waitcnt lgkmcnt(0)
	v_add_nc_u32_e32 v5, v5, v8
	v_add_nc_u32_e32 v6, v6, v9
	s_add_u32 s0, s18, s20
	v_add_nc_u32_e32 v2, v3, v10
	v_add_nc_u32_e32 v3, v4, v11
	s_addc_u32 s1, s19, s21
	s_clause 0x3
	global_store_b64 v7, v[0:1], s[0:1]
	global_store_b64 v7, v[12:13], s[0:1] offset:1024
	global_store_b64 v7, v[5:6], s[0:1] offset:2048
	;; [unrolled: 1-line block ×3, first 2 shown]
	s_nop 0
	s_sendmsg sendmsg(MSG_DEALLOC_VGPRS)
	s_endpgm
	.section	.rodata,"a",@progbits
	.p2align	6, 0x0
	.amdhsa_kernel _Z17sort_pairs_kernelI22helper_blocked_blockedN15benchmark_utils11custom_typeIiiEELj128ELj4ELj10EEvPKT0_PS4_
		.amdhsa_group_segment_fixed_size 4112
		.amdhsa_private_segment_fixed_size 0
		.amdhsa_kernarg_size 272
		.amdhsa_user_sgpr_count 15
		.amdhsa_user_sgpr_dispatch_ptr 0
		.amdhsa_user_sgpr_queue_ptr 0
		.amdhsa_user_sgpr_kernarg_segment_ptr 1
		.amdhsa_user_sgpr_dispatch_id 0
		.amdhsa_user_sgpr_private_segment_size 0
		.amdhsa_wavefront_size32 1
		.amdhsa_uses_dynamic_stack 0
		.amdhsa_enable_private_segment 0
		.amdhsa_system_sgpr_workgroup_id_x 1
		.amdhsa_system_sgpr_workgroup_id_y 0
		.amdhsa_system_sgpr_workgroup_id_z 0
		.amdhsa_system_sgpr_workgroup_info 0
		.amdhsa_system_vgpr_workitem_id 2
		.amdhsa_next_free_vgpr 52
		.amdhsa_next_free_sgpr 35
		.amdhsa_reserve_vcc 1
		.amdhsa_float_round_mode_32 0
		.amdhsa_float_round_mode_16_64 0
		.amdhsa_float_denorm_mode_32 3
		.amdhsa_float_denorm_mode_16_64 3
		.amdhsa_dx10_clamp 1
		.amdhsa_ieee_mode 1
		.amdhsa_fp16_overflow 0
		.amdhsa_workgroup_processor_mode 1
		.amdhsa_memory_ordered 1
		.amdhsa_forward_progress 0
		.amdhsa_shared_vgpr_count 0
		.amdhsa_exception_fp_ieee_invalid_op 0
		.amdhsa_exception_fp_denorm_src 0
		.amdhsa_exception_fp_ieee_div_zero 0
		.amdhsa_exception_fp_ieee_overflow 0
		.amdhsa_exception_fp_ieee_underflow 0
		.amdhsa_exception_fp_ieee_inexact 0
		.amdhsa_exception_int_div_zero 0
	.end_amdhsa_kernel
	.section	.text._Z17sort_pairs_kernelI22helper_blocked_blockedN15benchmark_utils11custom_typeIiiEELj128ELj4ELj10EEvPKT0_PS4_,"axG",@progbits,_Z17sort_pairs_kernelI22helper_blocked_blockedN15benchmark_utils11custom_typeIiiEELj128ELj4ELj10EEvPKT0_PS4_,comdat
.Lfunc_end157:
	.size	_Z17sort_pairs_kernelI22helper_blocked_blockedN15benchmark_utils11custom_typeIiiEELj128ELj4ELj10EEvPKT0_PS4_, .Lfunc_end157-_Z17sort_pairs_kernelI22helper_blocked_blockedN15benchmark_utils11custom_typeIiiEELj128ELj4ELj10EEvPKT0_PS4_
                                        ; -- End function
	.section	.AMDGPU.csdata,"",@progbits
; Kernel info:
; codeLenInByte = 4604
; NumSgprs: 37
; NumVgprs: 52
; ScratchSize: 0
; MemoryBound: 0
; FloatMode: 240
; IeeeMode: 1
; LDSByteSize: 4112 bytes/workgroup (compile time only)
; SGPRBlocks: 4
; VGPRBlocks: 6
; NumSGPRsForWavesPerEU: 37
; NumVGPRsForWavesPerEU: 52
; Occupancy: 16
; WaveLimiterHint : 1
; COMPUTE_PGM_RSRC2:SCRATCH_EN: 0
; COMPUTE_PGM_RSRC2:USER_SGPR: 15
; COMPUTE_PGM_RSRC2:TRAP_HANDLER: 0
; COMPUTE_PGM_RSRC2:TGID_X_EN: 1
; COMPUTE_PGM_RSRC2:TGID_Y_EN: 0
; COMPUTE_PGM_RSRC2:TGID_Z_EN: 0
; COMPUTE_PGM_RSRC2:TIDIG_COMP_CNT: 2
	.section	.text._Z16sort_keys_kernelI22helper_blocked_blockedN15benchmark_utils11custom_typeIiiEELj128ELj8ELj10EEvPKT0_PS4_,"axG",@progbits,_Z16sort_keys_kernelI22helper_blocked_blockedN15benchmark_utils11custom_typeIiiEELj128ELj8ELj10EEvPKT0_PS4_,comdat
	.protected	_Z16sort_keys_kernelI22helper_blocked_blockedN15benchmark_utils11custom_typeIiiEELj128ELj8ELj10EEvPKT0_PS4_ ; -- Begin function _Z16sort_keys_kernelI22helper_blocked_blockedN15benchmark_utils11custom_typeIiiEELj128ELj8ELj10EEvPKT0_PS4_
	.globl	_Z16sort_keys_kernelI22helper_blocked_blockedN15benchmark_utils11custom_typeIiiEELj128ELj8ELj10EEvPKT0_PS4_
	.p2align	8
	.type	_Z16sort_keys_kernelI22helper_blocked_blockedN15benchmark_utils11custom_typeIiiEELj128ELj8ELj10EEvPKT0_PS4_,@function
_Z16sort_keys_kernelI22helper_blocked_blockedN15benchmark_utils11custom_typeIiiEELj128ELj8ELj10EEvPKT0_PS4_: ; @_Z16sort_keys_kernelI22helper_blocked_blockedN15benchmark_utils11custom_typeIiiEELj128ELj8ELj10EEvPKT0_PS4_
; %bb.0:
	s_clause 0x1
	s_load_b128 s[16:19], s[0:1], 0x0
	s_load_b32 s2, s[0:1], 0x1c
	v_and_b32_e32 v16, 0x3ff, v0
	s_mov_b32 s23, 0
	s_lshl_b32 s22, s15, 10
	v_mbcnt_lo_u32_b32 v21, -1, 0
	s_lshl_b64 s[20:21], s[22:23], 3
	v_lshlrev_b32_e32 v15, 3, v16
	v_bfe_u32 v19, v0, 10, 10
	v_bfe_u32 v0, v0, 20, 10
	v_and_b32_e32 v22, 0x60, v16
	v_lshlrev_b32_e32 v33, 5, v16
	v_cmp_gt_u32_e64 s6, 4, v16
	v_cmp_lt_u32_e64 s7, 31, v16
	v_cmp_eq_u32_e64 s8, 0, v21
	v_or_b32_e32 v23, v21, v22
	v_mad_i32_i24 v40, 0xffffffe4, v16, v33
	v_or_b32_e32 v36, 16, v33
	v_cmp_eq_u32_e64 s9, 0, v16
	s_mov_b32 s22, s23
	s_waitcnt lgkmcnt(0)
	s_add_u32 s0, s16, s20
	s_addc_u32 s1, s17, s21
	v_add_co_u32 v1, s3, s0, v15
	s_delay_alu instid0(VALU_DEP_1) | instskip(SKIP_1) | instid1(VALU_DEP_3)
	v_add_co_ci_u32_e64 v2, null, s1, 0, s3
	v_lshlrev_b32_e32 v34, 6, v23
	v_add_co_u32 v17, vcc_lo, 0x1000, v1
	s_delay_alu instid0(VALU_DEP_3)
	v_add_co_ci_u32_e32 v18, vcc_lo, 0, v2, vcc_lo
	s_clause 0x7
	global_load_b64 v[1:2], v15, s[0:1]
	global_load_b64 v[3:4], v15, s[0:1] offset:1024
	global_load_b64 v[5:6], v15, s[0:1] offset:2048
	;; [unrolled: 1-line block ×3, first 2 shown]
	global_load_b64 v[9:10], v[17:18], off
	global_load_b64 v[11:12], v[17:18], off offset:1024
	global_load_b64 v[13:14], v[17:18], off offset:2048
	;; [unrolled: 1-line block ×3, first 2 shown]
	s_lshr_b32 s0, s2, 16
	s_mov_b32 s16, s23
	v_mad_u32_u24 v0, v0, s0, v19
	s_and_b32 s0, s2, 0xffff
	s_mov_b32 s17, s23
	s_mov_b32 s15, s23
	s_waitcnt vmcnt(0)
	v_mad_u64_u32 v[19:20], null, v0, s0, v[16:17]
	v_and_or_b32 v0, 0x300, v15, v21
	v_and_b32_e32 v15, 15, v21
	v_or_b32_e32 v20, 31, v22
	s_delay_alu instid0(VALU_DEP_3)
	v_lshlrev_b32_e32 v35, 3, v0
	v_lshrrev_b32_e32 v37, 5, v19
	v_add_nc_u32_e32 v19, -1, v21
	v_and_b32_e32 v0, 16, v21
	v_cmp_eq_u32_e64 s0, 0, v15
	v_cmp_lt_u32_e64 s1, 1, v15
	v_cmp_lt_u32_e64 s2, 3, v15
	v_cmp_gt_i32_e32 vcc_lo, 0, v19
	v_cmp_lt_u32_e64 s3, 7, v15
	v_cmp_eq_u32_e64 s4, 0, v0
	v_lshrrev_b32_e32 v15, 3, v16
	v_cmp_eq_u32_e64 s5, v20, v16
	s_delay_alu instid0(VALU_DEP_2) | instskip(SKIP_1) | instid1(VALU_DEP_2)
	v_dual_cndmask_b32 v0, v19, v21 :: v_dual_and_b32 v39, 12, v15
	v_mul_u32_u24_e32 v15, 60, v16
	v_lshlrev_b32_e32 v38, 2, v0
	v_and_b32_e32 v0, 3, v21
	s_delay_alu instid0(VALU_DEP_4) | instskip(NEXT) | instid1(VALU_DEP_4)
	v_add_nc_u32_e32 v41, -4, v39
	v_add_nc_u32_e32 v42, v40, v15
	s_delay_alu instid0(VALU_DEP_3)
	v_cmp_eq_u32_e64 s10, 0, v0
	v_cmp_lt_u32_e64 s11, 1, v0
	s_branch .LBB158_2
.LBB158_1:                              ;   in Loop: Header=BB158_2 Depth=1
	s_barrier
	buffer_gl0_inv
	ds_store_b64 v43, v[17:18]
	ds_store_b64 v44, v[21:22]
	;; [unrolled: 1-line block ×8, first 2 shown]
	s_waitcnt lgkmcnt(0)
	s_barrier
	buffer_gl0_inv
	ds_load_2addr_b64 v[1:4], v42 offset1:1
	ds_load_2addr_b64 v[5:8], v42 offset0:2 offset1:3
	ds_load_2addr_b64 v[9:12], v42 offset0:4 offset1:5
	;; [unrolled: 1-line block ×3, first 2 shown]
	s_add_i32 s15, s15, 1
	s_delay_alu instid0(SALU_CYCLE_1)
	s_cmp_eq_u32 s15, 10
	s_waitcnt lgkmcnt(3)
	v_xor_b32_e32 v1, 0x80000000, v1
	v_xor_b32_e32 v2, 0x80000000, v2
	v_xor_b32_e32 v3, 0x80000000, v3
	v_xor_b32_e32 v4, 0x80000000, v4
	s_waitcnt lgkmcnt(2)
	v_xor_b32_e32 v5, 0x80000000, v5
	v_xor_b32_e32 v6, 0x80000000, v6
	v_xor_b32_e32 v7, 0x80000000, v7
	v_xor_b32_e32 v8, 0x80000000, v8
	;; [unrolled: 5-line block ×4, first 2 shown]
	s_cbranch_scc1 .LBB158_28
.LBB158_2:                              ; =>This Loop Header: Depth=1
                                        ;     Child Loop BB158_4 Depth 2
	v_xor_b32_e32 v2, 0x80000000, v2
	v_xor_b32_e32 v1, 0x80000000, v1
	;; [unrolled: 1-line block ×16, first 2 shown]
	ds_store_2addr_b64 v34, v[1:2], v[3:4] offset1:1
	ds_store_2addr_b64 v34, v[5:6], v[7:8] offset0:2 offset1:3
	ds_store_2addr_b64 v34, v[9:10], v[11:12] offset0:4 offset1:5
	;; [unrolled: 1-line block ×3, first 2 shown]
	; wave barrier
	ds_load_2addr_b64 v[0:3], v35 offset1:32
	ds_load_2addr_b64 v[4:7], v35 offset0:64 offset1:96
	ds_load_2addr_b64 v[8:11], v35 offset0:128 offset1:160
	ds_load_2addr_b64 v[12:15], v35 offset0:192 offset1:224
	s_mov_b32 s24, 8
	s_mov_b32 s25, 32
	;; [unrolled: 1-line block ×3, first 2 shown]
	s_waitcnt lgkmcnt(0)
	s_barrier
	buffer_gl0_inv
	; wave barrier
	s_barrier
	s_branch .LBB158_4
.LBB158_3:                              ;   in Loop: Header=BB158_4 Depth=2
	s_barrier
	buffer_gl0_inv
	ds_store_b64 v43, v[17:18]
	ds_store_b64 v44, v[21:22]
	;; [unrolled: 1-line block ×8, first 2 shown]
	s_waitcnt lgkmcnt(0)
	s_barrier
	buffer_gl0_inv
	ds_load_2addr_b64 v[0:3], v35 offset1:32
	ds_load_2addr_b64 v[4:7], v35 offset0:64 offset1:96
	ds_load_2addr_b64 v[8:11], v35 offset0:128 offset1:160
	;; [unrolled: 1-line block ×3, first 2 shown]
	s_add_i32 s25, s25, -8
	s_add_i32 s24, s24, 8
	s_add_i32 s26, s26, 8
	s_waitcnt lgkmcnt(0)
	s_barrier
	s_cbranch_execz .LBB158_1
.LBB158_4:                              ;   Parent Loop BB158_2 Depth=1
                                        ; =>  This Inner Loop Header: Depth=2
	s_min_i32 s13, s24, 32
	s_cmp_lt_u32 s26, 32
	v_dual_mov_b32 v18, v1 :: v_dual_mov_b32 v17, v0
	s_cselect_b32 vcc_lo, -1, 0
	s_cmp_gt_u32 s26, 24
	v_mov_b32_e32 v30, v15
	s_cselect_b32 s12, -1, 0
	s_sub_i32 s13, s13, 32
	v_lshrrev_b32_e32 v1, s26, v18
	s_add_i32 s14, s13, s25
	v_mov_b32_e32 v32, v13
	s_lshl_b32 s14, -1, s14
	buffer_gl0_inv
	s_not_b32 s14, s14
	s_cmp_lg_u32 s13, s26
	v_mov_b32_e32 v28, v7
	s_cselect_b32 s27, s14, -1
	s_max_i32 s28, s25, 0
	s_max_i32 s13, s26, 32
	v_and_b32_e32 v1, s27, v1
	s_sub_i32 s14, s13, s28
	s_sub_i32 s29, s13, 32
	;; [unrolled: 1-line block ×3, first 2 shown]
	v_lshrrev_b32_e32 v0, s29, v17
	s_min_i32 s13, s14, 32
	v_cndmask_b32_e32 v1, 0, v1, vcc_lo
	s_sub_i32 s13, s13, s29
	v_mov_b32_e32 v27, v6
	s_lshl_b32 s14, -1, s13
	v_mov_b32_e32 v29, v14
	s_not_b32 s14, s14
	s_cmp_lg_u32 s13, 32
	v_mov_b32_e32 v31, v12
	s_cselect_b32 s30, s14, -1
	s_delay_alu instid0(SALU_CYCLE_1) | instskip(NEXT) | instid1(VALU_DEP_1)
	v_and_b32_e32 v0, s30, v0
	v_lshlrev_b32_e32 v0, s28, v0
	s_delay_alu instid0(VALU_DEP_1) | instskip(NEXT) | instid1(VALU_DEP_1)
	v_cndmask_b32_e64 v0, 0, v0, s12
	v_or_b32_e32 v43, v1, v0
	s_delay_alu instid0(VALU_DEP_1)
	v_and_b32_e32 v0, 1, v43
	v_lshlrev_b32_e32 v1, 30, v43
	v_lshlrev_b32_e32 v19, 29, v43
	;; [unrolled: 1-line block ×4, first 2 shown]
	v_add_co_u32 v0, s13, v0, -1
	s_delay_alu instid0(VALU_DEP_1)
	v_cndmask_b32_e64 v21, 0, 1, s13
	v_not_b32_e32 v25, v1
	v_cmp_gt_i32_e64 s14, 0, v1
	v_not_b32_e32 v1, v19
	v_lshlrev_b32_e32 v23, 26, v43
	v_cmp_ne_u32_e64 s13, 0, v21
	v_ashrrev_i32_e32 v25, 31, v25
	v_lshlrev_b32_e32 v24, 25, v43
	v_ashrrev_i32_e32 v1, 31, v1
	v_lshlrev_b32_e32 v21, 24, v43
	v_xor_b32_e32 v0, s13, v0
	v_xor_b32_e32 v25, s14, v25
	v_cmp_gt_i32_e64 s13, 0, v19
	v_not_b32_e32 v19, v20
	v_cmp_gt_i32_e64 s14, 0, v20
	v_and_b32_e32 v0, exec_lo, v0
	s_delay_alu instid0(VALU_DEP_4) | instskip(NEXT) | instid1(VALU_DEP_4)
	v_xor_b32_e32 v1, s13, v1
	v_ashrrev_i32_e32 v19, 31, v19
	s_delay_alu instid0(VALU_DEP_3)
	v_and_b32_e32 v0, v0, v25
	v_dual_mov_b32 v26, v9 :: v_dual_mov_b32 v25, v8
	v_not_b32_e32 v20, v22
	v_cmp_gt_i32_e64 s13, 0, v22
	v_not_b32_e32 v22, v23
	v_xor_b32_e32 v19, s14, v19
	v_and_b32_e32 v0, v0, v1
	v_ashrrev_i32_e32 v20, 31, v20
	v_cmp_gt_i32_e64 s14, 0, v23
	v_not_b32_e32 v1, v24
	v_ashrrev_i32_e32 v22, 31, v22
	v_and_b32_e32 v0, v0, v19
	v_xor_b32_e32 v20, s13, v20
	v_cmp_gt_i32_e64 s13, 0, v24
	v_not_b32_e32 v19, v21
	v_ashrrev_i32_e32 v1, 31, v1
	v_xor_b32_e32 v22, s14, v22
	v_and_b32_e32 v0, v0, v20
	v_cmp_gt_i32_e64 s14, 0, v21
	v_ashrrev_i32_e32 v23, 31, v19
	v_xor_b32_e32 v1, s13, v1
	v_mov_b32_e32 v20, v5
	v_and_b32_e32 v0, v0, v22
	v_dual_mov_b32 v22, v3 :: v_dual_mov_b32 v21, v2
	v_xor_b32_e32 v3, s14, v23
	v_mov_b32_e32 v19, v4
	s_delay_alu instid0(VALU_DEP_4) | instskip(SKIP_2) | instid1(VALU_DEP_3)
	v_dual_mov_b32 v1, s22 :: v_dual_and_b32 v0, v0, v1
	v_mov_b32_e32 v2, s23
	v_dual_mov_b32 v24, v11 :: v_dual_mov_b32 v23, v10
	v_dual_mov_b32 v3, s16 :: v_dual_and_b32 v0, v0, v3
	v_mov_b32_e32 v4, s17
	ds_store_2addr_b64 v33, v[1:2], v[3:4] offset0:2 offset1:3
	ds_store_2addr_b64 v36, v[1:2], v[3:4] offset0:2 offset1:3
	v_mbcnt_lo_u32_b32 v9, v0, 0
	v_lshl_add_u32 v1, v43, 2, v37
	v_cmp_ne_u32_e64 s14, 0, v0
	s_waitcnt lgkmcnt(0)
	s_barrier
	v_cmp_eq_u32_e64 s13, 0, v9
	v_lshl_add_u32 v8, v1, 2, 16
	buffer_gl0_inv
	; wave barrier
	s_and_b32 s14, s13, s14
	s_delay_alu instid0(SALU_CYCLE_1)
	s_and_saveexec_b32 s13, s14
	s_cbranch_execz .LBB158_6
; %bb.5:                                ;   in Loop: Header=BB158_4 Depth=2
	v_bcnt_u32_b32 v0, v0, 0
	ds_store_b32 v8, v0
.LBB158_6:                              ;   in Loop: Header=BB158_4 Depth=2
	s_or_b32 exec_lo, exec_lo, s13
	v_lshrrev_b32_e32 v0, s29, v21
	v_lshrrev_b32_e32 v1, s26, v22
	; wave barrier
	s_delay_alu instid0(VALU_DEP_1) | instskip(NEXT) | instid1(VALU_DEP_1)
	v_and_b32_e32 v1, s27, v1
	v_dual_cndmask_b32 v1, 0, v1 :: v_dual_and_b32 v0, s30, v0
	s_delay_alu instid0(VALU_DEP_1) | instskip(NEXT) | instid1(VALU_DEP_1)
	v_lshlrev_b32_e32 v0, s28, v0
	v_cndmask_b32_e64 v0, 0, v0, s12
	s_delay_alu instid0(VALU_DEP_1) | instskip(NEXT) | instid1(VALU_DEP_1)
	v_or_b32_e32 v0, v1, v0
	v_and_b32_e32 v1, 1, v0
	v_lshlrev_b32_e32 v2, 30, v0
	v_lshlrev_b32_e32 v3, 29, v0
	;; [unrolled: 1-line block ×4, first 2 shown]
	v_add_co_u32 v1, s13, v1, -1
	s_delay_alu instid0(VALU_DEP_1)
	v_cndmask_b32_e64 v5, 0, 1, s13
	v_not_b32_e32 v11, v2
	v_cmp_gt_i32_e64 s14, 0, v2
	v_not_b32_e32 v2, v3
	v_lshlrev_b32_e32 v7, 26, v0
	v_cmp_ne_u32_e64 s13, 0, v5
	v_ashrrev_i32_e32 v11, 31, v11
	v_lshlrev_b32_e32 v10, 25, v0
	v_ashrrev_i32_e32 v2, 31, v2
	v_lshlrev_b32_e32 v5, 24, v0
	v_xor_b32_e32 v1, s13, v1
	v_cmp_gt_i32_e64 s13, 0, v3
	v_not_b32_e32 v3, v4
	v_xor_b32_e32 v11, s14, v11
	v_cmp_gt_i32_e64 s14, 0, v4
	v_and_b32_e32 v1, exec_lo, v1
	v_not_b32_e32 v4, v6
	v_ashrrev_i32_e32 v3, 31, v3
	v_xor_b32_e32 v2, s13, v2
	v_cmp_gt_i32_e64 s13, 0, v6
	v_and_b32_e32 v1, v1, v11
	v_not_b32_e32 v6, v7
	v_ashrrev_i32_e32 v4, 31, v4
	v_xor_b32_e32 v3, s14, v3
	v_cmp_gt_i32_e64 s14, 0, v7
	v_and_b32_e32 v1, v1, v2
	v_not_b32_e32 v2, v10
	v_ashrrev_i32_e32 v6, 31, v6
	v_xor_b32_e32 v4, s13, v4
	v_cmp_gt_i32_e64 s13, 0, v10
	v_and_b32_e32 v1, v1, v3
	v_not_b32_e32 v3, v5
	v_ashrrev_i32_e32 v2, 31, v2
	v_xor_b32_e32 v6, s14, v6
	v_lshlrev_b32_e32 v0, 2, v0
	v_and_b32_e32 v1, v1, v4
	v_cmp_gt_i32_e64 s14, 0, v5
	v_ashrrev_i32_e32 v3, 31, v3
	v_xor_b32_e32 v2, s13, v2
	v_add_lshl_u32 v4, v0, v37, 2
	v_and_b32_e32 v1, v1, v6
	s_delay_alu instid0(VALU_DEP_4) | instskip(SKIP_3) | instid1(VALU_DEP_2)
	v_xor_b32_e32 v0, s14, v3
	ds_load_b32 v10, v4 offset:16
	v_and_b32_e32 v1, v1, v2
	v_add_nc_u32_e32 v11, 16, v4
	; wave barrier
	v_and_b32_e32 v0, v1, v0
	s_delay_alu instid0(VALU_DEP_1) | instskip(SKIP_1) | instid1(VALU_DEP_2)
	v_mbcnt_lo_u32_b32 v12, v0, 0
	v_cmp_ne_u32_e64 s14, 0, v0
	v_cmp_eq_u32_e64 s13, 0, v12
	s_delay_alu instid0(VALU_DEP_1) | instskip(NEXT) | instid1(SALU_CYCLE_1)
	s_and_b32 s14, s13, s14
	s_and_saveexec_b32 s13, s14
	s_cbranch_execz .LBB158_8
; %bb.7:                                ;   in Loop: Header=BB158_4 Depth=2
	s_waitcnt lgkmcnt(0)
	v_bcnt_u32_b32 v0, v0, v10
	ds_store_b32 v11, v0
.LBB158_8:                              ;   in Loop: Header=BB158_4 Depth=2
	s_or_b32 exec_lo, exec_lo, s13
	v_lshrrev_b32_e32 v0, s29, v19
	v_lshrrev_b32_e32 v1, s26, v20
	; wave barrier
	s_delay_alu instid0(VALU_DEP_1) | instskip(NEXT) | instid1(VALU_DEP_1)
	v_and_b32_e32 v1, s27, v1
	v_dual_cndmask_b32 v1, 0, v1 :: v_dual_and_b32 v0, s30, v0
	s_delay_alu instid0(VALU_DEP_1) | instskip(NEXT) | instid1(VALU_DEP_1)
	v_lshlrev_b32_e32 v0, s28, v0
	v_cndmask_b32_e64 v0, 0, v0, s12
	s_delay_alu instid0(VALU_DEP_1) | instskip(NEXT) | instid1(VALU_DEP_1)
	v_or_b32_e32 v0, v1, v0
	v_and_b32_e32 v1, 1, v0
	v_lshlrev_b32_e32 v2, 30, v0
	v_lshlrev_b32_e32 v3, 29, v0
	;; [unrolled: 1-line block ×4, first 2 shown]
	v_add_co_u32 v1, s13, v1, -1
	s_delay_alu instid0(VALU_DEP_1)
	v_cndmask_b32_e64 v5, 0, 1, s13
	v_not_b32_e32 v14, v2
	v_cmp_gt_i32_e64 s14, 0, v2
	v_not_b32_e32 v2, v3
	v_lshlrev_b32_e32 v7, 26, v0
	v_cmp_ne_u32_e64 s13, 0, v5
	v_ashrrev_i32_e32 v14, 31, v14
	v_lshlrev_b32_e32 v13, 25, v0
	v_ashrrev_i32_e32 v2, 31, v2
	v_lshlrev_b32_e32 v5, 24, v0
	v_xor_b32_e32 v1, s13, v1
	v_cmp_gt_i32_e64 s13, 0, v3
	v_not_b32_e32 v3, v4
	v_xor_b32_e32 v14, s14, v14
	v_cmp_gt_i32_e64 s14, 0, v4
	v_and_b32_e32 v1, exec_lo, v1
	v_not_b32_e32 v4, v6
	v_ashrrev_i32_e32 v3, 31, v3
	v_xor_b32_e32 v2, s13, v2
	v_cmp_gt_i32_e64 s13, 0, v6
	v_and_b32_e32 v1, v1, v14
	v_not_b32_e32 v6, v7
	v_ashrrev_i32_e32 v4, 31, v4
	v_xor_b32_e32 v3, s14, v3
	v_cmp_gt_i32_e64 s14, 0, v7
	v_and_b32_e32 v1, v1, v2
	;; [unrolled: 5-line block ×3, first 2 shown]
	v_not_b32_e32 v3, v5
	v_ashrrev_i32_e32 v2, 31, v2
	v_xor_b32_e32 v6, s14, v6
	v_lshlrev_b32_e32 v0, 2, v0
	v_and_b32_e32 v1, v1, v4
	v_cmp_gt_i32_e64 s14, 0, v5
	v_ashrrev_i32_e32 v3, 31, v3
	v_xor_b32_e32 v2, s13, v2
	v_add_lshl_u32 v4, v0, v37, 2
	v_and_b32_e32 v1, v1, v6
	s_delay_alu instid0(VALU_DEP_4) | instskip(SKIP_3) | instid1(VALU_DEP_2)
	v_xor_b32_e32 v0, s14, v3
	ds_load_b32 v13, v4 offset:16
	v_and_b32_e32 v1, v1, v2
	v_add_nc_u32_e32 v15, 16, v4
	; wave barrier
	v_and_b32_e32 v0, v1, v0
	s_delay_alu instid0(VALU_DEP_1) | instskip(SKIP_1) | instid1(VALU_DEP_2)
	v_mbcnt_lo_u32_b32 v14, v0, 0
	v_cmp_ne_u32_e64 s14, 0, v0
	v_cmp_eq_u32_e64 s13, 0, v14
	s_delay_alu instid0(VALU_DEP_1) | instskip(NEXT) | instid1(SALU_CYCLE_1)
	s_and_b32 s14, s13, s14
	s_and_saveexec_b32 s13, s14
	s_cbranch_execz .LBB158_10
; %bb.9:                                ;   in Loop: Header=BB158_4 Depth=2
	s_waitcnt lgkmcnt(0)
	v_bcnt_u32_b32 v0, v0, v13
	ds_store_b32 v15, v0
.LBB158_10:                             ;   in Loop: Header=BB158_4 Depth=2
	s_or_b32 exec_lo, exec_lo, s13
	v_lshrrev_b32_e32 v0, s29, v27
	v_lshrrev_b32_e32 v1, s26, v28
	; wave barrier
	s_delay_alu instid0(VALU_DEP_1) | instskip(NEXT) | instid1(VALU_DEP_1)
	v_and_b32_e32 v1, s27, v1
	v_dual_cndmask_b32 v1, 0, v1 :: v_dual_and_b32 v0, s30, v0
	s_delay_alu instid0(VALU_DEP_1) | instskip(NEXT) | instid1(VALU_DEP_1)
	v_lshlrev_b32_e32 v0, s28, v0
	v_cndmask_b32_e64 v0, 0, v0, s12
	s_delay_alu instid0(VALU_DEP_1) | instskip(NEXT) | instid1(VALU_DEP_1)
	v_or_b32_e32 v0, v1, v0
	v_and_b32_e32 v1, 1, v0
	v_lshlrev_b32_e32 v2, 30, v0
	v_lshlrev_b32_e32 v3, 29, v0
	;; [unrolled: 1-line block ×4, first 2 shown]
	v_add_co_u32 v1, s13, v1, -1
	s_delay_alu instid0(VALU_DEP_1)
	v_cndmask_b32_e64 v5, 0, 1, s13
	v_not_b32_e32 v44, v2
	v_cmp_gt_i32_e64 s14, 0, v2
	v_not_b32_e32 v2, v3
	v_lshlrev_b32_e32 v7, 26, v0
	v_cmp_ne_u32_e64 s13, 0, v5
	v_ashrrev_i32_e32 v44, 31, v44
	v_lshlrev_b32_e32 v43, 25, v0
	v_ashrrev_i32_e32 v2, 31, v2
	v_lshlrev_b32_e32 v5, 24, v0
	v_xor_b32_e32 v1, s13, v1
	v_cmp_gt_i32_e64 s13, 0, v3
	v_not_b32_e32 v3, v4
	v_xor_b32_e32 v44, s14, v44
	v_cmp_gt_i32_e64 s14, 0, v4
	v_and_b32_e32 v1, exec_lo, v1
	v_not_b32_e32 v4, v6
	v_ashrrev_i32_e32 v3, 31, v3
	v_xor_b32_e32 v2, s13, v2
	v_cmp_gt_i32_e64 s13, 0, v6
	v_and_b32_e32 v1, v1, v44
	v_not_b32_e32 v6, v7
	v_ashrrev_i32_e32 v4, 31, v4
	v_xor_b32_e32 v3, s14, v3
	v_cmp_gt_i32_e64 s14, 0, v7
	v_and_b32_e32 v1, v1, v2
	;; [unrolled: 5-line block ×3, first 2 shown]
	v_not_b32_e32 v3, v5
	v_ashrrev_i32_e32 v2, 31, v2
	v_xor_b32_e32 v6, s14, v6
	v_lshlrev_b32_e32 v0, 2, v0
	v_and_b32_e32 v1, v1, v4
	v_cmp_gt_i32_e64 s14, 0, v5
	v_ashrrev_i32_e32 v3, 31, v3
	v_xor_b32_e32 v2, s13, v2
	v_add_lshl_u32 v4, v0, v37, 2
	v_and_b32_e32 v1, v1, v6
	s_delay_alu instid0(VALU_DEP_4) | instskip(SKIP_3) | instid1(VALU_DEP_2)
	v_xor_b32_e32 v0, s14, v3
	ds_load_b32 v43, v4 offset:16
	v_and_b32_e32 v1, v1, v2
	v_add_nc_u32_e32 v45, 16, v4
	; wave barrier
	v_and_b32_e32 v0, v1, v0
	s_delay_alu instid0(VALU_DEP_1) | instskip(SKIP_1) | instid1(VALU_DEP_2)
	v_mbcnt_lo_u32_b32 v44, v0, 0
	v_cmp_ne_u32_e64 s14, 0, v0
	v_cmp_eq_u32_e64 s13, 0, v44
	s_delay_alu instid0(VALU_DEP_1) | instskip(NEXT) | instid1(SALU_CYCLE_1)
	s_and_b32 s14, s13, s14
	s_and_saveexec_b32 s13, s14
	s_cbranch_execz .LBB158_12
; %bb.11:                               ;   in Loop: Header=BB158_4 Depth=2
	s_waitcnt lgkmcnt(0)
	v_bcnt_u32_b32 v0, v0, v43
	ds_store_b32 v45, v0
.LBB158_12:                             ;   in Loop: Header=BB158_4 Depth=2
	s_or_b32 exec_lo, exec_lo, s13
	v_lshrrev_b32_e32 v0, s29, v25
	v_lshrrev_b32_e32 v1, s26, v26
	; wave barrier
	s_delay_alu instid0(VALU_DEP_1) | instskip(NEXT) | instid1(VALU_DEP_1)
	v_and_b32_e32 v1, s27, v1
	v_dual_cndmask_b32 v1, 0, v1 :: v_dual_and_b32 v0, s30, v0
	s_delay_alu instid0(VALU_DEP_1) | instskip(NEXT) | instid1(VALU_DEP_1)
	v_lshlrev_b32_e32 v0, s28, v0
	v_cndmask_b32_e64 v0, 0, v0, s12
	s_delay_alu instid0(VALU_DEP_1) | instskip(NEXT) | instid1(VALU_DEP_1)
	v_or_b32_e32 v0, v1, v0
	v_and_b32_e32 v1, 1, v0
	v_lshlrev_b32_e32 v2, 30, v0
	v_lshlrev_b32_e32 v3, 29, v0
	;; [unrolled: 1-line block ×4, first 2 shown]
	v_add_co_u32 v1, s13, v1, -1
	s_delay_alu instid0(VALU_DEP_1)
	v_cndmask_b32_e64 v5, 0, 1, s13
	v_not_b32_e32 v47, v2
	v_cmp_gt_i32_e64 s14, 0, v2
	v_not_b32_e32 v2, v3
	v_lshlrev_b32_e32 v7, 26, v0
	v_cmp_ne_u32_e64 s13, 0, v5
	v_ashrrev_i32_e32 v47, 31, v47
	v_lshlrev_b32_e32 v46, 25, v0
	v_ashrrev_i32_e32 v2, 31, v2
	v_lshlrev_b32_e32 v5, 24, v0
	v_xor_b32_e32 v1, s13, v1
	v_cmp_gt_i32_e64 s13, 0, v3
	v_not_b32_e32 v3, v4
	v_xor_b32_e32 v47, s14, v47
	v_cmp_gt_i32_e64 s14, 0, v4
	v_and_b32_e32 v1, exec_lo, v1
	v_not_b32_e32 v4, v6
	v_ashrrev_i32_e32 v3, 31, v3
	v_xor_b32_e32 v2, s13, v2
	v_cmp_gt_i32_e64 s13, 0, v6
	v_and_b32_e32 v1, v1, v47
	v_not_b32_e32 v6, v7
	v_ashrrev_i32_e32 v4, 31, v4
	v_xor_b32_e32 v3, s14, v3
	v_cmp_gt_i32_e64 s14, 0, v7
	v_and_b32_e32 v1, v1, v2
	;; [unrolled: 5-line block ×3, first 2 shown]
	v_not_b32_e32 v3, v5
	v_ashrrev_i32_e32 v2, 31, v2
	v_xor_b32_e32 v6, s14, v6
	v_lshlrev_b32_e32 v0, 2, v0
	v_and_b32_e32 v1, v1, v4
	v_cmp_gt_i32_e64 s14, 0, v5
	v_ashrrev_i32_e32 v3, 31, v3
	v_xor_b32_e32 v2, s13, v2
	v_add_lshl_u32 v4, v0, v37, 2
	v_and_b32_e32 v1, v1, v6
	s_delay_alu instid0(VALU_DEP_4) | instskip(SKIP_3) | instid1(VALU_DEP_2)
	v_xor_b32_e32 v0, s14, v3
	ds_load_b32 v46, v4 offset:16
	v_and_b32_e32 v1, v1, v2
	v_add_nc_u32_e32 v48, 16, v4
	; wave barrier
	v_and_b32_e32 v0, v1, v0
	s_delay_alu instid0(VALU_DEP_1) | instskip(SKIP_1) | instid1(VALU_DEP_2)
	v_mbcnt_lo_u32_b32 v47, v0, 0
	v_cmp_ne_u32_e64 s14, 0, v0
	v_cmp_eq_u32_e64 s13, 0, v47
	s_delay_alu instid0(VALU_DEP_1) | instskip(NEXT) | instid1(SALU_CYCLE_1)
	s_and_b32 s14, s13, s14
	s_and_saveexec_b32 s13, s14
	s_cbranch_execz .LBB158_14
; %bb.13:                               ;   in Loop: Header=BB158_4 Depth=2
	s_waitcnt lgkmcnt(0)
	v_bcnt_u32_b32 v0, v0, v46
	ds_store_b32 v48, v0
.LBB158_14:                             ;   in Loop: Header=BB158_4 Depth=2
	s_or_b32 exec_lo, exec_lo, s13
	v_lshrrev_b32_e32 v0, s29, v23
	v_lshrrev_b32_e32 v1, s26, v24
	; wave barrier
	s_delay_alu instid0(VALU_DEP_1) | instskip(NEXT) | instid1(VALU_DEP_1)
	v_and_b32_e32 v1, s27, v1
	v_dual_cndmask_b32 v1, 0, v1 :: v_dual_and_b32 v0, s30, v0
	s_delay_alu instid0(VALU_DEP_1) | instskip(NEXT) | instid1(VALU_DEP_1)
	v_lshlrev_b32_e32 v0, s28, v0
	v_cndmask_b32_e64 v0, 0, v0, s12
	s_delay_alu instid0(VALU_DEP_1) | instskip(NEXT) | instid1(VALU_DEP_1)
	v_or_b32_e32 v0, v1, v0
	v_and_b32_e32 v1, 1, v0
	v_lshlrev_b32_e32 v2, 30, v0
	v_lshlrev_b32_e32 v3, 29, v0
	;; [unrolled: 1-line block ×4, first 2 shown]
	v_add_co_u32 v1, s13, v1, -1
	s_delay_alu instid0(VALU_DEP_1)
	v_cndmask_b32_e64 v5, 0, 1, s13
	v_not_b32_e32 v50, v2
	v_cmp_gt_i32_e64 s14, 0, v2
	v_not_b32_e32 v2, v3
	v_lshlrev_b32_e32 v7, 26, v0
	v_cmp_ne_u32_e64 s13, 0, v5
	v_ashrrev_i32_e32 v50, 31, v50
	v_lshlrev_b32_e32 v49, 25, v0
	v_ashrrev_i32_e32 v2, 31, v2
	v_lshlrev_b32_e32 v5, 24, v0
	v_xor_b32_e32 v1, s13, v1
	v_cmp_gt_i32_e64 s13, 0, v3
	v_not_b32_e32 v3, v4
	v_xor_b32_e32 v50, s14, v50
	v_cmp_gt_i32_e64 s14, 0, v4
	v_and_b32_e32 v1, exec_lo, v1
	v_not_b32_e32 v4, v6
	v_ashrrev_i32_e32 v3, 31, v3
	v_xor_b32_e32 v2, s13, v2
	v_cmp_gt_i32_e64 s13, 0, v6
	v_and_b32_e32 v1, v1, v50
	v_not_b32_e32 v6, v7
	v_ashrrev_i32_e32 v4, 31, v4
	v_xor_b32_e32 v3, s14, v3
	v_cmp_gt_i32_e64 s14, 0, v7
	v_and_b32_e32 v1, v1, v2
	;; [unrolled: 5-line block ×3, first 2 shown]
	v_not_b32_e32 v3, v5
	v_ashrrev_i32_e32 v2, 31, v2
	v_xor_b32_e32 v6, s14, v6
	v_lshlrev_b32_e32 v0, 2, v0
	v_and_b32_e32 v1, v1, v4
	v_cmp_gt_i32_e64 s14, 0, v5
	v_ashrrev_i32_e32 v3, 31, v3
	v_xor_b32_e32 v2, s13, v2
	v_add_lshl_u32 v4, v0, v37, 2
	v_and_b32_e32 v1, v1, v6
	s_delay_alu instid0(VALU_DEP_4) | instskip(SKIP_3) | instid1(VALU_DEP_2)
	v_xor_b32_e32 v0, s14, v3
	ds_load_b32 v49, v4 offset:16
	v_and_b32_e32 v1, v1, v2
	v_add_nc_u32_e32 v51, 16, v4
	; wave barrier
	v_and_b32_e32 v0, v1, v0
	s_delay_alu instid0(VALU_DEP_1) | instskip(SKIP_1) | instid1(VALU_DEP_2)
	v_mbcnt_lo_u32_b32 v50, v0, 0
	v_cmp_ne_u32_e64 s14, 0, v0
	v_cmp_eq_u32_e64 s13, 0, v50
	s_delay_alu instid0(VALU_DEP_1) | instskip(NEXT) | instid1(SALU_CYCLE_1)
	s_and_b32 s14, s13, s14
	s_and_saveexec_b32 s13, s14
	s_cbranch_execz .LBB158_16
; %bb.15:                               ;   in Loop: Header=BB158_4 Depth=2
	s_waitcnt lgkmcnt(0)
	v_bcnt_u32_b32 v0, v0, v49
	ds_store_b32 v51, v0
.LBB158_16:                             ;   in Loop: Header=BB158_4 Depth=2
	s_or_b32 exec_lo, exec_lo, s13
	v_lshrrev_b32_e32 v0, s29, v31
	v_lshrrev_b32_e32 v1, s26, v32
	; wave barrier
	s_delay_alu instid0(VALU_DEP_1) | instskip(NEXT) | instid1(VALU_DEP_1)
	v_and_b32_e32 v1, s27, v1
	v_dual_cndmask_b32 v1, 0, v1 :: v_dual_and_b32 v0, s30, v0
	s_delay_alu instid0(VALU_DEP_1) | instskip(NEXT) | instid1(VALU_DEP_1)
	v_lshlrev_b32_e32 v0, s28, v0
	v_cndmask_b32_e64 v0, 0, v0, s12
	s_delay_alu instid0(VALU_DEP_1) | instskip(NEXT) | instid1(VALU_DEP_1)
	v_or_b32_e32 v0, v1, v0
	v_and_b32_e32 v1, 1, v0
	v_lshlrev_b32_e32 v2, 30, v0
	v_lshlrev_b32_e32 v3, 29, v0
	v_lshlrev_b32_e32 v4, 28, v0
	v_lshlrev_b32_e32 v6, 27, v0
	v_add_co_u32 v1, s13, v1, -1
	s_delay_alu instid0(VALU_DEP_1)
	v_cndmask_b32_e64 v5, 0, 1, s13
	v_not_b32_e32 v53, v2
	v_cmp_gt_i32_e64 s14, 0, v2
	v_not_b32_e32 v2, v3
	v_lshlrev_b32_e32 v7, 26, v0
	v_cmp_ne_u32_e64 s13, 0, v5
	v_ashrrev_i32_e32 v53, 31, v53
	v_lshlrev_b32_e32 v52, 25, v0
	v_ashrrev_i32_e32 v2, 31, v2
	v_lshlrev_b32_e32 v5, 24, v0
	v_xor_b32_e32 v1, s13, v1
	v_cmp_gt_i32_e64 s13, 0, v3
	v_not_b32_e32 v3, v4
	v_xor_b32_e32 v53, s14, v53
	v_cmp_gt_i32_e64 s14, 0, v4
	v_and_b32_e32 v1, exec_lo, v1
	v_not_b32_e32 v4, v6
	v_ashrrev_i32_e32 v3, 31, v3
	v_xor_b32_e32 v2, s13, v2
	v_cmp_gt_i32_e64 s13, 0, v6
	v_and_b32_e32 v1, v1, v53
	v_not_b32_e32 v6, v7
	v_ashrrev_i32_e32 v4, 31, v4
	v_xor_b32_e32 v3, s14, v3
	v_cmp_gt_i32_e64 s14, 0, v7
	v_and_b32_e32 v1, v1, v2
	;; [unrolled: 5-line block ×3, first 2 shown]
	v_not_b32_e32 v3, v5
	v_ashrrev_i32_e32 v2, 31, v2
	v_xor_b32_e32 v6, s14, v6
	v_lshlrev_b32_e32 v0, 2, v0
	v_and_b32_e32 v1, v1, v4
	v_cmp_gt_i32_e64 s14, 0, v5
	v_ashrrev_i32_e32 v3, 31, v3
	v_xor_b32_e32 v2, s13, v2
	v_add_lshl_u32 v4, v0, v37, 2
	v_and_b32_e32 v1, v1, v6
	s_delay_alu instid0(VALU_DEP_4) | instskip(SKIP_3) | instid1(VALU_DEP_2)
	v_xor_b32_e32 v0, s14, v3
	ds_load_b32 v52, v4 offset:16
	v_and_b32_e32 v1, v1, v2
	v_add_nc_u32_e32 v54, 16, v4
	; wave barrier
	v_and_b32_e32 v0, v1, v0
	s_delay_alu instid0(VALU_DEP_1) | instskip(SKIP_1) | instid1(VALU_DEP_2)
	v_mbcnt_lo_u32_b32 v53, v0, 0
	v_cmp_ne_u32_e64 s14, 0, v0
	v_cmp_eq_u32_e64 s13, 0, v53
	s_delay_alu instid0(VALU_DEP_1) | instskip(NEXT) | instid1(SALU_CYCLE_1)
	s_and_b32 s14, s13, s14
	s_and_saveexec_b32 s13, s14
	s_cbranch_execz .LBB158_18
; %bb.17:                               ;   in Loop: Header=BB158_4 Depth=2
	s_waitcnt lgkmcnt(0)
	v_bcnt_u32_b32 v0, v0, v52
	ds_store_b32 v54, v0
.LBB158_18:                             ;   in Loop: Header=BB158_4 Depth=2
	s_or_b32 exec_lo, exec_lo, s13
	v_lshrrev_b32_e32 v0, s29, v29
	v_lshrrev_b32_e32 v1, s26, v30
	; wave barrier
	s_delay_alu instid0(VALU_DEP_1) | instskip(NEXT) | instid1(VALU_DEP_1)
	v_and_b32_e32 v1, s27, v1
	v_dual_cndmask_b32 v1, 0, v1 :: v_dual_and_b32 v0, s30, v0
	s_delay_alu instid0(VALU_DEP_1) | instskip(NEXT) | instid1(VALU_DEP_1)
	v_lshlrev_b32_e32 v0, s28, v0
	v_cndmask_b32_e64 v0, 0, v0, s12
	s_delay_alu instid0(VALU_DEP_1) | instskip(NEXT) | instid1(VALU_DEP_1)
	v_or_b32_e32 v0, v1, v0
	v_and_b32_e32 v1, 1, v0
	v_lshlrev_b32_e32 v2, 30, v0
	v_lshlrev_b32_e32 v3, 29, v0
	;; [unrolled: 1-line block ×4, first 2 shown]
	v_add_co_u32 v1, s12, v1, -1
	s_delay_alu instid0(VALU_DEP_1)
	v_cndmask_b32_e64 v5, 0, 1, s12
	v_not_b32_e32 v56, v2
	v_cmp_gt_i32_e64 s12, 0, v2
	v_not_b32_e32 v2, v3
	v_lshlrev_b32_e32 v7, 26, v0
	v_cmp_ne_u32_e32 vcc_lo, 0, v5
	v_ashrrev_i32_e32 v56, 31, v56
	v_lshlrev_b32_e32 v55, 25, v0
	v_ashrrev_i32_e32 v2, 31, v2
	v_lshlrev_b32_e32 v5, 24, v0
	v_xor_b32_e32 v1, vcc_lo, v1
	v_cmp_gt_i32_e32 vcc_lo, 0, v3
	v_not_b32_e32 v3, v4
	v_xor_b32_e32 v56, s12, v56
	v_cmp_gt_i32_e64 s12, 0, v4
	v_and_b32_e32 v1, exec_lo, v1
	v_not_b32_e32 v4, v6
	v_ashrrev_i32_e32 v3, 31, v3
	v_xor_b32_e32 v2, vcc_lo, v2
	v_cmp_gt_i32_e32 vcc_lo, 0, v6
	v_and_b32_e32 v1, v1, v56
	v_not_b32_e32 v6, v7
	v_ashrrev_i32_e32 v4, 31, v4
	v_xor_b32_e32 v3, s12, v3
	v_cmp_gt_i32_e64 s12, 0, v7
	v_and_b32_e32 v1, v1, v2
	v_not_b32_e32 v2, v55
	v_ashrrev_i32_e32 v6, 31, v6
	v_xor_b32_e32 v4, vcc_lo, v4
	v_cmp_gt_i32_e32 vcc_lo, 0, v55
	v_and_b32_e32 v1, v1, v3
	v_not_b32_e32 v3, v5
	v_ashrrev_i32_e32 v2, 31, v2
	v_xor_b32_e32 v6, s12, v6
	v_lshlrev_b32_e32 v0, 2, v0
	v_and_b32_e32 v1, v1, v4
	v_cmp_gt_i32_e64 s12, 0, v5
	v_ashrrev_i32_e32 v3, 31, v3
	v_xor_b32_e32 v2, vcc_lo, v2
	v_add_lshl_u32 v4, v0, v37, 2
	v_and_b32_e32 v1, v1, v6
	s_delay_alu instid0(VALU_DEP_4) | instskip(SKIP_3) | instid1(VALU_DEP_2)
	v_xor_b32_e32 v0, s12, v3
	ds_load_b32 v55, v4 offset:16
	v_and_b32_e32 v1, v1, v2
	v_add_nc_u32_e32 v57, 16, v4
	; wave barrier
	v_and_b32_e32 v0, v1, v0
	s_delay_alu instid0(VALU_DEP_1) | instskip(SKIP_1) | instid1(VALU_DEP_2)
	v_mbcnt_lo_u32_b32 v56, v0, 0
	v_cmp_ne_u32_e64 s12, 0, v0
	v_cmp_eq_u32_e32 vcc_lo, 0, v56
	s_delay_alu instid0(VALU_DEP_2) | instskip(NEXT) | instid1(SALU_CYCLE_1)
	s_and_b32 s13, vcc_lo, s12
	s_and_saveexec_b32 s12, s13
	s_cbranch_execz .LBB158_20
; %bb.19:                               ;   in Loop: Header=BB158_4 Depth=2
	s_waitcnt lgkmcnt(0)
	v_bcnt_u32_b32 v0, v0, v55
	ds_store_b32 v57, v0
.LBB158_20:                             ;   in Loop: Header=BB158_4 Depth=2
	s_or_b32 exec_lo, exec_lo, s12
	; wave barrier
	s_waitcnt lgkmcnt(0)
	s_barrier
	buffer_gl0_inv
	ds_load_2addr_b64 v[4:7], v33 offset0:2 offset1:3
	ds_load_2addr_b64 v[0:3], v36 offset0:2 offset1:3
	s_waitcnt lgkmcnt(1)
	v_add_nc_u32_e32 v58, v5, v4
	s_delay_alu instid0(VALU_DEP_1) | instskip(SKIP_1) | instid1(VALU_DEP_1)
	v_add3_u32 v58, v58, v6, v7
	s_waitcnt lgkmcnt(0)
	v_add3_u32 v58, v58, v0, v1
	s_delay_alu instid0(VALU_DEP_1) | instskip(NEXT) | instid1(VALU_DEP_1)
	v_add3_u32 v3, v58, v2, v3
	v_mov_b32_dpp v58, v3 row_shr:1 row_mask:0xf bank_mask:0xf
	s_delay_alu instid0(VALU_DEP_1) | instskip(NEXT) | instid1(VALU_DEP_1)
	v_cndmask_b32_e64 v58, v58, 0, s0
	v_add_nc_u32_e32 v3, v58, v3
	s_delay_alu instid0(VALU_DEP_1) | instskip(NEXT) | instid1(VALU_DEP_1)
	v_mov_b32_dpp v58, v3 row_shr:2 row_mask:0xf bank_mask:0xf
	v_cndmask_b32_e64 v58, 0, v58, s1
	s_delay_alu instid0(VALU_DEP_1) | instskip(NEXT) | instid1(VALU_DEP_1)
	v_add_nc_u32_e32 v3, v3, v58
	v_mov_b32_dpp v58, v3 row_shr:4 row_mask:0xf bank_mask:0xf
	s_delay_alu instid0(VALU_DEP_1) | instskip(NEXT) | instid1(VALU_DEP_1)
	v_cndmask_b32_e64 v58, 0, v58, s2
	v_add_nc_u32_e32 v3, v3, v58
	s_delay_alu instid0(VALU_DEP_1) | instskip(NEXT) | instid1(VALU_DEP_1)
	v_mov_b32_dpp v58, v3 row_shr:8 row_mask:0xf bank_mask:0xf
	v_cndmask_b32_e64 v58, 0, v58, s3
	s_delay_alu instid0(VALU_DEP_1) | instskip(SKIP_3) | instid1(VALU_DEP_1)
	v_add_nc_u32_e32 v3, v3, v58
	ds_swizzle_b32 v58, v3 offset:swizzle(BROADCAST,32,15)
	s_waitcnt lgkmcnt(0)
	v_cndmask_b32_e64 v58, v58, 0, s4
	v_add_nc_u32_e32 v3, v3, v58
	s_and_saveexec_b32 s12, s5
	s_cbranch_execz .LBB158_22
; %bb.21:                               ;   in Loop: Header=BB158_4 Depth=2
	ds_store_b32 v39, v3
.LBB158_22:                             ;   in Loop: Header=BB158_4 Depth=2
	s_or_b32 exec_lo, exec_lo, s12
	s_waitcnt lgkmcnt(0)
	s_barrier
	buffer_gl0_inv
	s_and_saveexec_b32 s12, s6
	s_cbranch_execz .LBB158_24
; %bb.23:                               ;   in Loop: Header=BB158_4 Depth=2
	ds_load_b32 v58, v40
	s_waitcnt lgkmcnt(0)
	v_mov_b32_dpp v59, v58 row_shr:1 row_mask:0xf bank_mask:0xf
	s_delay_alu instid0(VALU_DEP_1) | instskip(NEXT) | instid1(VALU_DEP_1)
	v_cndmask_b32_e64 v59, v59, 0, s10
	v_add_nc_u32_e32 v58, v59, v58
	s_delay_alu instid0(VALU_DEP_1) | instskip(NEXT) | instid1(VALU_DEP_1)
	v_mov_b32_dpp v59, v58 row_shr:2 row_mask:0xf bank_mask:0xf
	v_cndmask_b32_e64 v59, 0, v59, s11
	s_delay_alu instid0(VALU_DEP_1)
	v_add_nc_u32_e32 v58, v58, v59
	ds_store_b32 v40, v58
.LBB158_24:                             ;   in Loop: Header=BB158_4 Depth=2
	s_or_b32 exec_lo, exec_lo, s12
	v_mov_b32_e32 v58, 0
	s_waitcnt lgkmcnt(0)
	s_barrier
	buffer_gl0_inv
	s_and_saveexec_b32 s12, s7
	s_cbranch_execz .LBB158_26
; %bb.25:                               ;   in Loop: Header=BB158_4 Depth=2
	ds_load_b32 v58, v41
.LBB158_26:                             ;   in Loop: Header=BB158_4 Depth=2
	s_or_b32 exec_lo, exec_lo, s12
	s_waitcnt lgkmcnt(0)
	v_add_nc_u32_e32 v3, v58, v3
	v_lshlrev_b32_e32 v49, 3, v49
	s_cmp_gt_u32 s26, 55
	ds_bpermute_b32 v3, v38, v3
	s_waitcnt lgkmcnt(0)
	v_cndmask_b32_e64 v3, v3, v58, s8
	s_delay_alu instid0(VALU_DEP_1) | instskip(NEXT) | instid1(VALU_DEP_1)
	v_cndmask_b32_e64 v3, v3, 0, s9
	v_add_nc_u32_e32 v4, v3, v4
	s_delay_alu instid0(VALU_DEP_1) | instskip(NEXT) | instid1(VALU_DEP_1)
	v_add_nc_u32_e32 v5, v4, v5
	v_add_nc_u32_e32 v6, v5, v6
	s_delay_alu instid0(VALU_DEP_1) | instskip(SKIP_3) | instid1(VALU_DEP_4)
	v_add_nc_u32_e32 v58, v6, v7
	v_lshlrev_b32_e32 v7, 3, v12
	v_lshlrev_b32_e32 v12, 3, v13
	;; [unrolled: 1-line block ×3, first 2 shown]
	v_add_nc_u32_e32 v59, v58, v0
	s_delay_alu instid0(VALU_DEP_1) | instskip(NEXT) | instid1(VALU_DEP_1)
	v_add_nc_u32_e32 v0, v59, v1
	v_add_nc_u32_e32 v1, v0, v2
	v_lshlrev_b32_e32 v2, 3, v9
	v_lshlrev_b32_e32 v9, 3, v10
	ds_store_2addr_b64 v33, v[3:4], v[5:6] offset0:2 offset1:3
	ds_store_2addr_b64 v36, v[58:59], v[0:1] offset0:2 offset1:3
	s_waitcnt lgkmcnt(0)
	s_barrier
	buffer_gl0_inv
	ds_load_b32 v0, v8
	ds_load_b32 v1, v11
	;; [unrolled: 1-line block ×8, first 2 shown]
	v_lshlrev_b32_e32 v11, 3, v14
	v_lshlrev_b32_e32 v14, 3, v43
	;; [unrolled: 1-line block ×9, first 2 shown]
	s_waitcnt lgkmcnt(0)
	v_lshl_add_u32 v43, v0, 3, v2
	v_lshlrev_b32_e32 v0, 3, v1
	v_lshlrev_b32_e32 v1, 3, v3
	;; [unrolled: 1-line block ×7, first 2 shown]
	v_add3_u32 v44, v7, v9, v0
	v_add3_u32 v45, v11, v12, v1
	;; [unrolled: 1-line block ×7, first 2 shown]
	s_cbranch_scc0 .LBB158_3
; %bb.27:                               ;   in Loop: Header=BB158_2 Depth=1
                                        ; implicit-def: $sgpr26
                                        ; implicit-def: $vgpr0_vgpr1
                                        ; implicit-def: $vgpr4_vgpr5
                                        ; implicit-def: $vgpr8_vgpr9
                                        ; implicit-def: $vgpr12_vgpr13
                                        ; implicit-def: $sgpr25
                                        ; implicit-def: $sgpr24
	s_branch .LBB158_1
.LBB158_28:
	v_lshlrev_b32_e32 v0, 3, v16
	s_add_u32 s0, s18, s20
	s_addc_u32 s1, s19, s21
	s_delay_alu instid0(VALU_DEP_1) | instskip(NEXT) | instid1(VALU_DEP_1)
	v_add_co_u32 v15, s2, s0, v0
	v_add_co_ci_u32_e64 v16, null, s1, 0, s2
	s_delay_alu instid0(VALU_DEP_2) | instskip(NEXT) | instid1(VALU_DEP_2)
	v_add_co_u32 v15, vcc_lo, 0x1000, v15
	v_add_co_ci_u32_e32 v16, vcc_lo, 0, v16, vcc_lo
	s_clause 0x7
	global_store_b64 v0, v[1:2], s[0:1]
	global_store_b64 v0, v[3:4], s[0:1] offset:1024
	global_store_b64 v0, v[5:6], s[0:1] offset:2048
	;; [unrolled: 1-line block ×3, first 2 shown]
	global_store_b64 v[15:16], v[9:10], off
	global_store_b64 v[15:16], v[11:12], off offset:1024
	global_store_b64 v[15:16], v[13:14], off offset:2048
	;; [unrolled: 1-line block ×3, first 2 shown]
	s_nop 0
	s_sendmsg sendmsg(MSG_DEALLOC_VGPRS)
	s_endpgm
	.section	.rodata,"a",@progbits
	.p2align	6, 0x0
	.amdhsa_kernel _Z16sort_keys_kernelI22helper_blocked_blockedN15benchmark_utils11custom_typeIiiEELj128ELj8ELj10EEvPKT0_PS4_
		.amdhsa_group_segment_fixed_size 8192
		.amdhsa_private_segment_fixed_size 0
		.amdhsa_kernarg_size 272
		.amdhsa_user_sgpr_count 15
		.amdhsa_user_sgpr_dispatch_ptr 0
		.amdhsa_user_sgpr_queue_ptr 0
		.amdhsa_user_sgpr_kernarg_segment_ptr 1
		.amdhsa_user_sgpr_dispatch_id 0
		.amdhsa_user_sgpr_private_segment_size 0
		.amdhsa_wavefront_size32 1
		.amdhsa_uses_dynamic_stack 0
		.amdhsa_enable_private_segment 0
		.amdhsa_system_sgpr_workgroup_id_x 1
		.amdhsa_system_sgpr_workgroup_id_y 0
		.amdhsa_system_sgpr_workgroup_id_z 0
		.amdhsa_system_sgpr_workgroup_info 0
		.amdhsa_system_vgpr_workitem_id 2
		.amdhsa_next_free_vgpr 60
		.amdhsa_next_free_sgpr 31
		.amdhsa_reserve_vcc 1
		.amdhsa_float_round_mode_32 0
		.amdhsa_float_round_mode_16_64 0
		.amdhsa_float_denorm_mode_32 3
		.amdhsa_float_denorm_mode_16_64 3
		.amdhsa_dx10_clamp 1
		.amdhsa_ieee_mode 1
		.amdhsa_fp16_overflow 0
		.amdhsa_workgroup_processor_mode 1
		.amdhsa_memory_ordered 1
		.amdhsa_forward_progress 0
		.amdhsa_shared_vgpr_count 0
		.amdhsa_exception_fp_ieee_invalid_op 0
		.amdhsa_exception_fp_denorm_src 0
		.amdhsa_exception_fp_ieee_div_zero 0
		.amdhsa_exception_fp_ieee_overflow 0
		.amdhsa_exception_fp_ieee_underflow 0
		.amdhsa_exception_fp_ieee_inexact 0
		.amdhsa_exception_int_div_zero 0
	.end_amdhsa_kernel
	.section	.text._Z16sort_keys_kernelI22helper_blocked_blockedN15benchmark_utils11custom_typeIiiEELj128ELj8ELj10EEvPKT0_PS4_,"axG",@progbits,_Z16sort_keys_kernelI22helper_blocked_blockedN15benchmark_utils11custom_typeIiiEELj128ELj8ELj10EEvPKT0_PS4_,comdat
.Lfunc_end158:
	.size	_Z16sort_keys_kernelI22helper_blocked_blockedN15benchmark_utils11custom_typeIiiEELj128ELj8ELj10EEvPKT0_PS4_, .Lfunc_end158-_Z16sort_keys_kernelI22helper_blocked_blockedN15benchmark_utils11custom_typeIiiEELj128ELj8ELj10EEvPKT0_PS4_
                                        ; -- End function
	.section	.AMDGPU.csdata,"",@progbits
; Kernel info:
; codeLenInByte = 5180
; NumSgprs: 33
; NumVgprs: 60
; ScratchSize: 0
; MemoryBound: 0
; FloatMode: 240
; IeeeMode: 1
; LDSByteSize: 8192 bytes/workgroup (compile time only)
; SGPRBlocks: 4
; VGPRBlocks: 7
; NumSGPRsForWavesPerEU: 33
; NumVGPRsForWavesPerEU: 60
; Occupancy: 16
; WaveLimiterHint : 1
; COMPUTE_PGM_RSRC2:SCRATCH_EN: 0
; COMPUTE_PGM_RSRC2:USER_SGPR: 15
; COMPUTE_PGM_RSRC2:TRAP_HANDLER: 0
; COMPUTE_PGM_RSRC2:TGID_X_EN: 1
; COMPUTE_PGM_RSRC2:TGID_Y_EN: 0
; COMPUTE_PGM_RSRC2:TGID_Z_EN: 0
; COMPUTE_PGM_RSRC2:TIDIG_COMP_CNT: 2
	.section	.text._Z17sort_pairs_kernelI22helper_blocked_blockedN15benchmark_utils11custom_typeIiiEELj128ELj8ELj10EEvPKT0_PS4_,"axG",@progbits,_Z17sort_pairs_kernelI22helper_blocked_blockedN15benchmark_utils11custom_typeIiiEELj128ELj8ELj10EEvPKT0_PS4_,comdat
	.protected	_Z17sort_pairs_kernelI22helper_blocked_blockedN15benchmark_utils11custom_typeIiiEELj128ELj8ELj10EEvPKT0_PS4_ ; -- Begin function _Z17sort_pairs_kernelI22helper_blocked_blockedN15benchmark_utils11custom_typeIiiEELj128ELj8ELj10EEvPKT0_PS4_
	.globl	_Z17sort_pairs_kernelI22helper_blocked_blockedN15benchmark_utils11custom_typeIiiEELj128ELj8ELj10EEvPKT0_PS4_
	.p2align	8
	.type	_Z17sort_pairs_kernelI22helper_blocked_blockedN15benchmark_utils11custom_typeIiiEELj128ELj8ELj10EEvPKT0_PS4_,@function
_Z17sort_pairs_kernelI22helper_blocked_blockedN15benchmark_utils11custom_typeIiiEELj128ELj8ELj10EEvPKT0_PS4_: ; @_Z17sort_pairs_kernelI22helper_blocked_blockedN15benchmark_utils11custom_typeIiiEELj128ELj8ELj10EEvPKT0_PS4_
; %bb.0:
	s_clause 0x1
	s_load_b128 s[16:19], s[0:1], 0x0
	s_load_b32 s11, s[0:1], 0x1c
	v_and_b32_e32 v32, 0x3ff, v0
	s_mov_b32 s23, 0
	s_lshl_b32 s22, s15, 10
	v_mbcnt_lo_u32_b32 v16, -1, 0
	s_lshl_b64 s[20:21], s[22:23], 3
	v_lshlrev_b32_e32 v15, 3, v32
	v_bfe_u32 v17, v0, 10, 10
	v_bfe_u32 v0, v0, 20, 10
	v_add_nc_u32_e32 v20, -1, v16
	v_and_b32_e32 v19, 16, v16
	v_and_b32_e32 v18, 15, v16
	;; [unrolled: 1-line block ×4, first 2 shown]
	v_lshlrev_b32_e32 v65, 5, v32
	v_cmp_eq_u32_e64 s5, 0, v19
	v_lshrrev_b32_e32 v19, 3, v32
	v_cmp_lt_u32_e64 s3, 3, v18
	v_cmp_lt_u32_e64 s4, 7, v18
	s_waitcnt lgkmcnt(0)
	s_add_u32 s0, s16, s20
	s_addc_u32 s1, s17, s21
	v_add_co_u32 v5, s2, s0, v15
	s_delay_alu instid0(VALU_DEP_1)
	v_add_co_ci_u32_e64 v6, null, s1, 0, s2
	s_clause 0x1
	global_load_b64 v[1:2], v15, s[0:1]
	global_load_b64 v[3:4], v15, s[0:1] offset:1024
	v_add_co_u32 v11, vcc_lo, 0x1000, v5
	v_add_co_ci_u32_e32 v12, vcc_lo, 0, v6, vcc_lo
	s_lshr_b32 s12, s11, 16
	s_clause 0x5
	global_load_b64 v[5:6], v15, s[0:1] offset:2048
	global_load_b64 v[7:8], v15, s[0:1] offset:3072
	global_load_b64 v[9:10], v[11:12], off
	global_load_b64 v[13:14], v[11:12], off offset:1024
	global_load_b64 v[33:34], v[11:12], off offset:2048
	;; [unrolled: 1-line block ×3, first 2 shown]
	v_cmp_gt_i32_e32 vcc_lo, 0, v20
	v_mad_u32_u24 v0, v0, s12, v17
	s_and_b32 s11, s11, 0xffff
	v_cmp_eq_u32_e64 s0, 0, v16
	v_cmp_eq_u32_e64 s1, 0, v18
	v_cmp_lt_u32_e64 s2, 1, v18
	v_cmp_eq_u32_e64 s9, 0, v21
	v_cmp_lt_u32_e64 s10, 1, v21
	v_and_or_b32 v21, 0x300, v15, v16
	v_cndmask_b32_e32 v18, v20, v16, vcc_lo
	v_or_b32_e32 v20, v16, v22
	v_mul_u32_u24_e32 v35, 60, v32
	v_or_b32_e32 v17, 31, v22
	v_lshlrev_b32_e32 v71, 3, v21
	v_and_b32_e32 v68, 12, v19
	v_mad_i32_i24 v69, 0xffffffe4, v32, v65
	v_cmp_gt_u32_e64 s6, 4, v32
	v_cmp_lt_u32_e64 s7, 31, v32
	v_cmp_eq_u32_e64 s8, 0, v32
	v_or_b32_e32 v66, 16, v65
	v_lshlrev_b32_e32 v67, 2, v18
	v_lshlrev_b32_e32 v70, 6, v20
	v_add_nc_u32_e32 v72, -4, v68
	v_add_nc_u32_e32 v74, v69, v35
	s_mov_b32 s22, s23
	s_mov_b32 s16, s23
	;; [unrolled: 1-line block ×4, first 2 shown]
	s_waitcnt vmcnt(7)
	v_add_nc_u32_e32 v29, 1, v2
	v_add_nc_u32_e32 v28, 1, v1
	s_waitcnt vmcnt(6)
	v_add_nc_u32_e32 v31, 1, v4
	v_add_nc_u32_e32 v30, 1, v3
	;; [unrolled: 3-line block ×3, first 2 shown]
	s_waitcnt vmcnt(1)
	v_mad_u64_u32 v[15:16], null, v0, s11, v[32:33]
	v_cmp_eq_u32_e64 s11, v17, v32
	v_add_nc_u32_e32 v27, 1, v8
	v_add_nc_u32_e32 v26, 1, v7
	;; [unrolled: 1-line block ×5, first 2 shown]
	v_lshrrev_b32_e32 v73, 5, v15
	v_add_nc_u32_e32 v22, 1, v13
	v_add_nc_u32_e32 v17, 1, v34
	;; [unrolled: 1-line block ×3, first 2 shown]
	s_waitcnt vmcnt(0)
	v_add_nc_u32_e32 v19, 1, v12
	v_add_nc_u32_e32 v18, 1, v11
	s_branch .LBB159_2
.LBB159_1:                              ;   in Loop: Header=BB159_2 Depth=1
	s_barrier
	buffer_gl0_inv
	ds_store_b64 v75, v[33:34]
	ds_store_b64 v76, v[53:54]
	;; [unrolled: 1-line block ×8, first 2 shown]
	s_waitcnt lgkmcnt(0)
	s_barrier
	buffer_gl0_inv
	ds_load_2addr_b64 v[1:4], v74 offset1:1
	ds_load_2addr_b64 v[5:8], v74 offset0:2 offset1:3
	ds_load_2addr_b64 v[9:12], v74 offset0:4 offset1:5
	;; [unrolled: 1-line block ×3, first 2 shown]
	s_waitcnt lgkmcnt(0)
	s_barrier
	buffer_gl0_inv
	ds_store_b64 v75, v[37:38]
	ds_store_b64 v76, v[35:36]
	ds_store_b64 v77, v[45:46]
	ds_store_b64 v78, v[43:44]
	ds_store_b64 v79, v[41:42]
	ds_store_b64 v80, v[39:40]
	ds_store_b64 v81, v[47:48]
	ds_store_b64 v82, v[49:50]
	s_waitcnt lgkmcnt(0)
	s_barrier
	buffer_gl0_inv
	ds_load_2addr_b64 v[28:31], v74 offset1:1
	ds_load_2addr_b64 v[24:27], v74 offset0:2 offset1:3
	ds_load_2addr_b64 v[20:23], v74 offset0:4 offset1:5
	;; [unrolled: 1-line block ×3, first 2 shown]
	s_add_i32 s15, s15, 1
	s_delay_alu instid0(SALU_CYCLE_1)
	s_cmp_lg_u32 s15, 10
	v_xor_b32_e32 v1, 0x80000000, v1
	v_xor_b32_e32 v2, 0x80000000, v2
	;; [unrolled: 1-line block ×16, first 2 shown]
	s_cbranch_scc0 .LBB159_28
.LBB159_2:                              ; =>This Loop Header: Depth=1
                                        ;     Child Loop BB159_4 Depth 2
	v_xor_b32_e32 v2, 0x80000000, v2
	v_xor_b32_e32 v1, 0x80000000, v1
	v_xor_b32_e32 v4, 0x80000000, v4
	v_xor_b32_e32 v3, 0x80000000, v3
	v_xor_b32_e32 v6, 0x80000000, v6
	v_xor_b32_e32 v5, 0x80000000, v5
	v_xor_b32_e32 v8, 0x80000000, v8
	v_xor_b32_e32 v7, 0x80000000, v7
	v_xor_b32_e32 v10, 0x80000000, v10
	v_xor_b32_e32 v9, 0x80000000, v9
	v_xor_b32_e32 v14, 0x80000000, v14
	v_xor_b32_e32 v13, 0x80000000, v13
	v_xor_b32_e32 v34, 0x80000000, v34
	v_xor_b32_e32 v33, 0x80000000, v33
	v_xor_b32_e32 v12, 0x80000000, v12
	v_xor_b32_e32 v11, 0x80000000, v11
	ds_store_2addr_b64 v70, v[1:2], v[3:4] offset1:1
	ds_store_2addr_b64 v70, v[5:6], v[7:8] offset0:2 offset1:3
	ds_store_2addr_b64 v70, v[9:10], v[13:14] offset0:4 offset1:5
	;; [unrolled: 1-line block ×3, first 2 shown]
	; wave barrier
	ds_load_2addr_b64 v[0:3], v71 offset1:32
	ds_load_2addr_b64 v[4:7], v71 offset0:64 offset1:96
	ds_load_2addr_b64 v[8:11], v71 offset0:128 offset1:160
	;; [unrolled: 1-line block ×3, first 2 shown]
	; wave barrier
	s_waitcnt lgkmcnt(11)
	ds_store_2addr_b64 v70, v[28:29], v[30:31] offset1:1
	s_waitcnt lgkmcnt(11)
	ds_store_2addr_b64 v70, v[24:25], v[26:27] offset0:2 offset1:3
	s_waitcnt lgkmcnt(11)
	ds_store_2addr_b64 v70, v[20:21], v[22:23] offset0:4 offset1:5
	;; [unrolled: 2-line block ×3, first 2 shown]
	; wave barrier
	ds_load_2addr_b64 v[20:23], v71 offset1:32
	ds_load_2addr_b64 v[24:27], v71 offset0:64 offset1:96
	ds_load_2addr_b64 v[28:31], v71 offset0:128 offset1:160
	;; [unrolled: 1-line block ×3, first 2 shown]
	s_mov_b32 s24, 8
	s_mov_b32 s25, 32
	;; [unrolled: 1-line block ×3, first 2 shown]
	s_waitcnt lgkmcnt(0)
	s_barrier
	s_branch .LBB159_4
.LBB159_3:                              ;   in Loop: Header=BB159_4 Depth=2
	s_barrier
	buffer_gl0_inv
	ds_store_b64 v75, v[33:34]
	ds_store_b64 v76, v[53:54]
	;; [unrolled: 1-line block ×8, first 2 shown]
	s_waitcnt lgkmcnt(0)
	s_barrier
	buffer_gl0_inv
	ds_load_2addr_b64 v[0:3], v71 offset1:32
	ds_load_2addr_b64 v[4:7], v71 offset0:64 offset1:96
	ds_load_2addr_b64 v[8:11], v71 offset0:128 offset1:160
	;; [unrolled: 1-line block ×3, first 2 shown]
	s_waitcnt lgkmcnt(0)
	s_barrier
	buffer_gl0_inv
	ds_store_b64 v75, v[37:38]
	ds_store_b64 v76, v[35:36]
	;; [unrolled: 1-line block ×8, first 2 shown]
	s_waitcnt lgkmcnt(0)
	s_barrier
	buffer_gl0_inv
	ds_load_2addr_b64 v[20:23], v71 offset1:32
	ds_load_2addr_b64 v[24:27], v71 offset0:64 offset1:96
	ds_load_2addr_b64 v[28:31], v71 offset0:128 offset1:160
	;; [unrolled: 1-line block ×3, first 2 shown]
	s_add_i32 s25, s25, -8
	s_add_i32 s24, s24, 8
	s_add_i32 s26, s26, 8
	s_waitcnt lgkmcnt(0)
	s_barrier
	s_cbranch_execz .LBB159_1
.LBB159_4:                              ;   Parent Loop BB159_2 Depth=1
                                        ; =>  This Inner Loop Header: Depth=2
	s_min_i32 s13, s24, 32
	s_cmp_lt_u32 s26, 32
	v_dual_mov_b32 v34, v1 :: v_dual_mov_b32 v33, v0
	s_cselect_b32 vcc_lo, -1, 0
	s_cmp_gt_u32 s26, 24
	v_dual_mov_b32 v36, v23 :: v_dual_mov_b32 v35, v22
	s_cselect_b32 s12, -1, 0
	s_sub_i32 s13, s13, 32
	v_lshrrev_b32_e32 v1, s26, v34
	s_add_i32 s14, s13, s25
	v_dual_mov_b32 v44, v27 :: v_dual_mov_b32 v43, v26
	s_lshl_b32 s14, -1, s14
	v_dual_mov_b32 v46, v25 :: v_dual_mov_b32 v45, v24
	s_not_b32 s14, s14
	s_cmp_lg_u32 s13, s26
	v_mov_b32_e32 v38, v21
	s_cselect_b32 s27, s14, -1
	s_max_i32 s28, s25, 0
	s_max_i32 s13, s26, 32
	v_and_b32_e32 v1, s27, v1
	s_sub_i32 s14, s13, s28
	s_sub_i32 s29, s13, 32
	;; [unrolled: 1-line block ×3, first 2 shown]
	v_lshrrev_b32_e32 v0, s29, v33
	s_min_i32 s13, s14, 32
	v_mov_b32_e32 v60, v7
	s_sub_i32 s13, s13, s29
	v_cndmask_b32_e32 v1, 0, v1, vcc_lo
	s_lshl_b32 s14, -1, s13
	v_mov_b32_e32 v56, v11
	s_not_b32 s14, s14
	s_cmp_lg_u32 s13, 32
	v_mov_b32_e32 v37, v20
	s_cselect_b32 s30, s14, -1
	v_mov_b32_e32 v62, v15
	v_and_b32_e32 v0, s30, v0
	v_dual_mov_b32 v58, v9 :: v_dual_mov_b32 v57, v8
	buffer_gl0_inv
	v_dual_mov_b32 v64, v13 :: v_dual_mov_b32 v63, v12
	v_lshlrev_b32_e32 v0, s28, v0
	v_dual_mov_b32 v42, v29 :: v_dual_mov_b32 v41, v28
	v_dual_mov_b32 v40, v31 :: v_dual_mov_b32 v39, v30
	s_delay_alu instid0(VALU_DEP_3) | instskip(SKIP_2) | instid1(VALU_DEP_3)
	v_cndmask_b32_e64 v0, 0, v0, s12
	v_dual_mov_b32 v48, v17 :: v_dual_mov_b32 v47, v16
	v_dual_mov_b32 v50, v19 :: v_dual_mov_b32 v49, v18
	v_or_b32_e32 v20, v1, v0
	v_dual_mov_b32 v54, v3 :: v_dual_mov_b32 v53, v2
	v_dual_mov_b32 v52, v5 :: v_dual_mov_b32 v51, v4
	s_delay_alu instid0(VALU_DEP_3)
	v_and_b32_e32 v0, 1, v20
	v_lshlrev_b32_e32 v1, 30, v20
	v_lshlrev_b32_e32 v21, 29, v20
	;; [unrolled: 1-line block ×4, first 2 shown]
	v_add_co_u32 v0, s13, v0, -1
	s_delay_alu instid0(VALU_DEP_1)
	v_cndmask_b32_e64 v23, 0, 1, s13
	v_not_b32_e32 v27, v1
	v_cmp_gt_i32_e64 s14, 0, v1
	v_not_b32_e32 v1, v21
	v_lshlrev_b32_e32 v25, 26, v20
	v_cmp_ne_u32_e64 s13, 0, v23
	v_ashrrev_i32_e32 v27, 31, v27
	v_mov_b32_e32 v59, v6
	v_ashrrev_i32_e32 v1, 31, v1
	v_lshlrev_b32_e32 v26, 25, v20
	v_xor_b32_e32 v0, s13, v0
	v_cmp_gt_i32_e64 s13, 0, v21
	v_not_b32_e32 v21, v22
	v_xor_b32_e32 v27, s14, v27
	v_cmp_gt_i32_e64 s14, 0, v22
	v_and_b32_e32 v0, exec_lo, v0
	v_not_b32_e32 v22, v24
	v_ashrrev_i32_e32 v21, 31, v21
	v_xor_b32_e32 v1, s13, v1
	v_cmp_gt_i32_e64 s13, 0, v24
	v_dual_mov_b32 v55, v10 :: v_dual_and_b32 v0, v0, v27
	v_not_b32_e32 v24, v25
	v_ashrrev_i32_e32 v22, 31, v22
	v_xor_b32_e32 v21, s14, v21
	s_delay_alu instid0(VALU_DEP_4)
	v_and_b32_e32 v0, v0, v1
	v_lshlrev_b32_e32 v23, 24, v20
	v_cmp_gt_i32_e64 s14, 0, v25
	v_not_b32_e32 v1, v26
	v_ashrrev_i32_e32 v24, 31, v24
	v_xor_b32_e32 v22, s13, v22
	v_and_b32_e32 v0, v0, v21
	v_cmp_gt_i32_e64 s13, 0, v26
	v_not_b32_e32 v21, v23
	v_ashrrev_i32_e32 v1, 31, v1
	v_xor_b32_e32 v24, s14, v24
	v_dual_mov_b32 v61, v14 :: v_dual_and_b32 v0, v0, v22
	v_cmp_gt_i32_e64 s14, 0, v23
	v_ashrrev_i32_e32 v16, 31, v21
	v_xor_b32_e32 v1, s13, v1
	s_delay_alu instid0(VALU_DEP_4) | instskip(NEXT) | instid1(VALU_DEP_3)
	v_and_b32_e32 v0, v0, v24
	v_xor_b32_e32 v3, s14, v16
	s_delay_alu instid0(VALU_DEP_2) | instskip(SKIP_1) | instid1(VALU_DEP_2)
	v_dual_mov_b32 v1, s22 :: v_dual_and_b32 v0, v0, v1
	v_mov_b32_e32 v2, s23
	v_dual_mov_b32 v3, s16 :: v_dual_and_b32 v0, v0, v3
	v_mov_b32_e32 v4, s17
	ds_store_2addr_b64 v65, v[1:2], v[3:4] offset0:2 offset1:3
	ds_store_2addr_b64 v66, v[1:2], v[3:4] offset0:2 offset1:3
	v_mbcnt_lo_u32_b32 v9, v0, 0
	v_lshl_add_u32 v1, v20, 2, v73
	v_cmp_ne_u32_e64 s14, 0, v0
	s_waitcnt lgkmcnt(0)
	s_barrier
	v_cmp_eq_u32_e64 s13, 0, v9
	v_lshl_add_u32 v8, v1, 2, 16
	buffer_gl0_inv
	; wave barrier
	s_and_b32 s14, s13, s14
	s_delay_alu instid0(SALU_CYCLE_1)
	s_and_saveexec_b32 s13, s14
	s_cbranch_execz .LBB159_6
; %bb.5:                                ;   in Loop: Header=BB159_4 Depth=2
	v_bcnt_u32_b32 v0, v0, 0
	ds_store_b32 v8, v0
.LBB159_6:                              ;   in Loop: Header=BB159_4 Depth=2
	s_or_b32 exec_lo, exec_lo, s13
	v_lshrrev_b32_e32 v0, s29, v53
	v_lshrrev_b32_e32 v1, s26, v54
	; wave barrier
	s_delay_alu instid0(VALU_DEP_1) | instskip(NEXT) | instid1(VALU_DEP_1)
	v_and_b32_e32 v1, s27, v1
	v_dual_cndmask_b32 v1, 0, v1 :: v_dual_and_b32 v0, s30, v0
	s_delay_alu instid0(VALU_DEP_1) | instskip(NEXT) | instid1(VALU_DEP_1)
	v_lshlrev_b32_e32 v0, s28, v0
	v_cndmask_b32_e64 v0, 0, v0, s12
	s_delay_alu instid0(VALU_DEP_1) | instskip(NEXT) | instid1(VALU_DEP_1)
	v_or_b32_e32 v0, v1, v0
	v_and_b32_e32 v1, 1, v0
	v_lshlrev_b32_e32 v2, 30, v0
	v_lshlrev_b32_e32 v3, 29, v0
	v_lshlrev_b32_e32 v4, 28, v0
	v_lshlrev_b32_e32 v6, 27, v0
	v_add_co_u32 v1, s13, v1, -1
	s_delay_alu instid0(VALU_DEP_1)
	v_cndmask_b32_e64 v5, 0, 1, s13
	v_not_b32_e32 v11, v2
	v_cmp_gt_i32_e64 s14, 0, v2
	v_not_b32_e32 v2, v3
	v_lshlrev_b32_e32 v7, 26, v0
	v_cmp_ne_u32_e64 s13, 0, v5
	v_ashrrev_i32_e32 v11, 31, v11
	v_lshlrev_b32_e32 v10, 25, v0
	v_ashrrev_i32_e32 v2, 31, v2
	v_lshlrev_b32_e32 v5, 24, v0
	v_xor_b32_e32 v1, s13, v1
	v_cmp_gt_i32_e64 s13, 0, v3
	v_not_b32_e32 v3, v4
	v_xor_b32_e32 v11, s14, v11
	v_cmp_gt_i32_e64 s14, 0, v4
	v_and_b32_e32 v1, exec_lo, v1
	v_not_b32_e32 v4, v6
	v_ashrrev_i32_e32 v3, 31, v3
	v_xor_b32_e32 v2, s13, v2
	v_cmp_gt_i32_e64 s13, 0, v6
	v_and_b32_e32 v1, v1, v11
	v_not_b32_e32 v6, v7
	v_ashrrev_i32_e32 v4, 31, v4
	v_xor_b32_e32 v3, s14, v3
	v_cmp_gt_i32_e64 s14, 0, v7
	v_and_b32_e32 v1, v1, v2
	;; [unrolled: 5-line block ×3, first 2 shown]
	v_not_b32_e32 v3, v5
	v_ashrrev_i32_e32 v2, 31, v2
	v_xor_b32_e32 v6, s14, v6
	v_lshlrev_b32_e32 v0, 2, v0
	v_and_b32_e32 v1, v1, v4
	v_cmp_gt_i32_e64 s14, 0, v5
	v_ashrrev_i32_e32 v3, 31, v3
	v_xor_b32_e32 v2, s13, v2
	v_add_lshl_u32 v4, v0, v73, 2
	v_and_b32_e32 v1, v1, v6
	s_delay_alu instid0(VALU_DEP_4) | instskip(SKIP_3) | instid1(VALU_DEP_2)
	v_xor_b32_e32 v0, s14, v3
	ds_load_b32 v10, v4 offset:16
	v_and_b32_e32 v1, v1, v2
	v_add_nc_u32_e32 v11, 16, v4
	; wave barrier
	v_and_b32_e32 v0, v1, v0
	s_delay_alu instid0(VALU_DEP_1) | instskip(SKIP_1) | instid1(VALU_DEP_2)
	v_mbcnt_lo_u32_b32 v12, v0, 0
	v_cmp_ne_u32_e64 s14, 0, v0
	v_cmp_eq_u32_e64 s13, 0, v12
	s_delay_alu instid0(VALU_DEP_1) | instskip(NEXT) | instid1(SALU_CYCLE_1)
	s_and_b32 s14, s13, s14
	s_and_saveexec_b32 s13, s14
	s_cbranch_execz .LBB159_8
; %bb.7:                                ;   in Loop: Header=BB159_4 Depth=2
	s_waitcnt lgkmcnt(0)
	v_bcnt_u32_b32 v0, v0, v10
	ds_store_b32 v11, v0
.LBB159_8:                              ;   in Loop: Header=BB159_4 Depth=2
	s_or_b32 exec_lo, exec_lo, s13
	v_lshrrev_b32_e32 v0, s29, v51
	v_lshrrev_b32_e32 v1, s26, v52
	; wave barrier
	s_delay_alu instid0(VALU_DEP_1) | instskip(NEXT) | instid1(VALU_DEP_1)
	v_and_b32_e32 v1, s27, v1
	v_dual_cndmask_b32 v1, 0, v1 :: v_dual_and_b32 v0, s30, v0
	s_delay_alu instid0(VALU_DEP_1) | instskip(NEXT) | instid1(VALU_DEP_1)
	v_lshlrev_b32_e32 v0, s28, v0
	v_cndmask_b32_e64 v0, 0, v0, s12
	s_delay_alu instid0(VALU_DEP_1) | instskip(NEXT) | instid1(VALU_DEP_1)
	v_or_b32_e32 v0, v1, v0
	v_and_b32_e32 v1, 1, v0
	v_lshlrev_b32_e32 v2, 30, v0
	v_lshlrev_b32_e32 v3, 29, v0
	;; [unrolled: 1-line block ×4, first 2 shown]
	v_add_co_u32 v1, s13, v1, -1
	s_delay_alu instid0(VALU_DEP_1)
	v_cndmask_b32_e64 v5, 0, 1, s13
	v_not_b32_e32 v14, v2
	v_cmp_gt_i32_e64 s14, 0, v2
	v_not_b32_e32 v2, v3
	v_lshlrev_b32_e32 v7, 26, v0
	v_cmp_ne_u32_e64 s13, 0, v5
	v_ashrrev_i32_e32 v14, 31, v14
	v_lshlrev_b32_e32 v13, 25, v0
	v_ashrrev_i32_e32 v2, 31, v2
	v_lshlrev_b32_e32 v5, 24, v0
	v_xor_b32_e32 v1, s13, v1
	v_cmp_gt_i32_e64 s13, 0, v3
	v_not_b32_e32 v3, v4
	v_xor_b32_e32 v14, s14, v14
	v_cmp_gt_i32_e64 s14, 0, v4
	v_and_b32_e32 v1, exec_lo, v1
	v_not_b32_e32 v4, v6
	v_ashrrev_i32_e32 v3, 31, v3
	v_xor_b32_e32 v2, s13, v2
	v_cmp_gt_i32_e64 s13, 0, v6
	v_and_b32_e32 v1, v1, v14
	v_not_b32_e32 v6, v7
	v_ashrrev_i32_e32 v4, 31, v4
	v_xor_b32_e32 v3, s14, v3
	v_cmp_gt_i32_e64 s14, 0, v7
	v_and_b32_e32 v1, v1, v2
	;; [unrolled: 5-line block ×3, first 2 shown]
	v_not_b32_e32 v3, v5
	v_ashrrev_i32_e32 v2, 31, v2
	v_xor_b32_e32 v6, s14, v6
	v_lshlrev_b32_e32 v0, 2, v0
	v_and_b32_e32 v1, v1, v4
	v_cmp_gt_i32_e64 s14, 0, v5
	v_ashrrev_i32_e32 v3, 31, v3
	v_xor_b32_e32 v2, s13, v2
	v_add_lshl_u32 v4, v0, v73, 2
	v_and_b32_e32 v1, v1, v6
	s_delay_alu instid0(VALU_DEP_4) | instskip(SKIP_3) | instid1(VALU_DEP_2)
	v_xor_b32_e32 v0, s14, v3
	ds_load_b32 v13, v4 offset:16
	v_and_b32_e32 v1, v1, v2
	v_add_nc_u32_e32 v15, 16, v4
	; wave barrier
	v_and_b32_e32 v0, v1, v0
	s_delay_alu instid0(VALU_DEP_1) | instskip(SKIP_1) | instid1(VALU_DEP_2)
	v_mbcnt_lo_u32_b32 v14, v0, 0
	v_cmp_ne_u32_e64 s14, 0, v0
	v_cmp_eq_u32_e64 s13, 0, v14
	s_delay_alu instid0(VALU_DEP_1) | instskip(NEXT) | instid1(SALU_CYCLE_1)
	s_and_b32 s14, s13, s14
	s_and_saveexec_b32 s13, s14
	s_cbranch_execz .LBB159_10
; %bb.9:                                ;   in Loop: Header=BB159_4 Depth=2
	s_waitcnt lgkmcnt(0)
	v_bcnt_u32_b32 v0, v0, v13
	ds_store_b32 v15, v0
.LBB159_10:                             ;   in Loop: Header=BB159_4 Depth=2
	s_or_b32 exec_lo, exec_lo, s13
	v_lshrrev_b32_e32 v0, s29, v59
	v_lshrrev_b32_e32 v1, s26, v60
	; wave barrier
	s_delay_alu instid0(VALU_DEP_1) | instskip(NEXT) | instid1(VALU_DEP_1)
	v_and_b32_e32 v1, s27, v1
	v_dual_cndmask_b32 v1, 0, v1 :: v_dual_and_b32 v0, s30, v0
	s_delay_alu instid0(VALU_DEP_1) | instskip(NEXT) | instid1(VALU_DEP_1)
	v_lshlrev_b32_e32 v0, s28, v0
	v_cndmask_b32_e64 v0, 0, v0, s12
	s_delay_alu instid0(VALU_DEP_1) | instskip(NEXT) | instid1(VALU_DEP_1)
	v_or_b32_e32 v0, v1, v0
	v_and_b32_e32 v1, 1, v0
	v_lshlrev_b32_e32 v2, 30, v0
	v_lshlrev_b32_e32 v3, 29, v0
	v_lshlrev_b32_e32 v4, 28, v0
	v_lshlrev_b32_e32 v6, 27, v0
	v_add_co_u32 v1, s13, v1, -1
	s_delay_alu instid0(VALU_DEP_1)
	v_cndmask_b32_e64 v5, 0, 1, s13
	v_not_b32_e32 v17, v2
	v_cmp_gt_i32_e64 s14, 0, v2
	v_not_b32_e32 v2, v3
	v_lshlrev_b32_e32 v7, 26, v0
	v_cmp_ne_u32_e64 s13, 0, v5
	v_ashrrev_i32_e32 v17, 31, v17
	v_lshlrev_b32_e32 v16, 25, v0
	v_ashrrev_i32_e32 v2, 31, v2
	v_lshlrev_b32_e32 v5, 24, v0
	v_xor_b32_e32 v1, s13, v1
	v_cmp_gt_i32_e64 s13, 0, v3
	v_not_b32_e32 v3, v4
	v_xor_b32_e32 v17, s14, v17
	v_cmp_gt_i32_e64 s14, 0, v4
	v_and_b32_e32 v1, exec_lo, v1
	v_not_b32_e32 v4, v6
	v_ashrrev_i32_e32 v3, 31, v3
	v_xor_b32_e32 v2, s13, v2
	v_cmp_gt_i32_e64 s13, 0, v6
	v_and_b32_e32 v1, v1, v17
	v_not_b32_e32 v6, v7
	v_ashrrev_i32_e32 v4, 31, v4
	v_xor_b32_e32 v3, s14, v3
	v_cmp_gt_i32_e64 s14, 0, v7
	v_and_b32_e32 v1, v1, v2
	;; [unrolled: 5-line block ×3, first 2 shown]
	v_not_b32_e32 v3, v5
	v_ashrrev_i32_e32 v2, 31, v2
	v_xor_b32_e32 v6, s14, v6
	v_lshlrev_b32_e32 v0, 2, v0
	v_and_b32_e32 v1, v1, v4
	v_cmp_gt_i32_e64 s14, 0, v5
	v_ashrrev_i32_e32 v3, 31, v3
	v_xor_b32_e32 v2, s13, v2
	v_add_lshl_u32 v4, v0, v73, 2
	v_and_b32_e32 v1, v1, v6
	s_delay_alu instid0(VALU_DEP_4) | instskip(SKIP_3) | instid1(VALU_DEP_2)
	v_xor_b32_e32 v0, s14, v3
	ds_load_b32 v16, v4 offset:16
	v_and_b32_e32 v1, v1, v2
	v_add_nc_u32_e32 v18, 16, v4
	; wave barrier
	v_and_b32_e32 v0, v1, v0
	s_delay_alu instid0(VALU_DEP_1) | instskip(SKIP_1) | instid1(VALU_DEP_2)
	v_mbcnt_lo_u32_b32 v17, v0, 0
	v_cmp_ne_u32_e64 s14, 0, v0
	v_cmp_eq_u32_e64 s13, 0, v17
	s_delay_alu instid0(VALU_DEP_1) | instskip(NEXT) | instid1(SALU_CYCLE_1)
	s_and_b32 s14, s13, s14
	s_and_saveexec_b32 s13, s14
	s_cbranch_execz .LBB159_12
; %bb.11:                               ;   in Loop: Header=BB159_4 Depth=2
	s_waitcnt lgkmcnt(0)
	v_bcnt_u32_b32 v0, v0, v16
	ds_store_b32 v18, v0
.LBB159_12:                             ;   in Loop: Header=BB159_4 Depth=2
	s_or_b32 exec_lo, exec_lo, s13
	v_lshrrev_b32_e32 v0, s29, v57
	v_lshrrev_b32_e32 v1, s26, v58
	; wave barrier
	s_delay_alu instid0(VALU_DEP_1) | instskip(NEXT) | instid1(VALU_DEP_1)
	v_and_b32_e32 v1, s27, v1
	v_dual_cndmask_b32 v1, 0, v1 :: v_dual_and_b32 v0, s30, v0
	s_delay_alu instid0(VALU_DEP_1) | instskip(NEXT) | instid1(VALU_DEP_1)
	v_lshlrev_b32_e32 v0, s28, v0
	v_cndmask_b32_e64 v0, 0, v0, s12
	s_delay_alu instid0(VALU_DEP_1) | instskip(NEXT) | instid1(VALU_DEP_1)
	v_or_b32_e32 v0, v1, v0
	v_and_b32_e32 v1, 1, v0
	v_lshlrev_b32_e32 v2, 30, v0
	v_lshlrev_b32_e32 v3, 29, v0
	v_lshlrev_b32_e32 v4, 28, v0
	v_lshlrev_b32_e32 v6, 27, v0
	v_add_co_u32 v1, s13, v1, -1
	s_delay_alu instid0(VALU_DEP_1)
	v_cndmask_b32_e64 v5, 0, 1, s13
	v_not_b32_e32 v20, v2
	v_cmp_gt_i32_e64 s14, 0, v2
	v_not_b32_e32 v2, v3
	v_lshlrev_b32_e32 v7, 26, v0
	v_cmp_ne_u32_e64 s13, 0, v5
	v_ashrrev_i32_e32 v20, 31, v20
	v_lshlrev_b32_e32 v19, 25, v0
	v_ashrrev_i32_e32 v2, 31, v2
	v_lshlrev_b32_e32 v5, 24, v0
	v_xor_b32_e32 v1, s13, v1
	v_cmp_gt_i32_e64 s13, 0, v3
	v_not_b32_e32 v3, v4
	v_xor_b32_e32 v20, s14, v20
	v_cmp_gt_i32_e64 s14, 0, v4
	v_and_b32_e32 v1, exec_lo, v1
	v_not_b32_e32 v4, v6
	v_ashrrev_i32_e32 v3, 31, v3
	v_xor_b32_e32 v2, s13, v2
	v_cmp_gt_i32_e64 s13, 0, v6
	v_and_b32_e32 v1, v1, v20
	v_not_b32_e32 v6, v7
	v_ashrrev_i32_e32 v4, 31, v4
	v_xor_b32_e32 v3, s14, v3
	v_cmp_gt_i32_e64 s14, 0, v7
	v_and_b32_e32 v1, v1, v2
	v_not_b32_e32 v2, v19
	v_ashrrev_i32_e32 v6, 31, v6
	v_xor_b32_e32 v4, s13, v4
	v_cmp_gt_i32_e64 s13, 0, v19
	v_and_b32_e32 v1, v1, v3
	v_not_b32_e32 v3, v5
	v_ashrrev_i32_e32 v2, 31, v2
	v_xor_b32_e32 v6, s14, v6
	v_lshlrev_b32_e32 v0, 2, v0
	v_and_b32_e32 v1, v1, v4
	v_cmp_gt_i32_e64 s14, 0, v5
	v_ashrrev_i32_e32 v3, 31, v3
	v_xor_b32_e32 v2, s13, v2
	v_add_lshl_u32 v4, v0, v73, 2
	v_and_b32_e32 v1, v1, v6
	s_delay_alu instid0(VALU_DEP_4) | instskip(SKIP_3) | instid1(VALU_DEP_2)
	v_xor_b32_e32 v0, s14, v3
	ds_load_b32 v19, v4 offset:16
	v_and_b32_e32 v1, v1, v2
	v_add_nc_u32_e32 v21, 16, v4
	; wave barrier
	v_and_b32_e32 v0, v1, v0
	s_delay_alu instid0(VALU_DEP_1) | instskip(SKIP_1) | instid1(VALU_DEP_2)
	v_mbcnt_lo_u32_b32 v20, v0, 0
	v_cmp_ne_u32_e64 s14, 0, v0
	v_cmp_eq_u32_e64 s13, 0, v20
	s_delay_alu instid0(VALU_DEP_1) | instskip(NEXT) | instid1(SALU_CYCLE_1)
	s_and_b32 s14, s13, s14
	s_and_saveexec_b32 s13, s14
	s_cbranch_execz .LBB159_14
; %bb.13:                               ;   in Loop: Header=BB159_4 Depth=2
	s_waitcnt lgkmcnt(0)
	v_bcnt_u32_b32 v0, v0, v19
	ds_store_b32 v21, v0
.LBB159_14:                             ;   in Loop: Header=BB159_4 Depth=2
	s_or_b32 exec_lo, exec_lo, s13
	v_lshrrev_b32_e32 v0, s29, v55
	v_lshrrev_b32_e32 v1, s26, v56
	; wave barrier
	s_delay_alu instid0(VALU_DEP_1) | instskip(NEXT) | instid1(VALU_DEP_1)
	v_and_b32_e32 v1, s27, v1
	v_dual_cndmask_b32 v1, 0, v1 :: v_dual_and_b32 v0, s30, v0
	s_delay_alu instid0(VALU_DEP_1) | instskip(NEXT) | instid1(VALU_DEP_1)
	v_lshlrev_b32_e32 v0, s28, v0
	v_cndmask_b32_e64 v0, 0, v0, s12
	s_delay_alu instid0(VALU_DEP_1) | instskip(NEXT) | instid1(VALU_DEP_1)
	v_or_b32_e32 v0, v1, v0
	v_and_b32_e32 v1, 1, v0
	v_lshlrev_b32_e32 v2, 30, v0
	v_lshlrev_b32_e32 v3, 29, v0
	;; [unrolled: 1-line block ×4, first 2 shown]
	v_add_co_u32 v1, s13, v1, -1
	s_delay_alu instid0(VALU_DEP_1)
	v_cndmask_b32_e64 v5, 0, 1, s13
	v_not_b32_e32 v23, v2
	v_cmp_gt_i32_e64 s14, 0, v2
	v_not_b32_e32 v2, v3
	v_lshlrev_b32_e32 v7, 26, v0
	v_cmp_ne_u32_e64 s13, 0, v5
	v_ashrrev_i32_e32 v23, 31, v23
	v_lshlrev_b32_e32 v22, 25, v0
	v_ashrrev_i32_e32 v2, 31, v2
	v_lshlrev_b32_e32 v5, 24, v0
	v_xor_b32_e32 v1, s13, v1
	v_cmp_gt_i32_e64 s13, 0, v3
	v_not_b32_e32 v3, v4
	v_xor_b32_e32 v23, s14, v23
	v_cmp_gt_i32_e64 s14, 0, v4
	v_and_b32_e32 v1, exec_lo, v1
	v_not_b32_e32 v4, v6
	v_ashrrev_i32_e32 v3, 31, v3
	v_xor_b32_e32 v2, s13, v2
	v_cmp_gt_i32_e64 s13, 0, v6
	v_and_b32_e32 v1, v1, v23
	v_not_b32_e32 v6, v7
	v_ashrrev_i32_e32 v4, 31, v4
	v_xor_b32_e32 v3, s14, v3
	v_cmp_gt_i32_e64 s14, 0, v7
	v_and_b32_e32 v1, v1, v2
	;; [unrolled: 5-line block ×3, first 2 shown]
	v_not_b32_e32 v3, v5
	v_ashrrev_i32_e32 v2, 31, v2
	v_xor_b32_e32 v6, s14, v6
	v_lshlrev_b32_e32 v0, 2, v0
	v_and_b32_e32 v1, v1, v4
	v_cmp_gt_i32_e64 s14, 0, v5
	v_ashrrev_i32_e32 v3, 31, v3
	v_xor_b32_e32 v2, s13, v2
	v_add_lshl_u32 v4, v0, v73, 2
	v_and_b32_e32 v1, v1, v6
	s_delay_alu instid0(VALU_DEP_4) | instskip(SKIP_3) | instid1(VALU_DEP_2)
	v_xor_b32_e32 v0, s14, v3
	ds_load_b32 v22, v4 offset:16
	v_and_b32_e32 v1, v1, v2
	v_add_nc_u32_e32 v24, 16, v4
	; wave barrier
	v_and_b32_e32 v0, v1, v0
	s_delay_alu instid0(VALU_DEP_1) | instskip(SKIP_1) | instid1(VALU_DEP_2)
	v_mbcnt_lo_u32_b32 v23, v0, 0
	v_cmp_ne_u32_e64 s14, 0, v0
	v_cmp_eq_u32_e64 s13, 0, v23
	s_delay_alu instid0(VALU_DEP_1) | instskip(NEXT) | instid1(SALU_CYCLE_1)
	s_and_b32 s14, s13, s14
	s_and_saveexec_b32 s13, s14
	s_cbranch_execz .LBB159_16
; %bb.15:                               ;   in Loop: Header=BB159_4 Depth=2
	s_waitcnt lgkmcnt(0)
	v_bcnt_u32_b32 v0, v0, v22
	ds_store_b32 v24, v0
.LBB159_16:                             ;   in Loop: Header=BB159_4 Depth=2
	s_or_b32 exec_lo, exec_lo, s13
	v_lshrrev_b32_e32 v0, s29, v63
	v_lshrrev_b32_e32 v1, s26, v64
	; wave barrier
	s_delay_alu instid0(VALU_DEP_1) | instskip(NEXT) | instid1(VALU_DEP_1)
	v_and_b32_e32 v1, s27, v1
	v_dual_cndmask_b32 v1, 0, v1 :: v_dual_and_b32 v0, s30, v0
	s_delay_alu instid0(VALU_DEP_1) | instskip(NEXT) | instid1(VALU_DEP_1)
	v_lshlrev_b32_e32 v0, s28, v0
	v_cndmask_b32_e64 v0, 0, v0, s12
	s_delay_alu instid0(VALU_DEP_1) | instskip(NEXT) | instid1(VALU_DEP_1)
	v_or_b32_e32 v0, v1, v0
	v_and_b32_e32 v1, 1, v0
	v_lshlrev_b32_e32 v2, 30, v0
	v_lshlrev_b32_e32 v3, 29, v0
	v_lshlrev_b32_e32 v4, 28, v0
	v_lshlrev_b32_e32 v6, 27, v0
	v_add_co_u32 v1, s13, v1, -1
	s_delay_alu instid0(VALU_DEP_1)
	v_cndmask_b32_e64 v5, 0, 1, s13
	v_not_b32_e32 v26, v2
	v_cmp_gt_i32_e64 s14, 0, v2
	v_not_b32_e32 v2, v3
	v_lshlrev_b32_e32 v7, 26, v0
	v_cmp_ne_u32_e64 s13, 0, v5
	v_ashrrev_i32_e32 v26, 31, v26
	v_lshlrev_b32_e32 v25, 25, v0
	v_ashrrev_i32_e32 v2, 31, v2
	v_lshlrev_b32_e32 v5, 24, v0
	v_xor_b32_e32 v1, s13, v1
	v_cmp_gt_i32_e64 s13, 0, v3
	v_not_b32_e32 v3, v4
	v_xor_b32_e32 v26, s14, v26
	v_cmp_gt_i32_e64 s14, 0, v4
	v_and_b32_e32 v1, exec_lo, v1
	v_not_b32_e32 v4, v6
	v_ashrrev_i32_e32 v3, 31, v3
	v_xor_b32_e32 v2, s13, v2
	v_cmp_gt_i32_e64 s13, 0, v6
	v_and_b32_e32 v1, v1, v26
	v_not_b32_e32 v6, v7
	v_ashrrev_i32_e32 v4, 31, v4
	v_xor_b32_e32 v3, s14, v3
	v_cmp_gt_i32_e64 s14, 0, v7
	v_and_b32_e32 v1, v1, v2
	;; [unrolled: 5-line block ×3, first 2 shown]
	v_not_b32_e32 v3, v5
	v_ashrrev_i32_e32 v2, 31, v2
	v_xor_b32_e32 v6, s14, v6
	v_lshlrev_b32_e32 v0, 2, v0
	v_and_b32_e32 v1, v1, v4
	v_cmp_gt_i32_e64 s14, 0, v5
	v_ashrrev_i32_e32 v3, 31, v3
	v_xor_b32_e32 v2, s13, v2
	v_add_lshl_u32 v4, v0, v73, 2
	v_and_b32_e32 v1, v1, v6
	s_delay_alu instid0(VALU_DEP_4) | instskip(SKIP_3) | instid1(VALU_DEP_2)
	v_xor_b32_e32 v0, s14, v3
	ds_load_b32 v25, v4 offset:16
	v_and_b32_e32 v1, v1, v2
	v_add_nc_u32_e32 v27, 16, v4
	; wave barrier
	v_and_b32_e32 v0, v1, v0
	s_delay_alu instid0(VALU_DEP_1) | instskip(SKIP_1) | instid1(VALU_DEP_2)
	v_mbcnt_lo_u32_b32 v26, v0, 0
	v_cmp_ne_u32_e64 s14, 0, v0
	v_cmp_eq_u32_e64 s13, 0, v26
	s_delay_alu instid0(VALU_DEP_1) | instskip(NEXT) | instid1(SALU_CYCLE_1)
	s_and_b32 s14, s13, s14
	s_and_saveexec_b32 s13, s14
	s_cbranch_execz .LBB159_18
; %bb.17:                               ;   in Loop: Header=BB159_4 Depth=2
	s_waitcnt lgkmcnt(0)
	v_bcnt_u32_b32 v0, v0, v25
	ds_store_b32 v27, v0
.LBB159_18:                             ;   in Loop: Header=BB159_4 Depth=2
	s_or_b32 exec_lo, exec_lo, s13
	v_lshrrev_b32_e32 v0, s29, v61
	v_lshrrev_b32_e32 v1, s26, v62
	; wave barrier
	s_delay_alu instid0(VALU_DEP_1) | instskip(NEXT) | instid1(VALU_DEP_1)
	v_and_b32_e32 v1, s27, v1
	v_dual_cndmask_b32 v1, 0, v1 :: v_dual_and_b32 v0, s30, v0
	s_delay_alu instid0(VALU_DEP_1) | instskip(NEXT) | instid1(VALU_DEP_1)
	v_lshlrev_b32_e32 v0, s28, v0
	v_cndmask_b32_e64 v0, 0, v0, s12
	s_delay_alu instid0(VALU_DEP_1) | instskip(NEXT) | instid1(VALU_DEP_1)
	v_or_b32_e32 v0, v1, v0
	v_and_b32_e32 v1, 1, v0
	v_lshlrev_b32_e32 v2, 30, v0
	v_lshlrev_b32_e32 v3, 29, v0
	;; [unrolled: 1-line block ×4, first 2 shown]
	v_add_co_u32 v1, s12, v1, -1
	s_delay_alu instid0(VALU_DEP_1)
	v_cndmask_b32_e64 v5, 0, 1, s12
	v_not_b32_e32 v29, v2
	v_cmp_gt_i32_e64 s12, 0, v2
	v_not_b32_e32 v2, v3
	v_lshlrev_b32_e32 v7, 26, v0
	v_cmp_ne_u32_e32 vcc_lo, 0, v5
	v_ashrrev_i32_e32 v29, 31, v29
	v_lshlrev_b32_e32 v28, 25, v0
	v_ashrrev_i32_e32 v2, 31, v2
	v_lshlrev_b32_e32 v5, 24, v0
	v_xor_b32_e32 v1, vcc_lo, v1
	v_cmp_gt_i32_e32 vcc_lo, 0, v3
	v_not_b32_e32 v3, v4
	v_xor_b32_e32 v29, s12, v29
	v_cmp_gt_i32_e64 s12, 0, v4
	v_and_b32_e32 v1, exec_lo, v1
	v_not_b32_e32 v4, v6
	v_ashrrev_i32_e32 v3, 31, v3
	v_xor_b32_e32 v2, vcc_lo, v2
	v_cmp_gt_i32_e32 vcc_lo, 0, v6
	v_and_b32_e32 v1, v1, v29
	v_not_b32_e32 v6, v7
	v_ashrrev_i32_e32 v4, 31, v4
	v_xor_b32_e32 v3, s12, v3
	v_cmp_gt_i32_e64 s12, 0, v7
	v_and_b32_e32 v1, v1, v2
	v_not_b32_e32 v2, v28
	v_ashrrev_i32_e32 v6, 31, v6
	v_xor_b32_e32 v4, vcc_lo, v4
	v_cmp_gt_i32_e32 vcc_lo, 0, v28
	v_and_b32_e32 v1, v1, v3
	v_not_b32_e32 v3, v5
	v_ashrrev_i32_e32 v2, 31, v2
	v_xor_b32_e32 v6, s12, v6
	v_lshlrev_b32_e32 v0, 2, v0
	v_and_b32_e32 v1, v1, v4
	v_cmp_gt_i32_e64 s12, 0, v5
	v_ashrrev_i32_e32 v3, 31, v3
	v_xor_b32_e32 v2, vcc_lo, v2
	v_add_lshl_u32 v4, v0, v73, 2
	v_and_b32_e32 v1, v1, v6
	s_delay_alu instid0(VALU_DEP_4) | instskip(SKIP_3) | instid1(VALU_DEP_2)
	v_xor_b32_e32 v0, s12, v3
	ds_load_b32 v28, v4 offset:16
	v_and_b32_e32 v1, v1, v2
	v_add_nc_u32_e32 v30, 16, v4
	; wave barrier
	v_and_b32_e32 v0, v1, v0
	s_delay_alu instid0(VALU_DEP_1) | instskip(SKIP_1) | instid1(VALU_DEP_2)
	v_mbcnt_lo_u32_b32 v29, v0, 0
	v_cmp_ne_u32_e64 s12, 0, v0
	v_cmp_eq_u32_e32 vcc_lo, 0, v29
	s_delay_alu instid0(VALU_DEP_2) | instskip(NEXT) | instid1(SALU_CYCLE_1)
	s_and_b32 s13, vcc_lo, s12
	s_and_saveexec_b32 s12, s13
	s_cbranch_execz .LBB159_20
; %bb.19:                               ;   in Loop: Header=BB159_4 Depth=2
	s_waitcnt lgkmcnt(0)
	v_bcnt_u32_b32 v0, v0, v28
	ds_store_b32 v30, v0
.LBB159_20:                             ;   in Loop: Header=BB159_4 Depth=2
	s_or_b32 exec_lo, exec_lo, s12
	; wave barrier
	s_waitcnt lgkmcnt(0)
	s_barrier
	buffer_gl0_inv
	ds_load_2addr_b64 v[4:7], v65 offset0:2 offset1:3
	ds_load_2addr_b64 v[0:3], v66 offset0:2 offset1:3
	s_waitcnt lgkmcnt(1)
	v_add_nc_u32_e32 v31, v5, v4
	s_delay_alu instid0(VALU_DEP_1) | instskip(SKIP_1) | instid1(VALU_DEP_1)
	v_add3_u32 v31, v31, v6, v7
	s_waitcnt lgkmcnt(0)
	v_add3_u32 v31, v31, v0, v1
	s_delay_alu instid0(VALU_DEP_1) | instskip(NEXT) | instid1(VALU_DEP_1)
	v_add3_u32 v3, v31, v2, v3
	v_mov_b32_dpp v31, v3 row_shr:1 row_mask:0xf bank_mask:0xf
	s_delay_alu instid0(VALU_DEP_1) | instskip(NEXT) | instid1(VALU_DEP_1)
	v_cndmask_b32_e64 v31, v31, 0, s1
	v_add_nc_u32_e32 v3, v31, v3
	s_delay_alu instid0(VALU_DEP_1) | instskip(NEXT) | instid1(VALU_DEP_1)
	v_mov_b32_dpp v31, v3 row_shr:2 row_mask:0xf bank_mask:0xf
	v_cndmask_b32_e64 v31, 0, v31, s2
	s_delay_alu instid0(VALU_DEP_1) | instskip(NEXT) | instid1(VALU_DEP_1)
	v_add_nc_u32_e32 v3, v3, v31
	v_mov_b32_dpp v31, v3 row_shr:4 row_mask:0xf bank_mask:0xf
	s_delay_alu instid0(VALU_DEP_1) | instskip(NEXT) | instid1(VALU_DEP_1)
	v_cndmask_b32_e64 v31, 0, v31, s3
	v_add_nc_u32_e32 v3, v3, v31
	s_delay_alu instid0(VALU_DEP_1) | instskip(NEXT) | instid1(VALU_DEP_1)
	v_mov_b32_dpp v31, v3 row_shr:8 row_mask:0xf bank_mask:0xf
	v_cndmask_b32_e64 v31, 0, v31, s4
	s_delay_alu instid0(VALU_DEP_1) | instskip(SKIP_3) | instid1(VALU_DEP_1)
	v_add_nc_u32_e32 v3, v3, v31
	ds_swizzle_b32 v31, v3 offset:swizzle(BROADCAST,32,15)
	s_waitcnt lgkmcnt(0)
	v_cndmask_b32_e64 v31, v31, 0, s5
	v_add_nc_u32_e32 v3, v3, v31
	s_and_saveexec_b32 s12, s11
	s_cbranch_execz .LBB159_22
; %bb.21:                               ;   in Loop: Header=BB159_4 Depth=2
	ds_store_b32 v68, v3
.LBB159_22:                             ;   in Loop: Header=BB159_4 Depth=2
	s_or_b32 exec_lo, exec_lo, s12
	s_waitcnt lgkmcnt(0)
	s_barrier
	buffer_gl0_inv
	s_and_saveexec_b32 s12, s6
	s_cbranch_execz .LBB159_24
; %bb.23:                               ;   in Loop: Header=BB159_4 Depth=2
	ds_load_b32 v31, v69
	s_waitcnt lgkmcnt(0)
	v_mov_b32_dpp v75, v31 row_shr:1 row_mask:0xf bank_mask:0xf
	s_delay_alu instid0(VALU_DEP_1) | instskip(NEXT) | instid1(VALU_DEP_1)
	v_cndmask_b32_e64 v75, v75, 0, s9
	v_add_nc_u32_e32 v31, v75, v31
	s_delay_alu instid0(VALU_DEP_1) | instskip(NEXT) | instid1(VALU_DEP_1)
	v_mov_b32_dpp v75, v31 row_shr:2 row_mask:0xf bank_mask:0xf
	v_cndmask_b32_e64 v75, 0, v75, s10
	s_delay_alu instid0(VALU_DEP_1)
	v_add_nc_u32_e32 v31, v31, v75
	ds_store_b32 v69, v31
.LBB159_24:                             ;   in Loop: Header=BB159_4 Depth=2
	s_or_b32 exec_lo, exec_lo, s12
	v_mov_b32_e32 v31, 0
	s_waitcnt lgkmcnt(0)
	s_barrier
	buffer_gl0_inv
	s_and_saveexec_b32 s12, s7
	s_cbranch_execz .LBB159_26
; %bb.25:                               ;   in Loop: Header=BB159_4 Depth=2
	ds_load_b32 v31, v72
.LBB159_26:                             ;   in Loop: Header=BB159_4 Depth=2
	s_or_b32 exec_lo, exec_lo, s12
	s_waitcnt lgkmcnt(0)
	v_add_nc_u32_e32 v3, v31, v3
	s_cmp_gt_u32 s26, 55
	ds_bpermute_b32 v3, v67, v3
	s_waitcnt lgkmcnt(0)
	v_cndmask_b32_e64 v3, v3, v31, s0
	s_delay_alu instid0(VALU_DEP_1) | instskip(NEXT) | instid1(VALU_DEP_1)
	v_cndmask_b32_e64 v3, v3, 0, s8
	v_add_nc_u32_e32 v4, v3, v4
	s_delay_alu instid0(VALU_DEP_1) | instskip(NEXT) | instid1(VALU_DEP_1)
	v_add_nc_u32_e32 v5, v4, v5
	v_add_nc_u32_e32 v6, v5, v6
	s_delay_alu instid0(VALU_DEP_1)
	v_add_nc_u32_e32 v75, v6, v7
	v_lshlrev_b32_e32 v7, 3, v12
	v_lshlrev_b32_e32 v12, 3, v13
	;; [unrolled: 1-line block ×4, first 2 shown]
	v_add_nc_u32_e32 v76, v75, v0
	s_delay_alu instid0(VALU_DEP_1) | instskip(NEXT) | instid1(VALU_DEP_1)
	v_add_nc_u32_e32 v0, v76, v1
	v_add_nc_u32_e32 v1, v0, v2
	v_lshlrev_b32_e32 v2, 3, v9
	v_lshlrev_b32_e32 v9, 3, v10
	ds_store_2addr_b64 v65, v[3:4], v[5:6] offset0:2 offset1:3
	ds_store_2addr_b64 v66, v[75:76], v[0:1] offset0:2 offset1:3
	s_waitcnt lgkmcnt(0)
	s_barrier
	buffer_gl0_inv
	ds_load_b32 v0, v8
	ds_load_b32 v1, v11
	;; [unrolled: 1-line block ×8, first 2 shown]
	v_lshlrev_b32_e32 v11, 3, v14
	v_lshlrev_b32_e32 v14, 3, v16
	;; [unrolled: 1-line block ×9, first 2 shown]
	s_waitcnt lgkmcnt(0)
	v_lshl_add_u32 v75, v0, 3, v2
	v_lshlrev_b32_e32 v0, 3, v1
	v_lshlrev_b32_e32 v1, 3, v3
	v_lshlrev_b32_e32 v2, 3, v4
	v_lshlrev_b32_e32 v3, 3, v5
	v_lshlrev_b32_e32 v4, 3, v6
	v_lshlrev_b32_e32 v5, 3, v8
	v_lshlrev_b32_e32 v6, 3, v10
	v_add3_u32 v76, v7, v9, v0
	v_add3_u32 v77, v11, v12, v1
	;; [unrolled: 1-line block ×7, first 2 shown]
	s_cbranch_scc0 .LBB159_3
; %bb.27:                               ;   in Loop: Header=BB159_2 Depth=1
                                        ; implicit-def: $sgpr26
                                        ; implicit-def: $vgpr20_vgpr21
                                        ; implicit-def: $vgpr24_vgpr25
                                        ; implicit-def: $vgpr28_vgpr29
                                        ; implicit-def: $vgpr16_vgpr17
                                        ; implicit-def: $vgpr0_vgpr1
                                        ; implicit-def: $vgpr4_vgpr5
                                        ; implicit-def: $vgpr8_vgpr9
                                        ; implicit-def: $vgpr12_vgpr13
                                        ; implicit-def: $sgpr25
                                        ; implicit-def: $sgpr24
	s_branch .LBB159_1
.LBB159_28:
	s_waitcnt lgkmcnt(3)
	v_add_nc_u32_e32 v0, v1, v28
	v_add_nc_u32_e32 v1, v2, v29
	;; [unrolled: 1-line block ×4, first 2 shown]
	s_waitcnt lgkmcnt(2)
	v_add_nc_u32_e32 v4, v5, v24
	v_add_nc_u32_e32 v5, v6, v25
	;; [unrolled: 1-line block ×4, first 2 shown]
	s_waitcnt lgkmcnt(1)
	v_add_nc_u32_e32 v8, v9, v20
	v_lshlrev_b32_e32 v20, 3, v32
	s_add_u32 s0, s18, s20
	s_waitcnt lgkmcnt(0)
	v_add_nc_u32_e32 v15, v33, v16
	v_add_nc_u32_e32 v16, v34, v17
	s_addc_u32 s1, s19, s21
	v_add_co_u32 v17, s2, s0, v20
	v_add_nc_u32_e32 v9, v10, v21
	v_add_nc_u32_e32 v10, v11, v18
	v_add_co_ci_u32_e64 v18, null, s1, 0, s2
	s_delay_alu instid0(VALU_DEP_4) | instskip(SKIP_1) | instid1(VALU_DEP_3)
	v_add_co_u32 v17, vcc_lo, 0x1000, v17
	v_add_nc_u32_e32 v13, v13, v22
	v_add_co_ci_u32_e32 v18, vcc_lo, 0, v18, vcc_lo
	v_add_nc_u32_e32 v14, v14, v23
	v_add_nc_u32_e32 v11, v12, v19
	s_clause 0x7
	global_store_b64 v20, v[0:1], s[0:1]
	global_store_b64 v20, v[2:3], s[0:1] offset:1024
	global_store_b64 v20, v[4:5], s[0:1] offset:2048
	;; [unrolled: 1-line block ×3, first 2 shown]
	global_store_b64 v[17:18], v[8:9], off
	global_store_b64 v[17:18], v[13:14], off offset:1024
	global_store_b64 v[17:18], v[15:16], off offset:2048
	;; [unrolled: 1-line block ×3, first 2 shown]
	s_nop 0
	s_sendmsg sendmsg(MSG_DEALLOC_VGPRS)
	s_endpgm
	.section	.rodata,"a",@progbits
	.p2align	6, 0x0
	.amdhsa_kernel _Z17sort_pairs_kernelI22helper_blocked_blockedN15benchmark_utils11custom_typeIiiEELj128ELj8ELj10EEvPKT0_PS4_
		.amdhsa_group_segment_fixed_size 8192
		.amdhsa_private_segment_fixed_size 0
		.amdhsa_kernarg_size 272
		.amdhsa_user_sgpr_count 15
		.amdhsa_user_sgpr_dispatch_ptr 0
		.amdhsa_user_sgpr_queue_ptr 0
		.amdhsa_user_sgpr_kernarg_segment_ptr 1
		.amdhsa_user_sgpr_dispatch_id 0
		.amdhsa_user_sgpr_private_segment_size 0
		.amdhsa_wavefront_size32 1
		.amdhsa_uses_dynamic_stack 0
		.amdhsa_enable_private_segment 0
		.amdhsa_system_sgpr_workgroup_id_x 1
		.amdhsa_system_sgpr_workgroup_id_y 0
		.amdhsa_system_sgpr_workgroup_id_z 0
		.amdhsa_system_sgpr_workgroup_info 0
		.amdhsa_system_vgpr_workitem_id 2
		.amdhsa_next_free_vgpr 83
		.amdhsa_next_free_sgpr 31
		.amdhsa_reserve_vcc 1
		.amdhsa_float_round_mode_32 0
		.amdhsa_float_round_mode_16_64 0
		.amdhsa_float_denorm_mode_32 3
		.amdhsa_float_denorm_mode_16_64 3
		.amdhsa_dx10_clamp 1
		.amdhsa_ieee_mode 1
		.amdhsa_fp16_overflow 0
		.amdhsa_workgroup_processor_mode 1
		.amdhsa_memory_ordered 1
		.amdhsa_forward_progress 0
		.amdhsa_shared_vgpr_count 0
		.amdhsa_exception_fp_ieee_invalid_op 0
		.amdhsa_exception_fp_denorm_src 0
		.amdhsa_exception_fp_ieee_div_zero 0
		.amdhsa_exception_fp_ieee_overflow 0
		.amdhsa_exception_fp_ieee_underflow 0
		.amdhsa_exception_fp_ieee_inexact 0
		.amdhsa_exception_int_div_zero 0
	.end_amdhsa_kernel
	.section	.text._Z17sort_pairs_kernelI22helper_blocked_blockedN15benchmark_utils11custom_typeIiiEELj128ELj8ELj10EEvPKT0_PS4_,"axG",@progbits,_Z17sort_pairs_kernelI22helper_blocked_blockedN15benchmark_utils11custom_typeIiiEELj128ELj8ELj10EEvPKT0_PS4_,comdat
.Lfunc_end159:
	.size	_Z17sort_pairs_kernelI22helper_blocked_blockedN15benchmark_utils11custom_typeIiiEELj128ELj8ELj10EEvPKT0_PS4_, .Lfunc_end159-_Z17sort_pairs_kernelI22helper_blocked_blockedN15benchmark_utils11custom_typeIiiEELj128ELj8ELj10EEvPKT0_PS4_
                                        ; -- End function
	.section	.AMDGPU.csdata,"",@progbits
; Kernel info:
; codeLenInByte = 5688
; NumSgprs: 33
; NumVgprs: 83
; ScratchSize: 0
; MemoryBound: 0
; FloatMode: 240
; IeeeMode: 1
; LDSByteSize: 8192 bytes/workgroup (compile time only)
; SGPRBlocks: 4
; VGPRBlocks: 10
; NumSGPRsForWavesPerEU: 33
; NumVGPRsForWavesPerEU: 83
; Occupancy: 16
; WaveLimiterHint : 1
; COMPUTE_PGM_RSRC2:SCRATCH_EN: 0
; COMPUTE_PGM_RSRC2:USER_SGPR: 15
; COMPUTE_PGM_RSRC2:TRAP_HANDLER: 0
; COMPUTE_PGM_RSRC2:TGID_X_EN: 1
; COMPUTE_PGM_RSRC2:TGID_Y_EN: 0
; COMPUTE_PGM_RSRC2:TGID_Z_EN: 0
; COMPUTE_PGM_RSRC2:TIDIG_COMP_CNT: 2
	.section	.text._Z16sort_keys_kernelI22helper_blocked_blockedN15benchmark_utils11custom_typeIiiEELj192ELj1ELj10EEvPKT0_PS4_,"axG",@progbits,_Z16sort_keys_kernelI22helper_blocked_blockedN15benchmark_utils11custom_typeIiiEELj192ELj1ELj10EEvPKT0_PS4_,comdat
	.protected	_Z16sort_keys_kernelI22helper_blocked_blockedN15benchmark_utils11custom_typeIiiEELj192ELj1ELj10EEvPKT0_PS4_ ; -- Begin function _Z16sort_keys_kernelI22helper_blocked_blockedN15benchmark_utils11custom_typeIiiEELj192ELj1ELj10EEvPKT0_PS4_
	.globl	_Z16sort_keys_kernelI22helper_blocked_blockedN15benchmark_utils11custom_typeIiiEELj192ELj1ELj10EEvPKT0_PS4_
	.p2align	8
	.type	_Z16sort_keys_kernelI22helper_blocked_blockedN15benchmark_utils11custom_typeIiiEELj192ELj1ELj10EEvPKT0_PS4_,@function
_Z16sort_keys_kernelI22helper_blocked_blockedN15benchmark_utils11custom_typeIiiEELj192ELj1ELj10EEvPKT0_PS4_: ; @_Z16sort_keys_kernelI22helper_blocked_blockedN15benchmark_utils11custom_typeIiiEELj192ELj1ELj10EEvPKT0_PS4_
; %bb.0:
	s_clause 0x1
	s_load_b128 s[16:19], s[0:1], 0x0
	s_load_b32 s11, s[0:1], 0x1c
	s_mov_b32 s23, 0
	s_mul_i32 s22, s15, 0xc0
	v_mbcnt_lo_u32_b32 v5, -1, 0
	s_lshl_b64 s[20:21], s[22:23], 3
	s_mov_b32 s22, s23
	v_bfe_u32 v3, v0, 10, 10
	s_delay_alu instid0(VALU_DEP_2) | instskip(SKIP_3) | instid1(VALU_DEP_4)
	v_dual_mov_b32 v11, s22 :: v_dual_and_b32 v6, 16, v5
	v_and_b32_e32 v4, 15, v5
	v_dual_mov_b32 v12, s23 :: v_dual_add_nc_u32 v7, -1, v5
	v_and_b32_e32 v13, 7, v5
	v_cmp_eq_u32_e64 s4, 0, v6
	s_delay_alu instid0(VALU_DEP_4)
	v_cmp_lt_u32_e64 s2, 3, v4
	v_cmp_lt_u32_e64 s3, 7, v4
	v_cmp_gt_i32_e64 s7, 0, v7
	v_cmp_eq_u32_e64 s8, 0, v13
	v_cmp_lt_u32_e64 s9, 1, v13
	s_waitcnt lgkmcnt(0)
	s_add_u32 s0, s16, s20
	s_addc_u32 s1, s17, s21
	s_mov_b32 s16, s23
	s_mov_b32 s17, s23
	v_dual_mov_b32 v9, s16 :: v_dual_and_b32 v8, 0x3ff, v0
	v_mov_b32_e32 v10, s17
	v_bfe_u32 v0, v0, 20, 10
	s_lshr_b32 s12, s11, 16
	s_delay_alu instid0(VALU_DEP_3)
	v_lshlrev_b32_e32 v1, 3, v8
	v_and_b32_e32 v6, 0xe0, v8
	v_lshlrev_b32_e32 v15, 5, v8
	v_mad_u32_u24 v0, v0, s12, v3
	v_cmp_lt_u32_e64 s10, 3, v13
	global_load_b64 v[1:2], v1, s[0:1]
	v_cmp_eq_u32_e64 s0, 0, v4
	v_cmp_lt_u32_e64 s1, 1, v4
	v_lshrrev_b32_e32 v4, 3, v8
	v_min_u32_e32 v13, 0xa0, v6
	s_and_b32 s11, s11, 0xffff
	v_cndmask_b32_e64 v7, v7, v5, s7
	v_lshlrev_b32_e32 v23, 2, v8
	v_and_b32_e32 v17, 28, v4
	v_mad_u64_u32 v[3:4], null, v0, s11, v[8:9]
	v_or_b32_e32 v0, v5, v6
	v_or_b32_e32 v4, 31, v13
	v_mad_i32_i24 v19, 0xffffffe4, v8, v15
	v_cmp_eq_u32_e32 vcc_lo, 0, v5
	v_cmp_gt_u32_e64 s5, 6, v8
	v_cmp_lt_u32_e64 s6, 31, v8
	v_cmp_eq_u32_e64 s7, 0, v8
	v_or_b32_e32 v16, 24, v15
	v_lshlrev_b32_e32 v18, 2, v7
	v_add_nc_u32_e32 v20, -4, v17
	v_lshlrev_b32_e32 v21, 3, v0
	v_cmp_eq_u32_e64 s11, v4, v8
	v_lshrrev_b32_e32 v22, 5, v3
	v_add_nc_u32_e32 v23, v19, v23
	s_mov_b32 s15, 10
	s_waitcnt vmcnt(0)
	v_xor_b32_e32 v13, 0x80000000, v1
	v_xor_b32_e32 v14, 0x80000000, v2
	s_branch .LBB160_2
.LBB160_1:                              ;   in Loop: Header=BB160_2 Depth=1
	s_or_b32 exec_lo, exec_lo, s12
	s_waitcnt lgkmcnt(0)
	v_add_nc_u32_e32 v3, v26, v3
	s_add_i32 s15, s15, -1
	s_delay_alu instid0(SALU_CYCLE_1) | instskip(SKIP_3) | instid1(VALU_DEP_1)
	s_cmp_eq_u32 s15, 0
	ds_bpermute_b32 v3, v18, v3
	s_waitcnt lgkmcnt(0)
	v_cndmask_b32_e32 v3, v3, v26, vcc_lo
	v_cndmask_b32_e64 v3, v3, 0, s7
	s_delay_alu instid0(VALU_DEP_1) | instskip(NEXT) | instid1(VALU_DEP_1)
	v_add_nc_u32_e32 v4, v3, v4
	v_add_nc_u32_e32 v5, v4, v5
	s_delay_alu instid0(VALU_DEP_1) | instskip(NEXT) | instid1(VALU_DEP_1)
	v_add_nc_u32_e32 v6, v5, v6
	v_add_nc_u32_e32 v26, v6, v7
	;; [unrolled: 3-line block ×3, first 2 shown]
	s_delay_alu instid0(VALU_DEP_1)
	v_add_nc_u32_e32 v1, v0, v2
	ds_store_2addr_b64 v15, v[3:4], v[5:6] offset0:3 offset1:4
	ds_store_2addr_b64 v16, v[26:27], v[0:1] offset0:2 offset1:3
	s_waitcnt lgkmcnt(0)
	s_barrier
	buffer_gl0_inv
	ds_load_b32 v0, v25
	v_lshlrev_b32_e32 v1, 3, v24
	s_waitcnt lgkmcnt(0)
	s_barrier
	buffer_gl0_inv
	v_lshl_add_u32 v0, v0, 3, v1
	ds_store_b64 v0, v[13:14]
	s_waitcnt lgkmcnt(0)
	s_barrier
	buffer_gl0_inv
	ds_load_b64 v[13:14], v23
	s_cbranch_scc1 .LBB160_66
.LBB160_2:                              ; =>This Inner Loop Header: Depth=1
	s_waitcnt lgkmcnt(0)
	s_delay_alu instid0(VALU_DEP_1)
	v_and_b32_e32 v0, 1, v14
	v_lshlrev_b32_e32 v1, 30, v14
	v_lshlrev_b32_e32 v2, 29, v14
	;; [unrolled: 1-line block ×4, first 2 shown]
	v_add_co_u32 v0, s12, v0, -1
	s_delay_alu instid0(VALU_DEP_1)
	v_cndmask_b32_e64 v3, 0, 1, s12
	v_not_b32_e32 v7, v1
	v_cmp_gt_i32_e64 s13, 0, v1
	v_not_b32_e32 v1, v2
	v_lshlrev_b32_e32 v6, 26, v14
	v_cmp_ne_u32_e64 s12, 0, v3
	v_ashrrev_i32_e32 v7, 31, v7
	v_lshlrev_b32_e32 v3, 25, v14
	v_ashrrev_i32_e32 v1, 31, v1
	v_cmp_gt_i32_e64 s14, 0, v5
	v_xor_b32_e32 v0, s12, v0
	v_cmp_gt_i32_e64 s12, 0, v2
	v_not_b32_e32 v2, v4
	v_xor_b32_e32 v7, s13, v7
	v_cmp_gt_i32_e64 s13, 0, v4
	v_and_b32_e32 v0, exec_lo, v0
	v_xor_b32_e32 v1, s12, v1
	v_ashrrev_i32_e32 v2, 31, v2
	v_not_b32_e32 v4, v5
	v_not_b32_e32 v5, v6
	v_and_b32_e32 v0, v0, v7
	v_cmp_gt_i32_e64 s12, 0, v6
	v_xor_b32_e32 v2, s13, v2
	v_not_b32_e32 v6, v3
	ds_store_2addr_b64 v15, v[11:12], v[9:10] offset0:3 offset1:4
	ds_store_2addr_b64 v16, v[11:12], v[9:10] offset0:2 offset1:3
	v_and_b32_e32 v0, v0, v1
	v_ashrrev_i32_e32 v1, 31, v4
	v_ashrrev_i32_e32 v4, 31, v5
	v_lshlrev_b32_e32 v5, 24, v14
	s_waitcnt lgkmcnt(0)
	v_and_b32_e32 v0, v0, v2
	v_xor_b32_e32 v1, s14, v1
	v_xor_b32_e32 v2, s12, v4
	v_cmp_gt_i32_e64 s12, 0, v3
	v_not_b32_e32 v3, v5
	v_ashrrev_i32_e32 v4, 31, v6
	v_and_b32_e32 v0, v0, v1
	v_cmp_gt_i32_e64 s13, 0, v5
	s_barrier
	v_ashrrev_i32_e32 v1, 31, v3
	v_xor_b32_e32 v3, s12, v4
	v_and_b32_e32 v0, v0, v2
	buffer_gl0_inv
	v_xor_b32_e32 v1, s13, v1
	; wave barrier
	v_and_b32_e32 v0, v0, v3
	s_delay_alu instid0(VALU_DEP_1) | instskip(SKIP_1) | instid1(VALU_DEP_2)
	v_and_b32_e32 v0, v0, v1
	v_and_b32_e32 v1, 0xff, v14
	v_mbcnt_lo_u32_b32 v24, v0, 0
	s_delay_alu instid0(VALU_DEP_2) | instskip(SKIP_1) | instid1(VALU_DEP_3)
	v_mad_u32_u24 v1, v1, 6, v22
	v_cmp_ne_u32_e64 s13, 0, v0
	v_cmp_eq_u32_e64 s12, 0, v24
	s_delay_alu instid0(VALU_DEP_3) | instskip(NEXT) | instid1(VALU_DEP_2)
	v_lshl_add_u32 v25, v1, 2, 24
	s_and_b32 s13, s13, s12
	s_delay_alu instid0(SALU_CYCLE_1)
	s_and_saveexec_b32 s12, s13
	s_cbranch_execz .LBB160_4
; %bb.3:                                ;   in Loop: Header=BB160_2 Depth=1
	v_bcnt_u32_b32 v0, v0, 0
	ds_store_b32 v25, v0
.LBB160_4:                              ;   in Loop: Header=BB160_2 Depth=1
	s_or_b32 exec_lo, exec_lo, s12
	; wave barrier
	s_waitcnt lgkmcnt(0)
	s_barrier
	buffer_gl0_inv
	ds_load_2addr_b64 v[4:7], v15 offset0:3 offset1:4
	ds_load_2addr_b64 v[0:3], v16 offset0:2 offset1:3
	s_waitcnt lgkmcnt(1)
	v_add_nc_u32_e32 v26, v5, v4
	s_delay_alu instid0(VALU_DEP_1) | instskip(SKIP_1) | instid1(VALU_DEP_1)
	v_add3_u32 v26, v26, v6, v7
	s_waitcnt lgkmcnt(0)
	v_add3_u32 v26, v26, v0, v1
	s_delay_alu instid0(VALU_DEP_1) | instskip(NEXT) | instid1(VALU_DEP_1)
	v_add3_u32 v3, v26, v2, v3
	v_mov_b32_dpp v26, v3 row_shr:1 row_mask:0xf bank_mask:0xf
	s_delay_alu instid0(VALU_DEP_1) | instskip(NEXT) | instid1(VALU_DEP_1)
	v_cndmask_b32_e64 v26, v26, 0, s0
	v_add_nc_u32_e32 v3, v26, v3
	s_delay_alu instid0(VALU_DEP_1) | instskip(NEXT) | instid1(VALU_DEP_1)
	v_mov_b32_dpp v26, v3 row_shr:2 row_mask:0xf bank_mask:0xf
	v_cndmask_b32_e64 v26, 0, v26, s1
	s_delay_alu instid0(VALU_DEP_1) | instskip(NEXT) | instid1(VALU_DEP_1)
	v_add_nc_u32_e32 v3, v3, v26
	v_mov_b32_dpp v26, v3 row_shr:4 row_mask:0xf bank_mask:0xf
	s_delay_alu instid0(VALU_DEP_1) | instskip(NEXT) | instid1(VALU_DEP_1)
	v_cndmask_b32_e64 v26, 0, v26, s2
	v_add_nc_u32_e32 v3, v3, v26
	s_delay_alu instid0(VALU_DEP_1) | instskip(NEXT) | instid1(VALU_DEP_1)
	v_mov_b32_dpp v26, v3 row_shr:8 row_mask:0xf bank_mask:0xf
	v_cndmask_b32_e64 v26, 0, v26, s3
	s_delay_alu instid0(VALU_DEP_1) | instskip(SKIP_3) | instid1(VALU_DEP_1)
	v_add_nc_u32_e32 v3, v3, v26
	ds_swizzle_b32 v26, v3 offset:swizzle(BROADCAST,32,15)
	s_waitcnt lgkmcnt(0)
	v_cndmask_b32_e64 v26, v26, 0, s4
	v_add_nc_u32_e32 v3, v3, v26
	s_and_saveexec_b32 s12, s11
	s_cbranch_execz .LBB160_6
; %bb.5:                                ;   in Loop: Header=BB160_2 Depth=1
	ds_store_b32 v17, v3
.LBB160_6:                              ;   in Loop: Header=BB160_2 Depth=1
	s_or_b32 exec_lo, exec_lo, s12
	s_waitcnt lgkmcnt(0)
	s_barrier
	buffer_gl0_inv
	s_and_saveexec_b32 s12, s5
	s_cbranch_execz .LBB160_8
; %bb.7:                                ;   in Loop: Header=BB160_2 Depth=1
	ds_load_b32 v26, v19
	s_waitcnt lgkmcnt(0)
	v_mov_b32_dpp v27, v26 row_shr:1 row_mask:0xf bank_mask:0xf
	s_delay_alu instid0(VALU_DEP_1) | instskip(NEXT) | instid1(VALU_DEP_1)
	v_cndmask_b32_e64 v27, v27, 0, s8
	v_add_nc_u32_e32 v26, v27, v26
	s_delay_alu instid0(VALU_DEP_1) | instskip(NEXT) | instid1(VALU_DEP_1)
	v_mov_b32_dpp v27, v26 row_shr:2 row_mask:0xf bank_mask:0xf
	v_cndmask_b32_e64 v27, 0, v27, s9
	s_delay_alu instid0(VALU_DEP_1) | instskip(NEXT) | instid1(VALU_DEP_1)
	v_add_nc_u32_e32 v26, v26, v27
	v_mov_b32_dpp v27, v26 row_shr:4 row_mask:0xf bank_mask:0xf
	s_delay_alu instid0(VALU_DEP_1) | instskip(NEXT) | instid1(VALU_DEP_1)
	v_cndmask_b32_e64 v27, 0, v27, s10
	v_add_nc_u32_e32 v26, v26, v27
	ds_store_b32 v19, v26
.LBB160_8:                              ;   in Loop: Header=BB160_2 Depth=1
	s_or_b32 exec_lo, exec_lo, s12
	v_mov_b32_e32 v26, 0
	s_waitcnt lgkmcnt(0)
	s_barrier
	buffer_gl0_inv
	s_and_saveexec_b32 s12, s6
	s_cbranch_execz .LBB160_10
; %bb.9:                                ;   in Loop: Header=BB160_2 Depth=1
	ds_load_b32 v26, v20
.LBB160_10:                             ;   in Loop: Header=BB160_2 Depth=1
	s_or_b32 exec_lo, exec_lo, s12
	s_waitcnt lgkmcnt(0)
	v_add_nc_u32_e32 v3, v26, v3
	ds_bpermute_b32 v3, v18, v3
	s_waitcnt lgkmcnt(0)
	v_cndmask_b32_e32 v3, v3, v26, vcc_lo
	s_delay_alu instid0(VALU_DEP_1) | instskip(NEXT) | instid1(VALU_DEP_1)
	v_cndmask_b32_e64 v3, v3, 0, s7
	v_add_nc_u32_e32 v4, v3, v4
	s_delay_alu instid0(VALU_DEP_1) | instskip(NEXT) | instid1(VALU_DEP_1)
	v_add_nc_u32_e32 v5, v4, v5
	v_add_nc_u32_e32 v6, v5, v6
	s_delay_alu instid0(VALU_DEP_1) | instskip(NEXT) | instid1(VALU_DEP_1)
	v_add_nc_u32_e32 v26, v6, v7
	;; [unrolled: 3-line block ×3, first 2 shown]
	v_add_nc_u32_e32 v1, v0, v2
	ds_store_2addr_b64 v15, v[3:4], v[5:6] offset0:3 offset1:4
	ds_store_2addr_b64 v16, v[26:27], v[0:1] offset0:2 offset1:3
	s_waitcnt lgkmcnt(0)
	s_barrier
	buffer_gl0_inv
	ds_load_b32 v0, v25
	v_lshlrev_b32_e32 v1, 3, v24
	s_waitcnt lgkmcnt(0)
	s_barrier
	buffer_gl0_inv
	v_lshl_add_u32 v0, v0, 3, v1
	ds_store_b64 v0, v[13:14]
	s_waitcnt lgkmcnt(0)
	s_barrier
	buffer_gl0_inv
	ds_load_b64 v[13:14], v21
	s_waitcnt lgkmcnt(0)
	s_barrier
	buffer_gl0_inv
	ds_store_2addr_b64 v15, v[11:12], v[9:10] offset0:3 offset1:4
	ds_store_2addr_b64 v16, v[11:12], v[9:10] offset0:2 offset1:3
	s_waitcnt lgkmcnt(0)
	s_barrier
	buffer_gl0_inv
	; wave barrier
	v_bfe_u32 v0, v14, 8, 1
	v_lshrrev_b32_e32 v1, 8, v14
	s_delay_alu instid0(VALU_DEP_2) | instskip(NEXT) | instid1(VALU_DEP_1)
	v_add_co_u32 v0, s12, v0, -1
	v_cndmask_b32_e64 v2, 0, 1, s12
	s_delay_alu instid0(VALU_DEP_3)
	v_lshlrev_b32_e32 v3, 30, v1
	v_lshlrev_b32_e32 v4, 29, v1
	v_lshlrev_b32_e32 v5, 28, v1
	v_lshlrev_b32_e32 v6, 27, v1
	v_cmp_ne_u32_e64 s12, 0, v2
	v_not_b32_e32 v2, v3
	v_cmp_gt_i32_e64 s13, 0, v3
	v_not_b32_e32 v3, v4
	v_lshlrev_b32_e32 v7, 26, v1
	v_xor_b32_e32 v0, s12, v0
	v_ashrrev_i32_e32 v2, 31, v2
	v_cmp_gt_i32_e64 s12, 0, v4
	v_not_b32_e32 v4, v5
	v_ashrrev_i32_e32 v3, 31, v3
	v_and_b32_e32 v0, exec_lo, v0
	v_xor_b32_e32 v2, s13, v2
	v_cmp_gt_i32_e64 s13, 0, v5
	v_not_b32_e32 v5, v6
	v_ashrrev_i32_e32 v4, 31, v4
	v_xor_b32_e32 v3, s12, v3
	v_and_b32_e32 v0, v0, v2
	v_lshlrev_b32_e32 v24, 25, v1
	v_cmp_gt_i32_e64 s12, 0, v6
	v_not_b32_e32 v2, v7
	v_ashrrev_i32_e32 v5, 31, v5
	v_xor_b32_e32 v4, s13, v4
	v_and_b32_e32 v0, v0, v3
	v_lshlrev_b32_e32 v1, 24, v1
	v_cmp_gt_i32_e64 s13, 0, v7
	v_not_b32_e32 v3, v24
	v_ashrrev_i32_e32 v2, 31, v2
	v_xor_b32_e32 v5, s12, v5
	v_and_b32_e32 v0, v0, v4
	v_cmp_gt_i32_e64 s12, 0, v24
	v_not_b32_e32 v4, v1
	v_ashrrev_i32_e32 v3, 31, v3
	v_xor_b32_e32 v2, s13, v2
	v_and_b32_e32 v0, v0, v5
	v_cmp_gt_i32_e64 s13, 0, v1
	v_ashrrev_i32_e32 v1, 31, v4
	v_xor_b32_e32 v3, s12, v3
	s_delay_alu instid0(VALU_DEP_4) | instskip(NEXT) | instid1(VALU_DEP_3)
	v_and_b32_e32 v0, v0, v2
	v_xor_b32_e32 v1, s13, v1
	s_delay_alu instid0(VALU_DEP_2) | instskip(NEXT) | instid1(VALU_DEP_1)
	v_and_b32_e32 v0, v0, v3
	v_and_b32_e32 v0, v0, v1
	v_bfe_u32 v1, v14, 8, 8
	s_delay_alu instid0(VALU_DEP_2) | instskip(NEXT) | instid1(VALU_DEP_2)
	v_mbcnt_lo_u32_b32 v24, v0, 0
	v_mad_u32_u24 v1, v1, 6, v22
	v_cmp_ne_u32_e64 s13, 0, v0
	s_delay_alu instid0(VALU_DEP_3) | instskip(NEXT) | instid1(VALU_DEP_3)
	v_cmp_eq_u32_e64 s12, 0, v24
	v_lshl_add_u32 v25, v1, 2, 24
	s_delay_alu instid0(VALU_DEP_2) | instskip(NEXT) | instid1(SALU_CYCLE_1)
	s_and_b32 s13, s13, s12
	s_and_saveexec_b32 s12, s13
	s_cbranch_execz .LBB160_12
; %bb.11:                               ;   in Loop: Header=BB160_2 Depth=1
	v_bcnt_u32_b32 v0, v0, 0
	ds_store_b32 v25, v0
.LBB160_12:                             ;   in Loop: Header=BB160_2 Depth=1
	s_or_b32 exec_lo, exec_lo, s12
	; wave barrier
	s_waitcnt lgkmcnt(0)
	s_barrier
	buffer_gl0_inv
	ds_load_2addr_b64 v[4:7], v15 offset0:3 offset1:4
	ds_load_2addr_b64 v[0:3], v16 offset0:2 offset1:3
	s_waitcnt lgkmcnt(1)
	v_add_nc_u32_e32 v26, v5, v4
	s_delay_alu instid0(VALU_DEP_1) | instskip(SKIP_1) | instid1(VALU_DEP_1)
	v_add3_u32 v26, v26, v6, v7
	s_waitcnt lgkmcnt(0)
	v_add3_u32 v26, v26, v0, v1
	s_delay_alu instid0(VALU_DEP_1) | instskip(NEXT) | instid1(VALU_DEP_1)
	v_add3_u32 v3, v26, v2, v3
	v_mov_b32_dpp v26, v3 row_shr:1 row_mask:0xf bank_mask:0xf
	s_delay_alu instid0(VALU_DEP_1) | instskip(NEXT) | instid1(VALU_DEP_1)
	v_cndmask_b32_e64 v26, v26, 0, s0
	v_add_nc_u32_e32 v3, v26, v3
	s_delay_alu instid0(VALU_DEP_1) | instskip(NEXT) | instid1(VALU_DEP_1)
	v_mov_b32_dpp v26, v3 row_shr:2 row_mask:0xf bank_mask:0xf
	v_cndmask_b32_e64 v26, 0, v26, s1
	s_delay_alu instid0(VALU_DEP_1) | instskip(NEXT) | instid1(VALU_DEP_1)
	v_add_nc_u32_e32 v3, v3, v26
	v_mov_b32_dpp v26, v3 row_shr:4 row_mask:0xf bank_mask:0xf
	s_delay_alu instid0(VALU_DEP_1) | instskip(NEXT) | instid1(VALU_DEP_1)
	v_cndmask_b32_e64 v26, 0, v26, s2
	v_add_nc_u32_e32 v3, v3, v26
	s_delay_alu instid0(VALU_DEP_1) | instskip(NEXT) | instid1(VALU_DEP_1)
	v_mov_b32_dpp v26, v3 row_shr:8 row_mask:0xf bank_mask:0xf
	v_cndmask_b32_e64 v26, 0, v26, s3
	s_delay_alu instid0(VALU_DEP_1) | instskip(SKIP_3) | instid1(VALU_DEP_1)
	v_add_nc_u32_e32 v3, v3, v26
	ds_swizzle_b32 v26, v3 offset:swizzle(BROADCAST,32,15)
	s_waitcnt lgkmcnt(0)
	v_cndmask_b32_e64 v26, v26, 0, s4
	v_add_nc_u32_e32 v3, v3, v26
	s_and_saveexec_b32 s12, s11
	s_cbranch_execz .LBB160_14
; %bb.13:                               ;   in Loop: Header=BB160_2 Depth=1
	ds_store_b32 v17, v3
.LBB160_14:                             ;   in Loop: Header=BB160_2 Depth=1
	s_or_b32 exec_lo, exec_lo, s12
	s_waitcnt lgkmcnt(0)
	s_barrier
	buffer_gl0_inv
	s_and_saveexec_b32 s12, s5
	s_cbranch_execz .LBB160_16
; %bb.15:                               ;   in Loop: Header=BB160_2 Depth=1
	ds_load_b32 v26, v19
	s_waitcnt lgkmcnt(0)
	v_mov_b32_dpp v27, v26 row_shr:1 row_mask:0xf bank_mask:0xf
	s_delay_alu instid0(VALU_DEP_1) | instskip(NEXT) | instid1(VALU_DEP_1)
	v_cndmask_b32_e64 v27, v27, 0, s8
	v_add_nc_u32_e32 v26, v27, v26
	s_delay_alu instid0(VALU_DEP_1) | instskip(NEXT) | instid1(VALU_DEP_1)
	v_mov_b32_dpp v27, v26 row_shr:2 row_mask:0xf bank_mask:0xf
	v_cndmask_b32_e64 v27, 0, v27, s9
	s_delay_alu instid0(VALU_DEP_1) | instskip(NEXT) | instid1(VALU_DEP_1)
	v_add_nc_u32_e32 v26, v26, v27
	v_mov_b32_dpp v27, v26 row_shr:4 row_mask:0xf bank_mask:0xf
	s_delay_alu instid0(VALU_DEP_1) | instskip(NEXT) | instid1(VALU_DEP_1)
	v_cndmask_b32_e64 v27, 0, v27, s10
	v_add_nc_u32_e32 v26, v26, v27
	ds_store_b32 v19, v26
.LBB160_16:                             ;   in Loop: Header=BB160_2 Depth=1
	s_or_b32 exec_lo, exec_lo, s12
	v_mov_b32_e32 v26, 0
	s_waitcnt lgkmcnt(0)
	s_barrier
	buffer_gl0_inv
	s_and_saveexec_b32 s12, s6
	s_cbranch_execz .LBB160_18
; %bb.17:                               ;   in Loop: Header=BB160_2 Depth=1
	ds_load_b32 v26, v20
.LBB160_18:                             ;   in Loop: Header=BB160_2 Depth=1
	s_or_b32 exec_lo, exec_lo, s12
	s_waitcnt lgkmcnt(0)
	v_add_nc_u32_e32 v3, v26, v3
	ds_bpermute_b32 v3, v18, v3
	s_waitcnt lgkmcnt(0)
	v_cndmask_b32_e32 v3, v3, v26, vcc_lo
	s_delay_alu instid0(VALU_DEP_1) | instskip(NEXT) | instid1(VALU_DEP_1)
	v_cndmask_b32_e64 v3, v3, 0, s7
	v_add_nc_u32_e32 v4, v3, v4
	s_delay_alu instid0(VALU_DEP_1) | instskip(NEXT) | instid1(VALU_DEP_1)
	v_add_nc_u32_e32 v5, v4, v5
	v_add_nc_u32_e32 v6, v5, v6
	s_delay_alu instid0(VALU_DEP_1) | instskip(NEXT) | instid1(VALU_DEP_1)
	v_add_nc_u32_e32 v26, v6, v7
	;; [unrolled: 3-line block ×3, first 2 shown]
	v_add_nc_u32_e32 v1, v0, v2
	ds_store_2addr_b64 v15, v[3:4], v[5:6] offset0:3 offset1:4
	ds_store_2addr_b64 v16, v[26:27], v[0:1] offset0:2 offset1:3
	s_waitcnt lgkmcnt(0)
	s_barrier
	buffer_gl0_inv
	ds_load_b32 v0, v25
	v_lshlrev_b32_e32 v1, 3, v24
	s_waitcnt lgkmcnt(0)
	s_barrier
	buffer_gl0_inv
	v_lshl_add_u32 v0, v0, 3, v1
	ds_store_b64 v0, v[13:14]
	s_waitcnt lgkmcnt(0)
	s_barrier
	buffer_gl0_inv
	ds_load_b64 v[13:14], v21
	s_waitcnt lgkmcnt(0)
	s_barrier
	buffer_gl0_inv
	v_bfe_u32 v0, v14, 16, 1
	v_lshrrev_b32_e32 v1, 16, v14
	s_delay_alu instid0(VALU_DEP_2) | instskip(NEXT) | instid1(VALU_DEP_1)
	v_add_co_u32 v0, s12, v0, -1
	v_cndmask_b32_e64 v2, 0, 1, s12
	s_delay_alu instid0(VALU_DEP_3)
	v_lshlrev_b32_e32 v3, 30, v1
	v_lshlrev_b32_e32 v4, 29, v1
	v_lshlrev_b32_e32 v5, 28, v1
	v_lshlrev_b32_e32 v6, 27, v1
	v_cmp_ne_u32_e64 s12, 0, v2
	v_not_b32_e32 v2, v3
	v_cmp_gt_i32_e64 s13, 0, v3
	v_not_b32_e32 v3, v4
	v_lshlrev_b32_e32 v7, 26, v1
	v_xor_b32_e32 v0, s12, v0
	v_ashrrev_i32_e32 v2, 31, v2
	v_cmp_gt_i32_e64 s12, 0, v4
	v_not_b32_e32 v4, v5
	v_ashrrev_i32_e32 v3, 31, v3
	v_and_b32_e32 v0, exec_lo, v0
	v_xor_b32_e32 v2, s13, v2
	v_cmp_gt_i32_e64 s13, 0, v5
	v_not_b32_e32 v5, v6
	v_ashrrev_i32_e32 v4, 31, v4
	v_xor_b32_e32 v3, s12, v3
	v_and_b32_e32 v0, v0, v2
	v_lshlrev_b32_e32 v24, 25, v1
	v_cmp_gt_i32_e64 s12, 0, v6
	v_not_b32_e32 v2, v7
	v_ashrrev_i32_e32 v5, 31, v5
	v_xor_b32_e32 v4, s13, v4
	v_and_b32_e32 v0, v0, v3
	v_lshlrev_b32_e32 v1, 24, v1
	v_cmp_gt_i32_e64 s13, 0, v7
	v_not_b32_e32 v3, v24
	v_ashrrev_i32_e32 v2, 31, v2
	v_xor_b32_e32 v5, s12, v5
	v_and_b32_e32 v0, v0, v4
	v_cmp_gt_i32_e64 s12, 0, v24
	v_not_b32_e32 v4, v1
	v_ashrrev_i32_e32 v3, 31, v3
	v_xor_b32_e32 v2, s13, v2
	v_and_b32_e32 v0, v0, v5
	v_cmp_gt_i32_e64 s13, 0, v1
	v_ashrrev_i32_e32 v1, 31, v4
	v_xor_b32_e32 v3, s12, v3
	s_delay_alu instid0(VALU_DEP_4) | instskip(NEXT) | instid1(VALU_DEP_3)
	v_and_b32_e32 v0, v0, v2
	v_xor_b32_e32 v5, s13, v1
	v_dual_mov_b32 v1, s22 :: v_dual_mov_b32 v2, s23
	s_delay_alu instid0(VALU_DEP_3)
	v_dual_mov_b32 v3, s16 :: v_dual_and_b32 v0, v0, v3
	v_mov_b32_e32 v4, s17
	ds_store_2addr_b64 v15, v[1:2], v[3:4] offset0:3 offset1:4
	ds_store_2addr_b64 v16, v[1:2], v[3:4] offset0:2 offset1:3
	v_and_b32_e32 v0, v0, v5
	v_bfe_u32 v5, v14, 16, 8
	s_waitcnt lgkmcnt(0)
	s_barrier
	buffer_gl0_inv
	v_mbcnt_lo_u32_b32 v24, v0, 0
	v_mad_u32_u24 v1, v5, 6, v22
	v_cmp_ne_u32_e64 s13, 0, v0
	; wave barrier
	s_delay_alu instid0(VALU_DEP_3) | instskip(NEXT) | instid1(VALU_DEP_3)
	v_cmp_eq_u32_e64 s12, 0, v24
	v_lshl_add_u32 v25, v1, 2, 24
	s_delay_alu instid0(VALU_DEP_2) | instskip(NEXT) | instid1(SALU_CYCLE_1)
	s_and_b32 s13, s13, s12
	s_and_saveexec_b32 s12, s13
	s_cbranch_execz .LBB160_20
; %bb.19:                               ;   in Loop: Header=BB160_2 Depth=1
	v_bcnt_u32_b32 v0, v0, 0
	ds_store_b32 v25, v0
.LBB160_20:                             ;   in Loop: Header=BB160_2 Depth=1
	s_or_b32 exec_lo, exec_lo, s12
	; wave barrier
	s_waitcnt lgkmcnt(0)
	s_barrier
	buffer_gl0_inv
	ds_load_2addr_b64 v[4:7], v15 offset0:3 offset1:4
	ds_load_2addr_b64 v[0:3], v16 offset0:2 offset1:3
	s_waitcnt lgkmcnt(1)
	v_add_nc_u32_e32 v26, v5, v4
	s_delay_alu instid0(VALU_DEP_1) | instskip(SKIP_1) | instid1(VALU_DEP_1)
	v_add3_u32 v26, v26, v6, v7
	s_waitcnt lgkmcnt(0)
	v_add3_u32 v26, v26, v0, v1
	s_delay_alu instid0(VALU_DEP_1) | instskip(NEXT) | instid1(VALU_DEP_1)
	v_add3_u32 v3, v26, v2, v3
	v_mov_b32_dpp v26, v3 row_shr:1 row_mask:0xf bank_mask:0xf
	s_delay_alu instid0(VALU_DEP_1) | instskip(NEXT) | instid1(VALU_DEP_1)
	v_cndmask_b32_e64 v26, v26, 0, s0
	v_add_nc_u32_e32 v3, v26, v3
	s_delay_alu instid0(VALU_DEP_1) | instskip(NEXT) | instid1(VALU_DEP_1)
	v_mov_b32_dpp v26, v3 row_shr:2 row_mask:0xf bank_mask:0xf
	v_cndmask_b32_e64 v26, 0, v26, s1
	s_delay_alu instid0(VALU_DEP_1) | instskip(NEXT) | instid1(VALU_DEP_1)
	v_add_nc_u32_e32 v3, v3, v26
	v_mov_b32_dpp v26, v3 row_shr:4 row_mask:0xf bank_mask:0xf
	s_delay_alu instid0(VALU_DEP_1) | instskip(NEXT) | instid1(VALU_DEP_1)
	v_cndmask_b32_e64 v26, 0, v26, s2
	v_add_nc_u32_e32 v3, v3, v26
	s_delay_alu instid0(VALU_DEP_1) | instskip(NEXT) | instid1(VALU_DEP_1)
	v_mov_b32_dpp v26, v3 row_shr:8 row_mask:0xf bank_mask:0xf
	v_cndmask_b32_e64 v26, 0, v26, s3
	s_delay_alu instid0(VALU_DEP_1) | instskip(SKIP_3) | instid1(VALU_DEP_1)
	v_add_nc_u32_e32 v3, v3, v26
	ds_swizzle_b32 v26, v3 offset:swizzle(BROADCAST,32,15)
	s_waitcnt lgkmcnt(0)
	v_cndmask_b32_e64 v26, v26, 0, s4
	v_add_nc_u32_e32 v3, v3, v26
	s_and_saveexec_b32 s12, s11
	s_cbranch_execz .LBB160_22
; %bb.21:                               ;   in Loop: Header=BB160_2 Depth=1
	ds_store_b32 v17, v3
.LBB160_22:                             ;   in Loop: Header=BB160_2 Depth=1
	s_or_b32 exec_lo, exec_lo, s12
	s_waitcnt lgkmcnt(0)
	s_barrier
	buffer_gl0_inv
	s_and_saveexec_b32 s12, s5
	s_cbranch_execz .LBB160_24
; %bb.23:                               ;   in Loop: Header=BB160_2 Depth=1
	ds_load_b32 v26, v19
	s_waitcnt lgkmcnt(0)
	v_mov_b32_dpp v27, v26 row_shr:1 row_mask:0xf bank_mask:0xf
	s_delay_alu instid0(VALU_DEP_1) | instskip(NEXT) | instid1(VALU_DEP_1)
	v_cndmask_b32_e64 v27, v27, 0, s8
	v_add_nc_u32_e32 v26, v27, v26
	s_delay_alu instid0(VALU_DEP_1) | instskip(NEXT) | instid1(VALU_DEP_1)
	v_mov_b32_dpp v27, v26 row_shr:2 row_mask:0xf bank_mask:0xf
	v_cndmask_b32_e64 v27, 0, v27, s9
	s_delay_alu instid0(VALU_DEP_1) | instskip(NEXT) | instid1(VALU_DEP_1)
	v_add_nc_u32_e32 v26, v26, v27
	v_mov_b32_dpp v27, v26 row_shr:4 row_mask:0xf bank_mask:0xf
	s_delay_alu instid0(VALU_DEP_1) | instskip(NEXT) | instid1(VALU_DEP_1)
	v_cndmask_b32_e64 v27, 0, v27, s10
	v_add_nc_u32_e32 v26, v26, v27
	ds_store_b32 v19, v26
.LBB160_24:                             ;   in Loop: Header=BB160_2 Depth=1
	s_or_b32 exec_lo, exec_lo, s12
	v_mov_b32_e32 v26, 0
	s_waitcnt lgkmcnt(0)
	s_barrier
	buffer_gl0_inv
	s_and_saveexec_b32 s12, s6
	s_cbranch_execz .LBB160_26
; %bb.25:                               ;   in Loop: Header=BB160_2 Depth=1
	ds_load_b32 v26, v20
.LBB160_26:                             ;   in Loop: Header=BB160_2 Depth=1
	s_or_b32 exec_lo, exec_lo, s12
	s_waitcnt lgkmcnt(0)
	v_add_nc_u32_e32 v3, v26, v3
	ds_bpermute_b32 v3, v18, v3
	s_waitcnt lgkmcnt(0)
	v_cndmask_b32_e32 v3, v3, v26, vcc_lo
	s_delay_alu instid0(VALU_DEP_1) | instskip(NEXT) | instid1(VALU_DEP_1)
	v_cndmask_b32_e64 v3, v3, 0, s7
	v_add_nc_u32_e32 v4, v3, v4
	s_delay_alu instid0(VALU_DEP_1) | instskip(NEXT) | instid1(VALU_DEP_1)
	v_add_nc_u32_e32 v5, v4, v5
	v_add_nc_u32_e32 v6, v5, v6
	s_delay_alu instid0(VALU_DEP_1) | instskip(NEXT) | instid1(VALU_DEP_1)
	v_add_nc_u32_e32 v26, v6, v7
	;; [unrolled: 3-line block ×3, first 2 shown]
	v_add_nc_u32_e32 v1, v0, v2
	ds_store_2addr_b64 v15, v[3:4], v[5:6] offset0:3 offset1:4
	ds_store_2addr_b64 v16, v[26:27], v[0:1] offset0:2 offset1:3
	s_waitcnt lgkmcnt(0)
	s_barrier
	buffer_gl0_inv
	ds_load_b32 v0, v25
	v_lshlrev_b32_e32 v1, 3, v24
	s_waitcnt lgkmcnt(0)
	s_barrier
	buffer_gl0_inv
	v_lshl_add_u32 v0, v0, 3, v1
	ds_store_b64 v0, v[13:14]
	s_waitcnt lgkmcnt(0)
	s_barrier
	buffer_gl0_inv
	ds_load_b64 v[13:14], v21
	s_waitcnt lgkmcnt(0)
	s_barrier
	buffer_gl0_inv
	v_bfe_u32 v0, v14, 24, 1
	v_lshrrev_b32_e32 v5, 24, v14
	s_delay_alu instid0(VALU_DEP_2) | instskip(NEXT) | instid1(VALU_DEP_1)
	v_add_co_u32 v0, s12, v0, -1
	v_cndmask_b32_e64 v1, 0, 1, s12
	s_delay_alu instid0(VALU_DEP_3)
	v_lshlrev_b32_e32 v2, 30, v5
	v_lshlrev_b32_e32 v3, 29, v5
	;; [unrolled: 1-line block ×4, first 2 shown]
	v_cmp_ne_u32_e64 s12, 0, v1
	v_not_b32_e32 v1, v2
	v_cmp_gt_i32_e64 s13, 0, v2
	v_not_b32_e32 v2, v3
	v_lshlrev_b32_e32 v7, 26, v5
	v_xor_b32_e32 v0, s12, v0
	v_ashrrev_i32_e32 v1, 31, v1
	v_cmp_gt_i32_e64 s12, 0, v3
	v_not_b32_e32 v3, v4
	v_ashrrev_i32_e32 v2, 31, v2
	v_and_b32_e32 v0, exec_lo, v0
	v_xor_b32_e32 v1, s13, v1
	v_cmp_gt_i32_e64 s13, 0, v4
	v_not_b32_e32 v4, v6
	v_ashrrev_i32_e32 v3, 31, v3
	v_xor_b32_e32 v2, s12, v2
	v_and_b32_e32 v0, v0, v1
	v_lshlrev_b32_e32 v24, 25, v5
	v_cmp_gt_i32_e64 s12, 0, v6
	v_not_b32_e32 v1, v7
	v_ashrrev_i32_e32 v4, 31, v4
	v_xor_b32_e32 v3, s13, v3
	v_and_b32_e32 v0, v0, v2
	v_cmp_gt_i32_e64 s13, 0, v7
	v_not_b32_e32 v2, v24
	v_ashrrev_i32_e32 v1, 31, v1
	v_xor_b32_e32 v4, s12, v4
	v_and_b32_e32 v0, v0, v3
	v_not_b32_e32 v3, v14
	v_cmp_gt_i32_e64 s12, 0, v24
	v_ashrrev_i32_e32 v2, 31, v2
	v_xor_b32_e32 v1, s13, v1
	v_and_b32_e32 v0, v0, v4
	v_cmp_gt_i32_e64 s13, 0, v14
	v_ashrrev_i32_e32 v3, 31, v3
	v_xor_b32_e32 v2, s12, v2
	s_delay_alu instid0(VALU_DEP_4) | instskip(NEXT) | instid1(VALU_DEP_3)
	v_and_b32_e32 v0, v0, v1
	v_xor_b32_e32 v3, s13, v3
	s_delay_alu instid0(VALU_DEP_2) | instskip(SKIP_1) | instid1(VALU_DEP_2)
	v_dual_mov_b32 v1, s22 :: v_dual_and_b32 v0, v0, v2
	v_mov_b32_e32 v2, s23
	v_dual_mov_b32 v3, s16 :: v_dual_and_b32 v0, v0, v3
	v_mov_b32_e32 v4, s17
	ds_store_2addr_b64 v15, v[1:2], v[3:4] offset0:3 offset1:4
	ds_store_2addr_b64 v16, v[1:2], v[3:4] offset0:2 offset1:3
	v_mbcnt_lo_u32_b32 v24, v0, 0
	v_mad_u32_u24 v1, v5, 6, v22
	v_cmp_ne_u32_e64 s13, 0, v0
	s_waitcnt lgkmcnt(0)
	s_barrier
	v_cmp_eq_u32_e64 s12, 0, v24
	v_lshl_add_u32 v25, v1, 2, 24
	buffer_gl0_inv
	; wave barrier
	s_and_b32 s13, s13, s12
	s_delay_alu instid0(SALU_CYCLE_1)
	s_and_saveexec_b32 s12, s13
	s_cbranch_execz .LBB160_28
; %bb.27:                               ;   in Loop: Header=BB160_2 Depth=1
	v_bcnt_u32_b32 v0, v0, 0
	ds_store_b32 v25, v0
.LBB160_28:                             ;   in Loop: Header=BB160_2 Depth=1
	s_or_b32 exec_lo, exec_lo, s12
	; wave barrier
	s_waitcnt lgkmcnt(0)
	s_barrier
	buffer_gl0_inv
	ds_load_2addr_b64 v[4:7], v15 offset0:3 offset1:4
	ds_load_2addr_b64 v[0:3], v16 offset0:2 offset1:3
	s_waitcnt lgkmcnt(1)
	v_add_nc_u32_e32 v26, v5, v4
	s_delay_alu instid0(VALU_DEP_1) | instskip(SKIP_1) | instid1(VALU_DEP_1)
	v_add3_u32 v26, v26, v6, v7
	s_waitcnt lgkmcnt(0)
	v_add3_u32 v26, v26, v0, v1
	s_delay_alu instid0(VALU_DEP_1) | instskip(NEXT) | instid1(VALU_DEP_1)
	v_add3_u32 v3, v26, v2, v3
	v_mov_b32_dpp v26, v3 row_shr:1 row_mask:0xf bank_mask:0xf
	s_delay_alu instid0(VALU_DEP_1) | instskip(NEXT) | instid1(VALU_DEP_1)
	v_cndmask_b32_e64 v26, v26, 0, s0
	v_add_nc_u32_e32 v3, v26, v3
	s_delay_alu instid0(VALU_DEP_1) | instskip(NEXT) | instid1(VALU_DEP_1)
	v_mov_b32_dpp v26, v3 row_shr:2 row_mask:0xf bank_mask:0xf
	v_cndmask_b32_e64 v26, 0, v26, s1
	s_delay_alu instid0(VALU_DEP_1) | instskip(NEXT) | instid1(VALU_DEP_1)
	v_add_nc_u32_e32 v3, v3, v26
	v_mov_b32_dpp v26, v3 row_shr:4 row_mask:0xf bank_mask:0xf
	s_delay_alu instid0(VALU_DEP_1) | instskip(NEXT) | instid1(VALU_DEP_1)
	v_cndmask_b32_e64 v26, 0, v26, s2
	v_add_nc_u32_e32 v3, v3, v26
	s_delay_alu instid0(VALU_DEP_1) | instskip(NEXT) | instid1(VALU_DEP_1)
	v_mov_b32_dpp v26, v3 row_shr:8 row_mask:0xf bank_mask:0xf
	v_cndmask_b32_e64 v26, 0, v26, s3
	s_delay_alu instid0(VALU_DEP_1) | instskip(SKIP_3) | instid1(VALU_DEP_1)
	v_add_nc_u32_e32 v3, v3, v26
	ds_swizzle_b32 v26, v3 offset:swizzle(BROADCAST,32,15)
	s_waitcnt lgkmcnt(0)
	v_cndmask_b32_e64 v26, v26, 0, s4
	v_add_nc_u32_e32 v3, v3, v26
	s_and_saveexec_b32 s12, s11
	s_cbranch_execz .LBB160_30
; %bb.29:                               ;   in Loop: Header=BB160_2 Depth=1
	ds_store_b32 v17, v3
.LBB160_30:                             ;   in Loop: Header=BB160_2 Depth=1
	s_or_b32 exec_lo, exec_lo, s12
	s_waitcnt lgkmcnt(0)
	s_barrier
	buffer_gl0_inv
	s_and_saveexec_b32 s12, s5
	s_cbranch_execz .LBB160_32
; %bb.31:                               ;   in Loop: Header=BB160_2 Depth=1
	ds_load_b32 v26, v19
	s_waitcnt lgkmcnt(0)
	v_mov_b32_dpp v27, v26 row_shr:1 row_mask:0xf bank_mask:0xf
	s_delay_alu instid0(VALU_DEP_1) | instskip(NEXT) | instid1(VALU_DEP_1)
	v_cndmask_b32_e64 v27, v27, 0, s8
	v_add_nc_u32_e32 v26, v27, v26
	s_delay_alu instid0(VALU_DEP_1) | instskip(NEXT) | instid1(VALU_DEP_1)
	v_mov_b32_dpp v27, v26 row_shr:2 row_mask:0xf bank_mask:0xf
	v_cndmask_b32_e64 v27, 0, v27, s9
	s_delay_alu instid0(VALU_DEP_1) | instskip(NEXT) | instid1(VALU_DEP_1)
	v_add_nc_u32_e32 v26, v26, v27
	v_mov_b32_dpp v27, v26 row_shr:4 row_mask:0xf bank_mask:0xf
	s_delay_alu instid0(VALU_DEP_1) | instskip(NEXT) | instid1(VALU_DEP_1)
	v_cndmask_b32_e64 v27, 0, v27, s10
	v_add_nc_u32_e32 v26, v26, v27
	ds_store_b32 v19, v26
.LBB160_32:                             ;   in Loop: Header=BB160_2 Depth=1
	s_or_b32 exec_lo, exec_lo, s12
	v_mov_b32_e32 v26, 0
	s_waitcnt lgkmcnt(0)
	s_barrier
	buffer_gl0_inv
	s_and_saveexec_b32 s12, s6
	s_cbranch_execz .LBB160_34
; %bb.33:                               ;   in Loop: Header=BB160_2 Depth=1
	ds_load_b32 v26, v20
.LBB160_34:                             ;   in Loop: Header=BB160_2 Depth=1
	s_or_b32 exec_lo, exec_lo, s12
	s_waitcnt lgkmcnt(0)
	v_add_nc_u32_e32 v3, v26, v3
	ds_bpermute_b32 v3, v18, v3
	s_waitcnt lgkmcnt(0)
	v_cndmask_b32_e32 v3, v3, v26, vcc_lo
	s_delay_alu instid0(VALU_DEP_1) | instskip(NEXT) | instid1(VALU_DEP_1)
	v_cndmask_b32_e64 v3, v3, 0, s7
	v_add_nc_u32_e32 v4, v3, v4
	s_delay_alu instid0(VALU_DEP_1) | instskip(NEXT) | instid1(VALU_DEP_1)
	v_add_nc_u32_e32 v5, v4, v5
	v_add_nc_u32_e32 v6, v5, v6
	s_delay_alu instid0(VALU_DEP_1) | instskip(NEXT) | instid1(VALU_DEP_1)
	v_add_nc_u32_e32 v26, v6, v7
	;; [unrolled: 3-line block ×3, first 2 shown]
	v_add_nc_u32_e32 v1, v0, v2
	ds_store_2addr_b64 v15, v[3:4], v[5:6] offset0:3 offset1:4
	ds_store_2addr_b64 v16, v[26:27], v[0:1] offset0:2 offset1:3
	s_waitcnt lgkmcnt(0)
	s_barrier
	buffer_gl0_inv
	ds_load_b32 v0, v25
	v_lshlrev_b32_e32 v1, 3, v24
	s_waitcnt lgkmcnt(0)
	s_barrier
	buffer_gl0_inv
	v_lshl_add_u32 v0, v0, 3, v1
	ds_store_b64 v0, v[13:14]
	s_waitcnt lgkmcnt(0)
	s_barrier
	buffer_gl0_inv
	ds_load_b64 v[13:14], v21
	s_waitcnt lgkmcnt(0)
	s_barrier
	buffer_gl0_inv
	v_and_b32_e32 v0, 1, v13
	v_lshlrev_b32_e32 v1, 30, v13
	v_lshlrev_b32_e32 v2, 29, v13
	v_lshlrev_b32_e32 v3, 28, v13
	v_lshlrev_b32_e32 v5, 27, v13
	v_add_co_u32 v0, s12, v0, -1
	s_delay_alu instid0(VALU_DEP_1)
	v_cndmask_b32_e64 v4, 0, 1, s12
	v_not_b32_e32 v24, v1
	v_cmp_gt_i32_e64 s13, 0, v1
	v_not_b32_e32 v1, v2
	v_lshlrev_b32_e32 v6, 26, v13
	v_cmp_ne_u32_e64 s12, 0, v4
	v_ashrrev_i32_e32 v24, 31, v24
	v_lshlrev_b32_e32 v7, 25, v13
	v_ashrrev_i32_e32 v1, 31, v1
	v_lshlrev_b32_e32 v4, 24, v13
	v_xor_b32_e32 v0, s12, v0
	v_cmp_gt_i32_e64 s12, 0, v2
	v_not_b32_e32 v2, v3
	v_xor_b32_e32 v24, s13, v24
	v_cmp_gt_i32_e64 s13, 0, v3
	v_and_b32_e32 v0, exec_lo, v0
	v_not_b32_e32 v3, v5
	v_ashrrev_i32_e32 v2, 31, v2
	v_xor_b32_e32 v1, s12, v1
	v_cmp_gt_i32_e64 s12, 0, v5
	v_and_b32_e32 v0, v0, v24
	v_not_b32_e32 v5, v6
	v_ashrrev_i32_e32 v3, 31, v3
	v_xor_b32_e32 v2, s13, v2
	v_cmp_gt_i32_e64 s13, 0, v6
	v_and_b32_e32 v0, v0, v1
	;; [unrolled: 5-line block ×3, first 2 shown]
	v_not_b32_e32 v2, v4
	v_ashrrev_i32_e32 v1, 31, v1
	v_xor_b32_e32 v5, s13, v5
	v_cmp_gt_i32_e64 s13, 0, v4
	v_dual_mov_b32 v3, s16 :: v_dual_and_b32 v0, v0, v3
	v_ashrrev_i32_e32 v2, 31, v2
	v_xor_b32_e32 v1, s12, v1
	v_mov_b32_e32 v4, s17
	s_delay_alu instid0(VALU_DEP_4) | instskip(NEXT) | instid1(VALU_DEP_4)
	v_and_b32_e32 v0, v0, v5
	v_xor_b32_e32 v5, s13, v2
	s_delay_alu instid0(VALU_DEP_2)
	v_dual_mov_b32 v1, s22 :: v_dual_and_b32 v0, v0, v1
	v_mov_b32_e32 v2, s23
	ds_store_2addr_b64 v15, v[1:2], v[3:4] offset0:3 offset1:4
	ds_store_2addr_b64 v16, v[1:2], v[3:4] offset0:2 offset1:3
	v_and_b32_e32 v0, v0, v5
	v_and_b32_e32 v5, 0xff, v13
	s_waitcnt lgkmcnt(0)
	s_barrier
	buffer_gl0_inv
	v_mbcnt_lo_u32_b32 v24, v0, 0
	v_mad_u32_u24 v1, v5, 6, v22
	v_cmp_ne_u32_e64 s13, 0, v0
	; wave barrier
	s_delay_alu instid0(VALU_DEP_3) | instskip(NEXT) | instid1(VALU_DEP_3)
	v_cmp_eq_u32_e64 s12, 0, v24
	v_lshl_add_u32 v25, v1, 2, 24
	s_delay_alu instid0(VALU_DEP_2) | instskip(NEXT) | instid1(SALU_CYCLE_1)
	s_and_b32 s13, s13, s12
	s_and_saveexec_b32 s12, s13
	s_cbranch_execz .LBB160_36
; %bb.35:                               ;   in Loop: Header=BB160_2 Depth=1
	v_bcnt_u32_b32 v0, v0, 0
	ds_store_b32 v25, v0
.LBB160_36:                             ;   in Loop: Header=BB160_2 Depth=1
	s_or_b32 exec_lo, exec_lo, s12
	; wave barrier
	s_waitcnt lgkmcnt(0)
	s_barrier
	buffer_gl0_inv
	ds_load_2addr_b64 v[4:7], v15 offset0:3 offset1:4
	ds_load_2addr_b64 v[0:3], v16 offset0:2 offset1:3
	s_waitcnt lgkmcnt(1)
	v_add_nc_u32_e32 v26, v5, v4
	s_delay_alu instid0(VALU_DEP_1) | instskip(SKIP_1) | instid1(VALU_DEP_1)
	v_add3_u32 v26, v26, v6, v7
	s_waitcnt lgkmcnt(0)
	v_add3_u32 v26, v26, v0, v1
	s_delay_alu instid0(VALU_DEP_1) | instskip(NEXT) | instid1(VALU_DEP_1)
	v_add3_u32 v3, v26, v2, v3
	v_mov_b32_dpp v26, v3 row_shr:1 row_mask:0xf bank_mask:0xf
	s_delay_alu instid0(VALU_DEP_1) | instskip(NEXT) | instid1(VALU_DEP_1)
	v_cndmask_b32_e64 v26, v26, 0, s0
	v_add_nc_u32_e32 v3, v26, v3
	s_delay_alu instid0(VALU_DEP_1) | instskip(NEXT) | instid1(VALU_DEP_1)
	v_mov_b32_dpp v26, v3 row_shr:2 row_mask:0xf bank_mask:0xf
	v_cndmask_b32_e64 v26, 0, v26, s1
	s_delay_alu instid0(VALU_DEP_1) | instskip(NEXT) | instid1(VALU_DEP_1)
	v_add_nc_u32_e32 v3, v3, v26
	v_mov_b32_dpp v26, v3 row_shr:4 row_mask:0xf bank_mask:0xf
	s_delay_alu instid0(VALU_DEP_1) | instskip(NEXT) | instid1(VALU_DEP_1)
	v_cndmask_b32_e64 v26, 0, v26, s2
	v_add_nc_u32_e32 v3, v3, v26
	s_delay_alu instid0(VALU_DEP_1) | instskip(NEXT) | instid1(VALU_DEP_1)
	v_mov_b32_dpp v26, v3 row_shr:8 row_mask:0xf bank_mask:0xf
	v_cndmask_b32_e64 v26, 0, v26, s3
	s_delay_alu instid0(VALU_DEP_1) | instskip(SKIP_3) | instid1(VALU_DEP_1)
	v_add_nc_u32_e32 v3, v3, v26
	ds_swizzle_b32 v26, v3 offset:swizzle(BROADCAST,32,15)
	s_waitcnt lgkmcnt(0)
	v_cndmask_b32_e64 v26, v26, 0, s4
	v_add_nc_u32_e32 v3, v3, v26
	s_and_saveexec_b32 s12, s11
	s_cbranch_execz .LBB160_38
; %bb.37:                               ;   in Loop: Header=BB160_2 Depth=1
	ds_store_b32 v17, v3
.LBB160_38:                             ;   in Loop: Header=BB160_2 Depth=1
	s_or_b32 exec_lo, exec_lo, s12
	s_waitcnt lgkmcnt(0)
	s_barrier
	buffer_gl0_inv
	s_and_saveexec_b32 s12, s5
	s_cbranch_execz .LBB160_40
; %bb.39:                               ;   in Loop: Header=BB160_2 Depth=1
	ds_load_b32 v26, v19
	s_waitcnt lgkmcnt(0)
	v_mov_b32_dpp v27, v26 row_shr:1 row_mask:0xf bank_mask:0xf
	s_delay_alu instid0(VALU_DEP_1) | instskip(NEXT) | instid1(VALU_DEP_1)
	v_cndmask_b32_e64 v27, v27, 0, s8
	v_add_nc_u32_e32 v26, v27, v26
	s_delay_alu instid0(VALU_DEP_1) | instskip(NEXT) | instid1(VALU_DEP_1)
	v_mov_b32_dpp v27, v26 row_shr:2 row_mask:0xf bank_mask:0xf
	v_cndmask_b32_e64 v27, 0, v27, s9
	s_delay_alu instid0(VALU_DEP_1) | instskip(NEXT) | instid1(VALU_DEP_1)
	v_add_nc_u32_e32 v26, v26, v27
	v_mov_b32_dpp v27, v26 row_shr:4 row_mask:0xf bank_mask:0xf
	s_delay_alu instid0(VALU_DEP_1) | instskip(NEXT) | instid1(VALU_DEP_1)
	v_cndmask_b32_e64 v27, 0, v27, s10
	v_add_nc_u32_e32 v26, v26, v27
	ds_store_b32 v19, v26
.LBB160_40:                             ;   in Loop: Header=BB160_2 Depth=1
	s_or_b32 exec_lo, exec_lo, s12
	v_mov_b32_e32 v26, 0
	s_waitcnt lgkmcnt(0)
	s_barrier
	buffer_gl0_inv
	s_and_saveexec_b32 s12, s6
	s_cbranch_execz .LBB160_42
; %bb.41:                               ;   in Loop: Header=BB160_2 Depth=1
	ds_load_b32 v26, v20
.LBB160_42:                             ;   in Loop: Header=BB160_2 Depth=1
	s_or_b32 exec_lo, exec_lo, s12
	s_waitcnt lgkmcnt(0)
	v_add_nc_u32_e32 v3, v26, v3
	ds_bpermute_b32 v3, v18, v3
	s_waitcnt lgkmcnt(0)
	v_cndmask_b32_e32 v3, v3, v26, vcc_lo
	s_delay_alu instid0(VALU_DEP_1) | instskip(NEXT) | instid1(VALU_DEP_1)
	v_cndmask_b32_e64 v3, v3, 0, s7
	v_add_nc_u32_e32 v4, v3, v4
	s_delay_alu instid0(VALU_DEP_1) | instskip(NEXT) | instid1(VALU_DEP_1)
	v_add_nc_u32_e32 v5, v4, v5
	v_add_nc_u32_e32 v6, v5, v6
	s_delay_alu instid0(VALU_DEP_1) | instskip(NEXT) | instid1(VALU_DEP_1)
	v_add_nc_u32_e32 v26, v6, v7
	;; [unrolled: 3-line block ×3, first 2 shown]
	v_add_nc_u32_e32 v1, v0, v2
	ds_store_2addr_b64 v15, v[3:4], v[5:6] offset0:3 offset1:4
	ds_store_2addr_b64 v16, v[26:27], v[0:1] offset0:2 offset1:3
	s_waitcnt lgkmcnt(0)
	s_barrier
	buffer_gl0_inv
	ds_load_b32 v0, v25
	v_lshlrev_b32_e32 v1, 3, v24
	s_waitcnt lgkmcnt(0)
	s_barrier
	buffer_gl0_inv
	v_lshl_add_u32 v0, v0, 3, v1
	ds_store_b64 v0, v[13:14]
	s_waitcnt lgkmcnt(0)
	s_barrier
	buffer_gl0_inv
	ds_load_b64 v[13:14], v21
	s_waitcnt lgkmcnt(0)
	s_barrier
	buffer_gl0_inv
	v_bfe_u32 v0, v13, 8, 1
	v_lshrrev_b32_e32 v1, 8, v13
	s_delay_alu instid0(VALU_DEP_2) | instskip(NEXT) | instid1(VALU_DEP_1)
	v_add_co_u32 v0, s12, v0, -1
	v_cndmask_b32_e64 v2, 0, 1, s12
	s_delay_alu instid0(VALU_DEP_3)
	v_lshlrev_b32_e32 v3, 30, v1
	v_lshlrev_b32_e32 v4, 29, v1
	;; [unrolled: 1-line block ×4, first 2 shown]
	v_cmp_ne_u32_e64 s12, 0, v2
	v_not_b32_e32 v2, v3
	v_cmp_gt_i32_e64 s13, 0, v3
	v_not_b32_e32 v3, v4
	v_lshlrev_b32_e32 v7, 26, v1
	v_xor_b32_e32 v0, s12, v0
	v_ashrrev_i32_e32 v2, 31, v2
	v_cmp_gt_i32_e64 s12, 0, v4
	v_not_b32_e32 v4, v5
	v_ashrrev_i32_e32 v3, 31, v3
	v_and_b32_e32 v0, exec_lo, v0
	v_xor_b32_e32 v2, s13, v2
	v_cmp_gt_i32_e64 s13, 0, v5
	v_not_b32_e32 v5, v6
	v_ashrrev_i32_e32 v4, 31, v4
	v_xor_b32_e32 v3, s12, v3
	v_and_b32_e32 v0, v0, v2
	v_lshlrev_b32_e32 v24, 25, v1
	v_cmp_gt_i32_e64 s12, 0, v6
	v_not_b32_e32 v2, v7
	v_ashrrev_i32_e32 v5, 31, v5
	v_xor_b32_e32 v4, s13, v4
	v_and_b32_e32 v0, v0, v3
	v_lshlrev_b32_e32 v1, 24, v1
	v_cmp_gt_i32_e64 s13, 0, v7
	v_not_b32_e32 v3, v24
	v_ashrrev_i32_e32 v2, 31, v2
	v_xor_b32_e32 v5, s12, v5
	v_and_b32_e32 v0, v0, v4
	v_cmp_gt_i32_e64 s12, 0, v24
	v_not_b32_e32 v4, v1
	v_ashrrev_i32_e32 v3, 31, v3
	v_xor_b32_e32 v2, s13, v2
	v_and_b32_e32 v0, v0, v5
	v_cmp_gt_i32_e64 s13, 0, v1
	v_ashrrev_i32_e32 v1, 31, v4
	v_xor_b32_e32 v3, s12, v3
	s_delay_alu instid0(VALU_DEP_4) | instskip(NEXT) | instid1(VALU_DEP_3)
	v_and_b32_e32 v0, v0, v2
	v_xor_b32_e32 v5, s13, v1
	v_dual_mov_b32 v1, s22 :: v_dual_mov_b32 v2, s23
	s_delay_alu instid0(VALU_DEP_3)
	v_dual_mov_b32 v3, s16 :: v_dual_and_b32 v0, v0, v3
	v_mov_b32_e32 v4, s17
	ds_store_2addr_b64 v15, v[1:2], v[3:4] offset0:3 offset1:4
	ds_store_2addr_b64 v16, v[1:2], v[3:4] offset0:2 offset1:3
	v_and_b32_e32 v0, v0, v5
	v_bfe_u32 v5, v13, 8, 8
	s_waitcnt lgkmcnt(0)
	s_barrier
	buffer_gl0_inv
	v_mbcnt_lo_u32_b32 v24, v0, 0
	v_mad_u32_u24 v1, v5, 6, v22
	v_cmp_ne_u32_e64 s13, 0, v0
	; wave barrier
	s_delay_alu instid0(VALU_DEP_3) | instskip(NEXT) | instid1(VALU_DEP_3)
	v_cmp_eq_u32_e64 s12, 0, v24
	v_lshl_add_u32 v25, v1, 2, 24
	s_delay_alu instid0(VALU_DEP_2) | instskip(NEXT) | instid1(SALU_CYCLE_1)
	s_and_b32 s13, s13, s12
	s_and_saveexec_b32 s12, s13
	s_cbranch_execz .LBB160_44
; %bb.43:                               ;   in Loop: Header=BB160_2 Depth=1
	v_bcnt_u32_b32 v0, v0, 0
	ds_store_b32 v25, v0
.LBB160_44:                             ;   in Loop: Header=BB160_2 Depth=1
	s_or_b32 exec_lo, exec_lo, s12
	; wave barrier
	s_waitcnt lgkmcnt(0)
	s_barrier
	buffer_gl0_inv
	ds_load_2addr_b64 v[4:7], v15 offset0:3 offset1:4
	ds_load_2addr_b64 v[0:3], v16 offset0:2 offset1:3
	s_waitcnt lgkmcnt(1)
	v_add_nc_u32_e32 v26, v5, v4
	s_delay_alu instid0(VALU_DEP_1) | instskip(SKIP_1) | instid1(VALU_DEP_1)
	v_add3_u32 v26, v26, v6, v7
	s_waitcnt lgkmcnt(0)
	v_add3_u32 v26, v26, v0, v1
	s_delay_alu instid0(VALU_DEP_1) | instskip(NEXT) | instid1(VALU_DEP_1)
	v_add3_u32 v3, v26, v2, v3
	v_mov_b32_dpp v26, v3 row_shr:1 row_mask:0xf bank_mask:0xf
	s_delay_alu instid0(VALU_DEP_1) | instskip(NEXT) | instid1(VALU_DEP_1)
	v_cndmask_b32_e64 v26, v26, 0, s0
	v_add_nc_u32_e32 v3, v26, v3
	s_delay_alu instid0(VALU_DEP_1) | instskip(NEXT) | instid1(VALU_DEP_1)
	v_mov_b32_dpp v26, v3 row_shr:2 row_mask:0xf bank_mask:0xf
	v_cndmask_b32_e64 v26, 0, v26, s1
	s_delay_alu instid0(VALU_DEP_1) | instskip(NEXT) | instid1(VALU_DEP_1)
	v_add_nc_u32_e32 v3, v3, v26
	v_mov_b32_dpp v26, v3 row_shr:4 row_mask:0xf bank_mask:0xf
	s_delay_alu instid0(VALU_DEP_1) | instskip(NEXT) | instid1(VALU_DEP_1)
	v_cndmask_b32_e64 v26, 0, v26, s2
	v_add_nc_u32_e32 v3, v3, v26
	s_delay_alu instid0(VALU_DEP_1) | instskip(NEXT) | instid1(VALU_DEP_1)
	v_mov_b32_dpp v26, v3 row_shr:8 row_mask:0xf bank_mask:0xf
	v_cndmask_b32_e64 v26, 0, v26, s3
	s_delay_alu instid0(VALU_DEP_1) | instskip(SKIP_3) | instid1(VALU_DEP_1)
	v_add_nc_u32_e32 v3, v3, v26
	ds_swizzle_b32 v26, v3 offset:swizzle(BROADCAST,32,15)
	s_waitcnt lgkmcnt(0)
	v_cndmask_b32_e64 v26, v26, 0, s4
	v_add_nc_u32_e32 v3, v3, v26
	s_and_saveexec_b32 s12, s11
	s_cbranch_execz .LBB160_46
; %bb.45:                               ;   in Loop: Header=BB160_2 Depth=1
	ds_store_b32 v17, v3
.LBB160_46:                             ;   in Loop: Header=BB160_2 Depth=1
	s_or_b32 exec_lo, exec_lo, s12
	s_waitcnt lgkmcnt(0)
	s_barrier
	buffer_gl0_inv
	s_and_saveexec_b32 s12, s5
	s_cbranch_execz .LBB160_48
; %bb.47:                               ;   in Loop: Header=BB160_2 Depth=1
	ds_load_b32 v26, v19
	s_waitcnt lgkmcnt(0)
	v_mov_b32_dpp v27, v26 row_shr:1 row_mask:0xf bank_mask:0xf
	s_delay_alu instid0(VALU_DEP_1) | instskip(NEXT) | instid1(VALU_DEP_1)
	v_cndmask_b32_e64 v27, v27, 0, s8
	v_add_nc_u32_e32 v26, v27, v26
	s_delay_alu instid0(VALU_DEP_1) | instskip(NEXT) | instid1(VALU_DEP_1)
	v_mov_b32_dpp v27, v26 row_shr:2 row_mask:0xf bank_mask:0xf
	v_cndmask_b32_e64 v27, 0, v27, s9
	s_delay_alu instid0(VALU_DEP_1) | instskip(NEXT) | instid1(VALU_DEP_1)
	v_add_nc_u32_e32 v26, v26, v27
	v_mov_b32_dpp v27, v26 row_shr:4 row_mask:0xf bank_mask:0xf
	s_delay_alu instid0(VALU_DEP_1) | instskip(NEXT) | instid1(VALU_DEP_1)
	v_cndmask_b32_e64 v27, 0, v27, s10
	v_add_nc_u32_e32 v26, v26, v27
	ds_store_b32 v19, v26
.LBB160_48:                             ;   in Loop: Header=BB160_2 Depth=1
	s_or_b32 exec_lo, exec_lo, s12
	v_mov_b32_e32 v26, 0
	s_waitcnt lgkmcnt(0)
	s_barrier
	buffer_gl0_inv
	s_and_saveexec_b32 s12, s6
	s_cbranch_execz .LBB160_50
; %bb.49:                               ;   in Loop: Header=BB160_2 Depth=1
	ds_load_b32 v26, v20
.LBB160_50:                             ;   in Loop: Header=BB160_2 Depth=1
	s_or_b32 exec_lo, exec_lo, s12
	s_waitcnt lgkmcnt(0)
	v_add_nc_u32_e32 v3, v26, v3
	ds_bpermute_b32 v3, v18, v3
	s_waitcnt lgkmcnt(0)
	v_cndmask_b32_e32 v3, v3, v26, vcc_lo
	s_delay_alu instid0(VALU_DEP_1) | instskip(NEXT) | instid1(VALU_DEP_1)
	v_cndmask_b32_e64 v3, v3, 0, s7
	v_add_nc_u32_e32 v4, v3, v4
	s_delay_alu instid0(VALU_DEP_1) | instskip(NEXT) | instid1(VALU_DEP_1)
	v_add_nc_u32_e32 v5, v4, v5
	v_add_nc_u32_e32 v6, v5, v6
	s_delay_alu instid0(VALU_DEP_1) | instskip(NEXT) | instid1(VALU_DEP_1)
	v_add_nc_u32_e32 v26, v6, v7
	;; [unrolled: 3-line block ×3, first 2 shown]
	v_add_nc_u32_e32 v1, v0, v2
	ds_store_2addr_b64 v15, v[3:4], v[5:6] offset0:3 offset1:4
	ds_store_2addr_b64 v16, v[26:27], v[0:1] offset0:2 offset1:3
	s_waitcnt lgkmcnt(0)
	s_barrier
	buffer_gl0_inv
	ds_load_b32 v0, v25
	v_lshlrev_b32_e32 v1, 3, v24
	s_waitcnt lgkmcnt(0)
	s_barrier
	buffer_gl0_inv
	v_lshl_add_u32 v0, v0, 3, v1
	ds_store_b64 v0, v[13:14]
	s_waitcnt lgkmcnt(0)
	s_barrier
	buffer_gl0_inv
	ds_load_b64 v[13:14], v21
	s_waitcnt lgkmcnt(0)
	s_barrier
	buffer_gl0_inv
	v_bfe_u32 v0, v13, 16, 1
	v_lshrrev_b32_e32 v1, 16, v13
	s_delay_alu instid0(VALU_DEP_2) | instskip(NEXT) | instid1(VALU_DEP_1)
	v_add_co_u32 v0, s12, v0, -1
	v_cndmask_b32_e64 v2, 0, 1, s12
	s_delay_alu instid0(VALU_DEP_3)
	v_lshlrev_b32_e32 v3, 30, v1
	v_lshlrev_b32_e32 v4, 29, v1
	v_lshlrev_b32_e32 v5, 28, v1
	v_lshlrev_b32_e32 v6, 27, v1
	v_cmp_ne_u32_e64 s12, 0, v2
	v_not_b32_e32 v2, v3
	v_cmp_gt_i32_e64 s13, 0, v3
	v_not_b32_e32 v3, v4
	v_lshlrev_b32_e32 v7, 26, v1
	v_xor_b32_e32 v0, s12, v0
	v_ashrrev_i32_e32 v2, 31, v2
	v_cmp_gt_i32_e64 s12, 0, v4
	v_not_b32_e32 v4, v5
	v_ashrrev_i32_e32 v3, 31, v3
	v_and_b32_e32 v0, exec_lo, v0
	v_xor_b32_e32 v2, s13, v2
	v_cmp_gt_i32_e64 s13, 0, v5
	v_not_b32_e32 v5, v6
	v_ashrrev_i32_e32 v4, 31, v4
	v_xor_b32_e32 v3, s12, v3
	v_and_b32_e32 v0, v0, v2
	v_lshlrev_b32_e32 v24, 25, v1
	v_cmp_gt_i32_e64 s12, 0, v6
	v_not_b32_e32 v2, v7
	v_ashrrev_i32_e32 v5, 31, v5
	v_xor_b32_e32 v4, s13, v4
	v_and_b32_e32 v0, v0, v3
	v_lshlrev_b32_e32 v1, 24, v1
	v_cmp_gt_i32_e64 s13, 0, v7
	v_not_b32_e32 v3, v24
	v_ashrrev_i32_e32 v2, 31, v2
	v_xor_b32_e32 v5, s12, v5
	v_and_b32_e32 v0, v0, v4
	v_cmp_gt_i32_e64 s12, 0, v24
	v_not_b32_e32 v4, v1
	v_ashrrev_i32_e32 v3, 31, v3
	v_xor_b32_e32 v2, s13, v2
	v_and_b32_e32 v0, v0, v5
	v_cmp_gt_i32_e64 s13, 0, v1
	v_ashrrev_i32_e32 v1, 31, v4
	v_xor_b32_e32 v3, s12, v3
	s_delay_alu instid0(VALU_DEP_4) | instskip(NEXT) | instid1(VALU_DEP_3)
	v_and_b32_e32 v0, v0, v2
	v_xor_b32_e32 v5, s13, v1
	v_dual_mov_b32 v1, s22 :: v_dual_mov_b32 v2, s23
	s_delay_alu instid0(VALU_DEP_3)
	v_dual_mov_b32 v3, s16 :: v_dual_and_b32 v0, v0, v3
	v_mov_b32_e32 v4, s17
	ds_store_2addr_b64 v15, v[1:2], v[3:4] offset0:3 offset1:4
	ds_store_2addr_b64 v16, v[1:2], v[3:4] offset0:2 offset1:3
	v_and_b32_e32 v0, v0, v5
	v_bfe_u32 v5, v13, 16, 8
	s_waitcnt lgkmcnt(0)
	s_barrier
	buffer_gl0_inv
	v_mbcnt_lo_u32_b32 v24, v0, 0
	v_mad_u32_u24 v1, v5, 6, v22
	v_cmp_ne_u32_e64 s13, 0, v0
	; wave barrier
	s_delay_alu instid0(VALU_DEP_3) | instskip(NEXT) | instid1(VALU_DEP_3)
	v_cmp_eq_u32_e64 s12, 0, v24
	v_lshl_add_u32 v25, v1, 2, 24
	s_delay_alu instid0(VALU_DEP_2) | instskip(NEXT) | instid1(SALU_CYCLE_1)
	s_and_b32 s13, s13, s12
	s_and_saveexec_b32 s12, s13
	s_cbranch_execz .LBB160_52
; %bb.51:                               ;   in Loop: Header=BB160_2 Depth=1
	v_bcnt_u32_b32 v0, v0, 0
	ds_store_b32 v25, v0
.LBB160_52:                             ;   in Loop: Header=BB160_2 Depth=1
	s_or_b32 exec_lo, exec_lo, s12
	; wave barrier
	s_waitcnt lgkmcnt(0)
	s_barrier
	buffer_gl0_inv
	ds_load_2addr_b64 v[4:7], v15 offset0:3 offset1:4
	ds_load_2addr_b64 v[0:3], v16 offset0:2 offset1:3
	s_waitcnt lgkmcnt(1)
	v_add_nc_u32_e32 v26, v5, v4
	s_delay_alu instid0(VALU_DEP_1) | instskip(SKIP_1) | instid1(VALU_DEP_1)
	v_add3_u32 v26, v26, v6, v7
	s_waitcnt lgkmcnt(0)
	v_add3_u32 v26, v26, v0, v1
	s_delay_alu instid0(VALU_DEP_1) | instskip(NEXT) | instid1(VALU_DEP_1)
	v_add3_u32 v3, v26, v2, v3
	v_mov_b32_dpp v26, v3 row_shr:1 row_mask:0xf bank_mask:0xf
	s_delay_alu instid0(VALU_DEP_1) | instskip(NEXT) | instid1(VALU_DEP_1)
	v_cndmask_b32_e64 v26, v26, 0, s0
	v_add_nc_u32_e32 v3, v26, v3
	s_delay_alu instid0(VALU_DEP_1) | instskip(NEXT) | instid1(VALU_DEP_1)
	v_mov_b32_dpp v26, v3 row_shr:2 row_mask:0xf bank_mask:0xf
	v_cndmask_b32_e64 v26, 0, v26, s1
	s_delay_alu instid0(VALU_DEP_1) | instskip(NEXT) | instid1(VALU_DEP_1)
	v_add_nc_u32_e32 v3, v3, v26
	v_mov_b32_dpp v26, v3 row_shr:4 row_mask:0xf bank_mask:0xf
	s_delay_alu instid0(VALU_DEP_1) | instskip(NEXT) | instid1(VALU_DEP_1)
	v_cndmask_b32_e64 v26, 0, v26, s2
	v_add_nc_u32_e32 v3, v3, v26
	s_delay_alu instid0(VALU_DEP_1) | instskip(NEXT) | instid1(VALU_DEP_1)
	v_mov_b32_dpp v26, v3 row_shr:8 row_mask:0xf bank_mask:0xf
	v_cndmask_b32_e64 v26, 0, v26, s3
	s_delay_alu instid0(VALU_DEP_1) | instskip(SKIP_3) | instid1(VALU_DEP_1)
	v_add_nc_u32_e32 v3, v3, v26
	ds_swizzle_b32 v26, v3 offset:swizzle(BROADCAST,32,15)
	s_waitcnt lgkmcnt(0)
	v_cndmask_b32_e64 v26, v26, 0, s4
	v_add_nc_u32_e32 v3, v3, v26
	s_and_saveexec_b32 s12, s11
	s_cbranch_execz .LBB160_54
; %bb.53:                               ;   in Loop: Header=BB160_2 Depth=1
	ds_store_b32 v17, v3
.LBB160_54:                             ;   in Loop: Header=BB160_2 Depth=1
	s_or_b32 exec_lo, exec_lo, s12
	s_waitcnt lgkmcnt(0)
	s_barrier
	buffer_gl0_inv
	s_and_saveexec_b32 s12, s5
	s_cbranch_execz .LBB160_56
; %bb.55:                               ;   in Loop: Header=BB160_2 Depth=1
	ds_load_b32 v26, v19
	s_waitcnt lgkmcnt(0)
	v_mov_b32_dpp v27, v26 row_shr:1 row_mask:0xf bank_mask:0xf
	s_delay_alu instid0(VALU_DEP_1) | instskip(NEXT) | instid1(VALU_DEP_1)
	v_cndmask_b32_e64 v27, v27, 0, s8
	v_add_nc_u32_e32 v26, v27, v26
	s_delay_alu instid0(VALU_DEP_1) | instskip(NEXT) | instid1(VALU_DEP_1)
	v_mov_b32_dpp v27, v26 row_shr:2 row_mask:0xf bank_mask:0xf
	v_cndmask_b32_e64 v27, 0, v27, s9
	s_delay_alu instid0(VALU_DEP_1) | instskip(NEXT) | instid1(VALU_DEP_1)
	v_add_nc_u32_e32 v26, v26, v27
	v_mov_b32_dpp v27, v26 row_shr:4 row_mask:0xf bank_mask:0xf
	s_delay_alu instid0(VALU_DEP_1) | instskip(NEXT) | instid1(VALU_DEP_1)
	v_cndmask_b32_e64 v27, 0, v27, s10
	v_add_nc_u32_e32 v26, v26, v27
	ds_store_b32 v19, v26
.LBB160_56:                             ;   in Loop: Header=BB160_2 Depth=1
	s_or_b32 exec_lo, exec_lo, s12
	v_mov_b32_e32 v26, 0
	s_waitcnt lgkmcnt(0)
	s_barrier
	buffer_gl0_inv
	s_and_saveexec_b32 s12, s6
	s_cbranch_execz .LBB160_58
; %bb.57:                               ;   in Loop: Header=BB160_2 Depth=1
	ds_load_b32 v26, v20
.LBB160_58:                             ;   in Loop: Header=BB160_2 Depth=1
	s_or_b32 exec_lo, exec_lo, s12
	s_waitcnt lgkmcnt(0)
	v_add_nc_u32_e32 v3, v26, v3
	ds_bpermute_b32 v3, v18, v3
	s_waitcnt lgkmcnt(0)
	v_cndmask_b32_e32 v3, v3, v26, vcc_lo
	s_delay_alu instid0(VALU_DEP_1) | instskip(NEXT) | instid1(VALU_DEP_1)
	v_cndmask_b32_e64 v3, v3, 0, s7
	v_add_nc_u32_e32 v4, v3, v4
	s_delay_alu instid0(VALU_DEP_1) | instskip(NEXT) | instid1(VALU_DEP_1)
	v_add_nc_u32_e32 v5, v4, v5
	v_add_nc_u32_e32 v6, v5, v6
	s_delay_alu instid0(VALU_DEP_1) | instskip(NEXT) | instid1(VALU_DEP_1)
	v_add_nc_u32_e32 v26, v6, v7
	;; [unrolled: 3-line block ×3, first 2 shown]
	v_add_nc_u32_e32 v1, v0, v2
	ds_store_2addr_b64 v15, v[3:4], v[5:6] offset0:3 offset1:4
	ds_store_2addr_b64 v16, v[26:27], v[0:1] offset0:2 offset1:3
	s_waitcnt lgkmcnt(0)
	s_barrier
	buffer_gl0_inv
	ds_load_b32 v0, v25
	v_lshlrev_b32_e32 v1, 3, v24
	s_waitcnt lgkmcnt(0)
	s_barrier
	buffer_gl0_inv
	v_lshl_add_u32 v0, v0, 3, v1
	ds_store_b64 v0, v[13:14]
	s_waitcnt lgkmcnt(0)
	s_barrier
	buffer_gl0_inv
	ds_load_b64 v[13:14], v21
	s_waitcnt lgkmcnt(0)
	s_barrier
	buffer_gl0_inv
	v_bfe_u32 v0, v13, 24, 1
	v_lshrrev_b32_e32 v5, 24, v13
	s_delay_alu instid0(VALU_DEP_2) | instskip(NEXT) | instid1(VALU_DEP_1)
	v_add_co_u32 v0, s12, v0, -1
	v_cndmask_b32_e64 v1, 0, 1, s12
	s_delay_alu instid0(VALU_DEP_3)
	v_lshlrev_b32_e32 v2, 30, v5
	v_lshlrev_b32_e32 v3, 29, v5
	;; [unrolled: 1-line block ×4, first 2 shown]
	v_cmp_ne_u32_e64 s12, 0, v1
	v_not_b32_e32 v1, v2
	v_cmp_gt_i32_e64 s13, 0, v2
	v_not_b32_e32 v2, v3
	v_lshlrev_b32_e32 v7, 26, v5
	v_xor_b32_e32 v0, s12, v0
	v_ashrrev_i32_e32 v1, 31, v1
	v_cmp_gt_i32_e64 s12, 0, v3
	v_not_b32_e32 v3, v4
	v_ashrrev_i32_e32 v2, 31, v2
	v_and_b32_e32 v0, exec_lo, v0
	v_xor_b32_e32 v1, s13, v1
	v_cmp_gt_i32_e64 s13, 0, v4
	v_not_b32_e32 v4, v6
	v_ashrrev_i32_e32 v3, 31, v3
	v_xor_b32_e32 v2, s12, v2
	v_and_b32_e32 v0, v0, v1
	v_lshlrev_b32_e32 v24, 25, v5
	v_cmp_gt_i32_e64 s12, 0, v6
	v_not_b32_e32 v1, v7
	v_ashrrev_i32_e32 v4, 31, v4
	v_xor_b32_e32 v3, s13, v3
	v_and_b32_e32 v0, v0, v2
	v_cmp_gt_i32_e64 s13, 0, v7
	v_not_b32_e32 v2, v24
	v_ashrrev_i32_e32 v1, 31, v1
	v_xor_b32_e32 v4, s12, v4
	v_and_b32_e32 v0, v0, v3
	v_not_b32_e32 v3, v13
	v_cmp_gt_i32_e64 s12, 0, v24
	v_ashrrev_i32_e32 v2, 31, v2
	v_xor_b32_e32 v1, s13, v1
	v_and_b32_e32 v0, v0, v4
	v_cmp_gt_i32_e64 s13, 0, v13
	v_ashrrev_i32_e32 v3, 31, v3
	v_xor_b32_e32 v2, s12, v2
	s_delay_alu instid0(VALU_DEP_4) | instskip(NEXT) | instid1(VALU_DEP_3)
	v_and_b32_e32 v0, v0, v1
	v_xor_b32_e32 v3, s13, v3
	s_delay_alu instid0(VALU_DEP_2) | instskip(SKIP_1) | instid1(VALU_DEP_2)
	v_dual_mov_b32 v1, s22 :: v_dual_and_b32 v0, v0, v2
	v_mov_b32_e32 v2, s23
	v_dual_mov_b32 v3, s16 :: v_dual_and_b32 v0, v0, v3
	v_mov_b32_e32 v4, s17
	ds_store_2addr_b64 v15, v[1:2], v[3:4] offset0:3 offset1:4
	ds_store_2addr_b64 v16, v[1:2], v[3:4] offset0:2 offset1:3
	v_mbcnt_lo_u32_b32 v24, v0, 0
	v_mad_u32_u24 v1, v5, 6, v22
	v_cmp_ne_u32_e64 s13, 0, v0
	s_waitcnt lgkmcnt(0)
	s_barrier
	v_cmp_eq_u32_e64 s12, 0, v24
	v_lshl_add_u32 v25, v1, 2, 24
	buffer_gl0_inv
	; wave barrier
	s_and_b32 s13, s13, s12
	s_delay_alu instid0(SALU_CYCLE_1)
	s_and_saveexec_b32 s12, s13
	s_cbranch_execz .LBB160_60
; %bb.59:                               ;   in Loop: Header=BB160_2 Depth=1
	v_bcnt_u32_b32 v0, v0, 0
	ds_store_b32 v25, v0
.LBB160_60:                             ;   in Loop: Header=BB160_2 Depth=1
	s_or_b32 exec_lo, exec_lo, s12
	; wave barrier
	s_waitcnt lgkmcnt(0)
	s_barrier
	buffer_gl0_inv
	ds_load_2addr_b64 v[4:7], v15 offset0:3 offset1:4
	ds_load_2addr_b64 v[0:3], v16 offset0:2 offset1:3
	s_waitcnt lgkmcnt(1)
	v_add_nc_u32_e32 v26, v5, v4
	s_delay_alu instid0(VALU_DEP_1) | instskip(SKIP_1) | instid1(VALU_DEP_1)
	v_add3_u32 v26, v26, v6, v7
	s_waitcnt lgkmcnt(0)
	v_add3_u32 v26, v26, v0, v1
	s_delay_alu instid0(VALU_DEP_1) | instskip(NEXT) | instid1(VALU_DEP_1)
	v_add3_u32 v3, v26, v2, v3
	v_mov_b32_dpp v26, v3 row_shr:1 row_mask:0xf bank_mask:0xf
	s_delay_alu instid0(VALU_DEP_1) | instskip(NEXT) | instid1(VALU_DEP_1)
	v_cndmask_b32_e64 v26, v26, 0, s0
	v_add_nc_u32_e32 v3, v26, v3
	s_delay_alu instid0(VALU_DEP_1) | instskip(NEXT) | instid1(VALU_DEP_1)
	v_mov_b32_dpp v26, v3 row_shr:2 row_mask:0xf bank_mask:0xf
	v_cndmask_b32_e64 v26, 0, v26, s1
	s_delay_alu instid0(VALU_DEP_1) | instskip(NEXT) | instid1(VALU_DEP_1)
	v_add_nc_u32_e32 v3, v3, v26
	v_mov_b32_dpp v26, v3 row_shr:4 row_mask:0xf bank_mask:0xf
	s_delay_alu instid0(VALU_DEP_1) | instskip(NEXT) | instid1(VALU_DEP_1)
	v_cndmask_b32_e64 v26, 0, v26, s2
	v_add_nc_u32_e32 v3, v3, v26
	s_delay_alu instid0(VALU_DEP_1) | instskip(NEXT) | instid1(VALU_DEP_1)
	v_mov_b32_dpp v26, v3 row_shr:8 row_mask:0xf bank_mask:0xf
	v_cndmask_b32_e64 v26, 0, v26, s3
	s_delay_alu instid0(VALU_DEP_1) | instskip(SKIP_3) | instid1(VALU_DEP_1)
	v_add_nc_u32_e32 v3, v3, v26
	ds_swizzle_b32 v26, v3 offset:swizzle(BROADCAST,32,15)
	s_waitcnt lgkmcnt(0)
	v_cndmask_b32_e64 v26, v26, 0, s4
	v_add_nc_u32_e32 v3, v3, v26
	s_and_saveexec_b32 s12, s11
	s_cbranch_execz .LBB160_62
; %bb.61:                               ;   in Loop: Header=BB160_2 Depth=1
	ds_store_b32 v17, v3
.LBB160_62:                             ;   in Loop: Header=BB160_2 Depth=1
	s_or_b32 exec_lo, exec_lo, s12
	s_waitcnt lgkmcnt(0)
	s_barrier
	buffer_gl0_inv
	s_and_saveexec_b32 s12, s5
	s_cbranch_execz .LBB160_64
; %bb.63:                               ;   in Loop: Header=BB160_2 Depth=1
	ds_load_b32 v26, v19
	s_waitcnt lgkmcnt(0)
	v_mov_b32_dpp v27, v26 row_shr:1 row_mask:0xf bank_mask:0xf
	s_delay_alu instid0(VALU_DEP_1) | instskip(NEXT) | instid1(VALU_DEP_1)
	v_cndmask_b32_e64 v27, v27, 0, s8
	v_add_nc_u32_e32 v26, v27, v26
	s_delay_alu instid0(VALU_DEP_1) | instskip(NEXT) | instid1(VALU_DEP_1)
	v_mov_b32_dpp v27, v26 row_shr:2 row_mask:0xf bank_mask:0xf
	v_cndmask_b32_e64 v27, 0, v27, s9
	s_delay_alu instid0(VALU_DEP_1) | instskip(NEXT) | instid1(VALU_DEP_1)
	v_add_nc_u32_e32 v26, v26, v27
	v_mov_b32_dpp v27, v26 row_shr:4 row_mask:0xf bank_mask:0xf
	s_delay_alu instid0(VALU_DEP_1) | instskip(NEXT) | instid1(VALU_DEP_1)
	v_cndmask_b32_e64 v27, 0, v27, s10
	v_add_nc_u32_e32 v26, v26, v27
	ds_store_b32 v19, v26
.LBB160_64:                             ;   in Loop: Header=BB160_2 Depth=1
	s_or_b32 exec_lo, exec_lo, s12
	v_mov_b32_e32 v26, 0
	s_waitcnt lgkmcnt(0)
	s_barrier
	buffer_gl0_inv
	s_and_saveexec_b32 s12, s6
	s_cbranch_execz .LBB160_1
; %bb.65:                               ;   in Loop: Header=BB160_2 Depth=1
	ds_load_b32 v26, v20
	s_branch .LBB160_1
.LBB160_66:
	s_waitcnt lgkmcnt(0)
	v_xor_b32_e32 v1, 0x80000000, v14
	v_xor_b32_e32 v0, 0x80000000, v13
	v_lshlrev_b32_e32 v2, 3, v8
	s_add_u32 s0, s18, s20
	s_addc_u32 s1, s19, s21
	global_store_b64 v2, v[0:1], s[0:1]
	s_nop 0
	s_sendmsg sendmsg(MSG_DEALLOC_VGPRS)
	s_endpgm
	.section	.rodata,"a",@progbits
	.p2align	6, 0x0
	.amdhsa_kernel _Z16sort_keys_kernelI22helper_blocked_blockedN15benchmark_utils11custom_typeIiiEELj192ELj1ELj10EEvPKT0_PS4_
		.amdhsa_group_segment_fixed_size 6176
		.amdhsa_private_segment_fixed_size 0
		.amdhsa_kernarg_size 272
		.amdhsa_user_sgpr_count 15
		.amdhsa_user_sgpr_dispatch_ptr 0
		.amdhsa_user_sgpr_queue_ptr 0
		.amdhsa_user_sgpr_kernarg_segment_ptr 1
		.amdhsa_user_sgpr_dispatch_id 0
		.amdhsa_user_sgpr_private_segment_size 0
		.amdhsa_wavefront_size32 1
		.amdhsa_uses_dynamic_stack 0
		.amdhsa_enable_private_segment 0
		.amdhsa_system_sgpr_workgroup_id_x 1
		.amdhsa_system_sgpr_workgroup_id_y 0
		.amdhsa_system_sgpr_workgroup_id_z 0
		.amdhsa_system_sgpr_workgroup_info 0
		.amdhsa_system_vgpr_workitem_id 2
		.amdhsa_next_free_vgpr 28
		.amdhsa_next_free_sgpr 24
		.amdhsa_reserve_vcc 1
		.amdhsa_float_round_mode_32 0
		.amdhsa_float_round_mode_16_64 0
		.amdhsa_float_denorm_mode_32 3
		.amdhsa_float_denorm_mode_16_64 3
		.amdhsa_dx10_clamp 1
		.amdhsa_ieee_mode 1
		.amdhsa_fp16_overflow 0
		.amdhsa_workgroup_processor_mode 1
		.amdhsa_memory_ordered 1
		.amdhsa_forward_progress 0
		.amdhsa_shared_vgpr_count 0
		.amdhsa_exception_fp_ieee_invalid_op 0
		.amdhsa_exception_fp_denorm_src 0
		.amdhsa_exception_fp_ieee_div_zero 0
		.amdhsa_exception_fp_ieee_overflow 0
		.amdhsa_exception_fp_ieee_underflow 0
		.amdhsa_exception_fp_ieee_inexact 0
		.amdhsa_exception_int_div_zero 0
	.end_amdhsa_kernel
	.section	.text._Z16sort_keys_kernelI22helper_blocked_blockedN15benchmark_utils11custom_typeIiiEELj192ELj1ELj10EEvPKT0_PS4_,"axG",@progbits,_Z16sort_keys_kernelI22helper_blocked_blockedN15benchmark_utils11custom_typeIiiEELj192ELj1ELj10EEvPKT0_PS4_,comdat
.Lfunc_end160:
	.size	_Z16sort_keys_kernelI22helper_blocked_blockedN15benchmark_utils11custom_typeIiiEELj192ELj1ELj10EEvPKT0_PS4_, .Lfunc_end160-_Z16sort_keys_kernelI22helper_blocked_blockedN15benchmark_utils11custom_typeIiiEELj192ELj1ELj10EEvPKT0_PS4_
                                        ; -- End function
	.section	.AMDGPU.csdata,"",@progbits
; Kernel info:
; codeLenInByte = 8152
; NumSgprs: 26
; NumVgprs: 28
; ScratchSize: 0
; MemoryBound: 0
; FloatMode: 240
; IeeeMode: 1
; LDSByteSize: 6176 bytes/workgroup (compile time only)
; SGPRBlocks: 3
; VGPRBlocks: 3
; NumSGPRsForWavesPerEU: 26
; NumVGPRsForWavesPerEU: 28
; Occupancy: 15
; WaveLimiterHint : 0
; COMPUTE_PGM_RSRC2:SCRATCH_EN: 0
; COMPUTE_PGM_RSRC2:USER_SGPR: 15
; COMPUTE_PGM_RSRC2:TRAP_HANDLER: 0
; COMPUTE_PGM_RSRC2:TGID_X_EN: 1
; COMPUTE_PGM_RSRC2:TGID_Y_EN: 0
; COMPUTE_PGM_RSRC2:TGID_Z_EN: 0
; COMPUTE_PGM_RSRC2:TIDIG_COMP_CNT: 2
	.section	.text._Z17sort_pairs_kernelI22helper_blocked_blockedN15benchmark_utils11custom_typeIiiEELj192ELj1ELj10EEvPKT0_PS4_,"axG",@progbits,_Z17sort_pairs_kernelI22helper_blocked_blockedN15benchmark_utils11custom_typeIiiEELj192ELj1ELj10EEvPKT0_PS4_,comdat
	.protected	_Z17sort_pairs_kernelI22helper_blocked_blockedN15benchmark_utils11custom_typeIiiEELj192ELj1ELj10EEvPKT0_PS4_ ; -- Begin function _Z17sort_pairs_kernelI22helper_blocked_blockedN15benchmark_utils11custom_typeIiiEELj192ELj1ELj10EEvPKT0_PS4_
	.globl	_Z17sort_pairs_kernelI22helper_blocked_blockedN15benchmark_utils11custom_typeIiiEELj192ELj1ELj10EEvPKT0_PS4_
	.p2align	8
	.type	_Z17sort_pairs_kernelI22helper_blocked_blockedN15benchmark_utils11custom_typeIiiEELj192ELj1ELj10EEvPKT0_PS4_,@function
_Z17sort_pairs_kernelI22helper_blocked_blockedN15benchmark_utils11custom_typeIiiEELj192ELj1ELj10EEvPKT0_PS4_: ; @_Z17sort_pairs_kernelI22helper_blocked_blockedN15benchmark_utils11custom_typeIiiEELj192ELj1ELj10EEvPKT0_PS4_
; %bb.0:
	s_clause 0x1
	s_load_b128 s[16:19], s[0:1], 0x0
	s_load_b32 s11, s[0:1], 0x1c
	s_mov_b32 s23, 0
	s_mul_i32 s22, s15, 0xc0
	v_mbcnt_lo_u32_b32 v5, -1, 0
	s_lshl_b64 s[20:21], s[22:23], 3
	s_mov_b32 s22, s23
	v_bfe_u32 v3, v0, 10, 10
	s_delay_alu instid0(VALU_DEP_2) | instskip(SKIP_3) | instid1(VALU_DEP_4)
	v_dual_mov_b32 v11, s22 :: v_dual_and_b32 v6, 16, v5
	v_and_b32_e32 v4, 15, v5
	v_dual_mov_b32 v12, s23 :: v_dual_add_nc_u32 v7, -1, v5
	v_and_b32_e32 v13, 7, v5
	v_cmp_eq_u32_e64 s4, 0, v6
	s_delay_alu instid0(VALU_DEP_4)
	v_cmp_lt_u32_e64 s2, 3, v4
	v_cmp_lt_u32_e64 s3, 7, v4
	v_cmp_gt_i32_e64 s7, 0, v7
	v_cmp_eq_u32_e64 s8, 0, v13
	v_cmp_lt_u32_e64 s9, 1, v13
	s_waitcnt lgkmcnt(0)
	s_add_u32 s0, s16, s20
	s_addc_u32 s1, s17, s21
	s_mov_b32 s16, s23
	s_mov_b32 s17, s23
	v_dual_mov_b32 v9, s16 :: v_dual_and_b32 v8, 0x3ff, v0
	v_mov_b32_e32 v10, s17
	v_bfe_u32 v0, v0, 20, 10
	s_lshr_b32 s12, s11, 16
	s_delay_alu instid0(VALU_DEP_3)
	v_lshlrev_b32_e32 v1, 3, v8
	v_and_b32_e32 v6, 0xe0, v8
	v_lshlrev_b32_e32 v19, 5, v8
	v_mad_u32_u24 v0, v0, s12, v3
	v_cmp_lt_u32_e64 s10, 3, v13
	global_load_b64 v[1:2], v1, s[0:1]
	v_cmp_eq_u32_e64 s0, 0, v4
	v_cmp_lt_u32_e64 s1, 1, v4
	v_lshrrev_b32_e32 v4, 3, v8
	v_min_u32_e32 v13, 0xa0, v6
	s_and_b32 s11, s11, 0xffff
	v_cndmask_b32_e64 v7, v7, v5, s7
	v_lshlrev_b32_e32 v17, 2, v8
	v_and_b32_e32 v21, 28, v4
	v_mad_u64_u32 v[3:4], null, v0, s11, v[8:9]
	v_or_b32_e32 v0, v5, v6
	v_or_b32_e32 v4, 31, v13
	v_mad_i32_i24 v23, 0xffffffe4, v8, v19
	v_cmp_eq_u32_e32 vcc_lo, 0, v5
	v_cmp_gt_u32_e64 s5, 6, v8
	v_cmp_lt_u32_e64 s6, 31, v8
	v_cmp_eq_u32_e64 s7, 0, v8
	v_or_b32_e32 v20, 24, v19
	v_lshlrev_b32_e32 v22, 2, v7
	v_add_nc_u32_e32 v24, -4, v21
	v_lshlrev_b32_e32 v25, 3, v0
	v_cmp_eq_u32_e64 s11, v4, v8
	v_lshrrev_b32_e32 v26, 5, v3
	v_add_nc_u32_e32 v27, v23, v17
	s_mov_b32 s15, 10
	s_waitcnt vmcnt(0)
	v_add_nc_u32_e32 v13, 1, v1
	v_add_nc_u32_e32 v14, 1, v2
	v_xor_b32_e32 v15, 0x80000000, v1
	v_xor_b32_e32 v16, 0x80000000, v2
	s_branch .LBB161_2
.LBB161_1:                              ;   in Loop: Header=BB161_2 Depth=1
	s_or_b32 exec_lo, exec_lo, s12
	s_waitcnt lgkmcnt(0)
	v_add_nc_u32_e32 v3, v28, v3
	s_add_i32 s15, s15, -1
	s_delay_alu instid0(SALU_CYCLE_1) | instskip(SKIP_3) | instid1(VALU_DEP_1)
	s_cmp_lg_u32 s15, 0
	ds_bpermute_b32 v3, v22, v3
	s_waitcnt lgkmcnt(0)
	v_cndmask_b32_e32 v3, v3, v28, vcc_lo
	v_cndmask_b32_e64 v3, v3, 0, s7
	s_delay_alu instid0(VALU_DEP_1) | instskip(NEXT) | instid1(VALU_DEP_1)
	v_add_nc_u32_e32 v4, v3, v4
	v_add_nc_u32_e32 v5, v4, v5
	s_delay_alu instid0(VALU_DEP_1) | instskip(NEXT) | instid1(VALU_DEP_1)
	v_add_nc_u32_e32 v6, v5, v6
	v_add_nc_u32_e32 v28, v6, v7
	;; [unrolled: 3-line block ×3, first 2 shown]
	s_delay_alu instid0(VALU_DEP_1)
	v_add_nc_u32_e32 v1, v0, v2
	ds_store_2addr_b64 v19, v[3:4], v[5:6] offset0:3 offset1:4
	ds_store_2addr_b64 v20, v[28:29], v[0:1] offset0:2 offset1:3
	s_waitcnt lgkmcnt(0)
	s_barrier
	buffer_gl0_inv
	ds_load_b32 v0, v16
	v_lshlrev_b32_e32 v1, 3, v15
	s_waitcnt lgkmcnt(0)
	s_barrier
	buffer_gl0_inv
	v_lshl_add_u32 v0, v0, 3, v1
	ds_store_b64 v0, v[13:14]
	s_waitcnt lgkmcnt(0)
	s_barrier
	buffer_gl0_inv
	ds_load_b64 v[15:16], v27
	s_waitcnt lgkmcnt(0)
	s_barrier
	buffer_gl0_inv
	ds_store_b64 v0, v[17:18]
	s_waitcnt lgkmcnt(0)
	s_barrier
	buffer_gl0_inv
	ds_load_b64 v[13:14], v27
	s_cbranch_scc0 .LBB161_66
.LBB161_2:                              ; =>This Inner Loop Header: Depth=1
	s_delay_alu instid0(VALU_DEP_1)
	v_and_b32_e32 v0, 1, v16
	v_lshlrev_b32_e32 v1, 30, v16
	v_lshlrev_b32_e32 v2, 29, v16
	;; [unrolled: 1-line block ×4, first 2 shown]
	v_add_co_u32 v0, s12, v0, -1
	s_delay_alu instid0(VALU_DEP_1)
	v_cndmask_b32_e64 v3, 0, 1, s12
	v_not_b32_e32 v7, v1
	v_cmp_gt_i32_e64 s13, 0, v1
	v_not_b32_e32 v1, v2
	v_lshlrev_b32_e32 v6, 26, v16
	v_cmp_ne_u32_e64 s12, 0, v3
	v_ashrrev_i32_e32 v7, 31, v7
	v_lshlrev_b32_e32 v3, 25, v16
	v_ashrrev_i32_e32 v1, 31, v1
	v_cmp_gt_i32_e64 s14, 0, v5
	v_xor_b32_e32 v0, s12, v0
	v_cmp_gt_i32_e64 s12, 0, v2
	v_not_b32_e32 v2, v4
	v_xor_b32_e32 v7, s13, v7
	v_cmp_gt_i32_e64 s13, 0, v4
	v_and_b32_e32 v0, exec_lo, v0
	v_xor_b32_e32 v1, s12, v1
	v_ashrrev_i32_e32 v2, 31, v2
	v_not_b32_e32 v4, v5
	v_not_b32_e32 v5, v6
	v_and_b32_e32 v0, v0, v7
	v_cmp_gt_i32_e64 s12, 0, v6
	v_xor_b32_e32 v2, s13, v2
	v_not_b32_e32 v6, v3
	ds_store_2addr_b64 v19, v[11:12], v[9:10] offset0:3 offset1:4
	ds_store_2addr_b64 v20, v[11:12], v[9:10] offset0:2 offset1:3
	v_and_b32_e32 v0, v0, v1
	v_ashrrev_i32_e32 v1, 31, v4
	v_ashrrev_i32_e32 v4, 31, v5
	v_lshlrev_b32_e32 v5, 24, v16
	s_waitcnt lgkmcnt(0)
	v_and_b32_e32 v0, v0, v2
	v_xor_b32_e32 v1, s14, v1
	v_xor_b32_e32 v2, s12, v4
	v_cmp_gt_i32_e64 s12, 0, v3
	v_not_b32_e32 v3, v5
	v_ashrrev_i32_e32 v4, 31, v6
	v_and_b32_e32 v0, v0, v1
	v_cmp_gt_i32_e64 s13, 0, v5
	s_barrier
	v_ashrrev_i32_e32 v1, 31, v3
	v_xor_b32_e32 v3, s12, v4
	v_and_b32_e32 v0, v0, v2
	buffer_gl0_inv
	v_xor_b32_e32 v1, s13, v1
	; wave barrier
	v_and_b32_e32 v0, v0, v3
	s_delay_alu instid0(VALU_DEP_1) | instskip(SKIP_1) | instid1(VALU_DEP_2)
	v_and_b32_e32 v0, v0, v1
	v_and_b32_e32 v1, 0xff, v16
	v_mbcnt_lo_u32_b32 v17, v0, 0
	s_delay_alu instid0(VALU_DEP_2) | instskip(SKIP_1) | instid1(VALU_DEP_3)
	v_mad_u32_u24 v1, v1, 6, v26
	v_cmp_ne_u32_e64 s13, 0, v0
	v_cmp_eq_u32_e64 s12, 0, v17
	s_delay_alu instid0(VALU_DEP_3) | instskip(NEXT) | instid1(VALU_DEP_2)
	v_lshl_add_u32 v18, v1, 2, 24
	s_and_b32 s13, s13, s12
	s_delay_alu instid0(SALU_CYCLE_1)
	s_and_saveexec_b32 s12, s13
	s_cbranch_execz .LBB161_4
; %bb.3:                                ;   in Loop: Header=BB161_2 Depth=1
	v_bcnt_u32_b32 v0, v0, 0
	ds_store_b32 v18, v0
.LBB161_4:                              ;   in Loop: Header=BB161_2 Depth=1
	s_or_b32 exec_lo, exec_lo, s12
	; wave barrier
	s_waitcnt lgkmcnt(0)
	s_barrier
	buffer_gl0_inv
	ds_load_2addr_b64 v[4:7], v19 offset0:3 offset1:4
	ds_load_2addr_b64 v[0:3], v20 offset0:2 offset1:3
	s_waitcnt lgkmcnt(1)
	v_add_nc_u32_e32 v28, v5, v4
	s_delay_alu instid0(VALU_DEP_1) | instskip(SKIP_1) | instid1(VALU_DEP_1)
	v_add3_u32 v28, v28, v6, v7
	s_waitcnt lgkmcnt(0)
	v_add3_u32 v28, v28, v0, v1
	s_delay_alu instid0(VALU_DEP_1) | instskip(NEXT) | instid1(VALU_DEP_1)
	v_add3_u32 v3, v28, v2, v3
	v_mov_b32_dpp v28, v3 row_shr:1 row_mask:0xf bank_mask:0xf
	s_delay_alu instid0(VALU_DEP_1) | instskip(NEXT) | instid1(VALU_DEP_1)
	v_cndmask_b32_e64 v28, v28, 0, s0
	v_add_nc_u32_e32 v3, v28, v3
	s_delay_alu instid0(VALU_DEP_1) | instskip(NEXT) | instid1(VALU_DEP_1)
	v_mov_b32_dpp v28, v3 row_shr:2 row_mask:0xf bank_mask:0xf
	v_cndmask_b32_e64 v28, 0, v28, s1
	s_delay_alu instid0(VALU_DEP_1) | instskip(NEXT) | instid1(VALU_DEP_1)
	v_add_nc_u32_e32 v3, v3, v28
	v_mov_b32_dpp v28, v3 row_shr:4 row_mask:0xf bank_mask:0xf
	s_delay_alu instid0(VALU_DEP_1) | instskip(NEXT) | instid1(VALU_DEP_1)
	v_cndmask_b32_e64 v28, 0, v28, s2
	v_add_nc_u32_e32 v3, v3, v28
	s_delay_alu instid0(VALU_DEP_1) | instskip(NEXT) | instid1(VALU_DEP_1)
	v_mov_b32_dpp v28, v3 row_shr:8 row_mask:0xf bank_mask:0xf
	v_cndmask_b32_e64 v28, 0, v28, s3
	s_delay_alu instid0(VALU_DEP_1) | instskip(SKIP_3) | instid1(VALU_DEP_1)
	v_add_nc_u32_e32 v3, v3, v28
	ds_swizzle_b32 v28, v3 offset:swizzle(BROADCAST,32,15)
	s_waitcnt lgkmcnt(0)
	v_cndmask_b32_e64 v28, v28, 0, s4
	v_add_nc_u32_e32 v3, v3, v28
	s_and_saveexec_b32 s12, s11
	s_cbranch_execz .LBB161_6
; %bb.5:                                ;   in Loop: Header=BB161_2 Depth=1
	ds_store_b32 v21, v3
.LBB161_6:                              ;   in Loop: Header=BB161_2 Depth=1
	s_or_b32 exec_lo, exec_lo, s12
	s_waitcnt lgkmcnt(0)
	s_barrier
	buffer_gl0_inv
	s_and_saveexec_b32 s12, s5
	s_cbranch_execz .LBB161_8
; %bb.7:                                ;   in Loop: Header=BB161_2 Depth=1
	ds_load_b32 v28, v23
	s_waitcnt lgkmcnt(0)
	v_mov_b32_dpp v29, v28 row_shr:1 row_mask:0xf bank_mask:0xf
	s_delay_alu instid0(VALU_DEP_1) | instskip(NEXT) | instid1(VALU_DEP_1)
	v_cndmask_b32_e64 v29, v29, 0, s8
	v_add_nc_u32_e32 v28, v29, v28
	s_delay_alu instid0(VALU_DEP_1) | instskip(NEXT) | instid1(VALU_DEP_1)
	v_mov_b32_dpp v29, v28 row_shr:2 row_mask:0xf bank_mask:0xf
	v_cndmask_b32_e64 v29, 0, v29, s9
	s_delay_alu instid0(VALU_DEP_1) | instskip(NEXT) | instid1(VALU_DEP_1)
	v_add_nc_u32_e32 v28, v28, v29
	v_mov_b32_dpp v29, v28 row_shr:4 row_mask:0xf bank_mask:0xf
	s_delay_alu instid0(VALU_DEP_1) | instskip(NEXT) | instid1(VALU_DEP_1)
	v_cndmask_b32_e64 v29, 0, v29, s10
	v_add_nc_u32_e32 v28, v28, v29
	ds_store_b32 v23, v28
.LBB161_8:                              ;   in Loop: Header=BB161_2 Depth=1
	s_or_b32 exec_lo, exec_lo, s12
	v_mov_b32_e32 v28, 0
	s_waitcnt lgkmcnt(0)
	s_barrier
	buffer_gl0_inv
	s_and_saveexec_b32 s12, s6
	s_cbranch_execz .LBB161_10
; %bb.9:                                ;   in Loop: Header=BB161_2 Depth=1
	ds_load_b32 v28, v24
.LBB161_10:                             ;   in Loop: Header=BB161_2 Depth=1
	s_or_b32 exec_lo, exec_lo, s12
	s_waitcnt lgkmcnt(0)
	v_add_nc_u32_e32 v3, v28, v3
	ds_bpermute_b32 v3, v22, v3
	s_waitcnt lgkmcnt(0)
	v_cndmask_b32_e32 v3, v3, v28, vcc_lo
	s_delay_alu instid0(VALU_DEP_1) | instskip(NEXT) | instid1(VALU_DEP_1)
	v_cndmask_b32_e64 v3, v3, 0, s7
	v_add_nc_u32_e32 v4, v3, v4
	s_delay_alu instid0(VALU_DEP_1) | instskip(NEXT) | instid1(VALU_DEP_1)
	v_add_nc_u32_e32 v5, v4, v5
	v_add_nc_u32_e32 v6, v5, v6
	s_delay_alu instid0(VALU_DEP_1) | instskip(NEXT) | instid1(VALU_DEP_1)
	v_add_nc_u32_e32 v28, v6, v7
	;; [unrolled: 3-line block ×3, first 2 shown]
	v_add_nc_u32_e32 v1, v0, v2
	ds_store_2addr_b64 v19, v[3:4], v[5:6] offset0:3 offset1:4
	ds_store_2addr_b64 v20, v[28:29], v[0:1] offset0:2 offset1:3
	s_waitcnt lgkmcnt(0)
	s_barrier
	buffer_gl0_inv
	ds_load_b32 v0, v18
	v_lshlrev_b32_e32 v1, 3, v17
	s_waitcnt lgkmcnt(0)
	s_barrier
	buffer_gl0_inv
	v_lshl_add_u32 v0, v0, 3, v1
	ds_store_b64 v0, v[15:16]
	s_waitcnt lgkmcnt(0)
	s_barrier
	buffer_gl0_inv
	ds_load_b64 v[17:18], v25
	s_waitcnt lgkmcnt(0)
	s_barrier
	buffer_gl0_inv
	ds_store_b64 v0, v[13:14]
	s_waitcnt lgkmcnt(0)
	s_barrier
	buffer_gl0_inv
	v_bfe_u32 v1, v18, 8, 1
	v_lshrrev_b32_e32 v2, 8, v18
	s_delay_alu instid0(VALU_DEP_2) | instskip(NEXT) | instid1(VALU_DEP_1)
	v_add_co_u32 v1, s12, v1, -1
	v_cndmask_b32_e64 v3, 0, 1, s12
	s_delay_alu instid0(VALU_DEP_3)
	v_lshlrev_b32_e32 v4, 30, v2
	v_lshlrev_b32_e32 v5, 29, v2
	;; [unrolled: 1-line block ×4, first 2 shown]
	v_cmp_ne_u32_e64 s12, 0, v3
	v_not_b32_e32 v3, v4
	v_cmp_gt_i32_e64 s13, 0, v4
	v_not_b32_e32 v4, v5
	v_lshlrev_b32_e32 v15, 26, v2
	v_xor_b32_e32 v1, s12, v1
	v_ashrrev_i32_e32 v3, 31, v3
	v_cmp_gt_i32_e64 s12, 0, v5
	v_not_b32_e32 v5, v6
	v_ashrrev_i32_e32 v4, 31, v4
	v_and_b32_e32 v1, exec_lo, v1
	v_xor_b32_e32 v3, s13, v3
	v_cmp_gt_i32_e64 s13, 0, v6
	v_not_b32_e32 v6, v7
	v_ashrrev_i32_e32 v5, 31, v5
	v_xor_b32_e32 v4, s12, v4
	v_and_b32_e32 v1, v1, v3
	v_lshlrev_b32_e32 v16, 25, v2
	v_cmp_gt_i32_e64 s12, 0, v7
	v_not_b32_e32 v3, v15
	v_ashrrev_i32_e32 v6, 31, v6
	v_xor_b32_e32 v5, s13, v5
	v_and_b32_e32 v1, v1, v4
	v_lshlrev_b32_e32 v2, 24, v2
	v_cmp_gt_i32_e64 s13, 0, v15
	v_not_b32_e32 v4, v16
	v_ashrrev_i32_e32 v3, 31, v3
	v_xor_b32_e32 v6, s12, v6
	v_and_b32_e32 v1, v1, v5
	v_cmp_gt_i32_e64 s12, 0, v16
	v_not_b32_e32 v5, v2
	v_ashrrev_i32_e32 v4, 31, v4
	v_xor_b32_e32 v3, s13, v3
	v_and_b32_e32 v1, v1, v6
	v_cmp_gt_i32_e64 s13, 0, v2
	v_ashrrev_i32_e32 v2, 31, v5
	v_xor_b32_e32 v4, s12, v4
	ds_load_b64 v[15:16], v25
	v_and_b32_e32 v1, v1, v3
	s_waitcnt lgkmcnt(0)
	v_xor_b32_e32 v0, s13, v2
	s_barrier
	buffer_gl0_inv
	v_and_b32_e32 v1, v1, v4
	ds_store_2addr_b64 v19, v[11:12], v[9:10] offset0:3 offset1:4
	ds_store_2addr_b64 v20, v[11:12], v[9:10] offset0:2 offset1:3
	s_waitcnt lgkmcnt(0)
	s_barrier
	buffer_gl0_inv
	v_and_b32_e32 v0, v1, v0
	v_bfe_u32 v1, v18, 8, 8
	; wave barrier
	s_delay_alu instid0(VALU_DEP_2) | instskip(NEXT) | instid1(VALU_DEP_2)
	v_mbcnt_lo_u32_b32 v13, v0, 0
	v_mad_u32_u24 v1, v1, 6, v26
	v_cmp_ne_u32_e64 s13, 0, v0
	s_delay_alu instid0(VALU_DEP_3) | instskip(NEXT) | instid1(VALU_DEP_3)
	v_cmp_eq_u32_e64 s12, 0, v13
	v_lshl_add_u32 v14, v1, 2, 24
	s_delay_alu instid0(VALU_DEP_2) | instskip(NEXT) | instid1(SALU_CYCLE_1)
	s_and_b32 s13, s13, s12
	s_and_saveexec_b32 s12, s13
	s_cbranch_execz .LBB161_12
; %bb.11:                               ;   in Loop: Header=BB161_2 Depth=1
	v_bcnt_u32_b32 v0, v0, 0
	ds_store_b32 v14, v0
.LBB161_12:                             ;   in Loop: Header=BB161_2 Depth=1
	s_or_b32 exec_lo, exec_lo, s12
	; wave barrier
	s_waitcnt lgkmcnt(0)
	s_barrier
	buffer_gl0_inv
	ds_load_2addr_b64 v[4:7], v19 offset0:3 offset1:4
	ds_load_2addr_b64 v[0:3], v20 offset0:2 offset1:3
	s_waitcnt lgkmcnt(1)
	v_add_nc_u32_e32 v28, v5, v4
	s_delay_alu instid0(VALU_DEP_1) | instskip(SKIP_1) | instid1(VALU_DEP_1)
	v_add3_u32 v28, v28, v6, v7
	s_waitcnt lgkmcnt(0)
	v_add3_u32 v28, v28, v0, v1
	s_delay_alu instid0(VALU_DEP_1) | instskip(NEXT) | instid1(VALU_DEP_1)
	v_add3_u32 v3, v28, v2, v3
	v_mov_b32_dpp v28, v3 row_shr:1 row_mask:0xf bank_mask:0xf
	s_delay_alu instid0(VALU_DEP_1) | instskip(NEXT) | instid1(VALU_DEP_1)
	v_cndmask_b32_e64 v28, v28, 0, s0
	v_add_nc_u32_e32 v3, v28, v3
	s_delay_alu instid0(VALU_DEP_1) | instskip(NEXT) | instid1(VALU_DEP_1)
	v_mov_b32_dpp v28, v3 row_shr:2 row_mask:0xf bank_mask:0xf
	v_cndmask_b32_e64 v28, 0, v28, s1
	s_delay_alu instid0(VALU_DEP_1) | instskip(NEXT) | instid1(VALU_DEP_1)
	v_add_nc_u32_e32 v3, v3, v28
	v_mov_b32_dpp v28, v3 row_shr:4 row_mask:0xf bank_mask:0xf
	s_delay_alu instid0(VALU_DEP_1) | instskip(NEXT) | instid1(VALU_DEP_1)
	v_cndmask_b32_e64 v28, 0, v28, s2
	v_add_nc_u32_e32 v3, v3, v28
	s_delay_alu instid0(VALU_DEP_1) | instskip(NEXT) | instid1(VALU_DEP_1)
	v_mov_b32_dpp v28, v3 row_shr:8 row_mask:0xf bank_mask:0xf
	v_cndmask_b32_e64 v28, 0, v28, s3
	s_delay_alu instid0(VALU_DEP_1) | instskip(SKIP_3) | instid1(VALU_DEP_1)
	v_add_nc_u32_e32 v3, v3, v28
	ds_swizzle_b32 v28, v3 offset:swizzle(BROADCAST,32,15)
	s_waitcnt lgkmcnt(0)
	v_cndmask_b32_e64 v28, v28, 0, s4
	v_add_nc_u32_e32 v3, v3, v28
	s_and_saveexec_b32 s12, s11
	s_cbranch_execz .LBB161_14
; %bb.13:                               ;   in Loop: Header=BB161_2 Depth=1
	ds_store_b32 v21, v3
.LBB161_14:                             ;   in Loop: Header=BB161_2 Depth=1
	s_or_b32 exec_lo, exec_lo, s12
	s_waitcnt lgkmcnt(0)
	s_barrier
	buffer_gl0_inv
	s_and_saveexec_b32 s12, s5
	s_cbranch_execz .LBB161_16
; %bb.15:                               ;   in Loop: Header=BB161_2 Depth=1
	ds_load_b32 v28, v23
	s_waitcnt lgkmcnt(0)
	v_mov_b32_dpp v29, v28 row_shr:1 row_mask:0xf bank_mask:0xf
	s_delay_alu instid0(VALU_DEP_1) | instskip(NEXT) | instid1(VALU_DEP_1)
	v_cndmask_b32_e64 v29, v29, 0, s8
	v_add_nc_u32_e32 v28, v29, v28
	s_delay_alu instid0(VALU_DEP_1) | instskip(NEXT) | instid1(VALU_DEP_1)
	v_mov_b32_dpp v29, v28 row_shr:2 row_mask:0xf bank_mask:0xf
	v_cndmask_b32_e64 v29, 0, v29, s9
	s_delay_alu instid0(VALU_DEP_1) | instskip(NEXT) | instid1(VALU_DEP_1)
	v_add_nc_u32_e32 v28, v28, v29
	v_mov_b32_dpp v29, v28 row_shr:4 row_mask:0xf bank_mask:0xf
	s_delay_alu instid0(VALU_DEP_1) | instskip(NEXT) | instid1(VALU_DEP_1)
	v_cndmask_b32_e64 v29, 0, v29, s10
	v_add_nc_u32_e32 v28, v28, v29
	ds_store_b32 v23, v28
.LBB161_16:                             ;   in Loop: Header=BB161_2 Depth=1
	s_or_b32 exec_lo, exec_lo, s12
	v_mov_b32_e32 v28, 0
	s_waitcnt lgkmcnt(0)
	s_barrier
	buffer_gl0_inv
	s_and_saveexec_b32 s12, s6
	s_cbranch_execz .LBB161_18
; %bb.17:                               ;   in Loop: Header=BB161_2 Depth=1
	ds_load_b32 v28, v24
.LBB161_18:                             ;   in Loop: Header=BB161_2 Depth=1
	s_or_b32 exec_lo, exec_lo, s12
	s_waitcnt lgkmcnt(0)
	v_add_nc_u32_e32 v3, v28, v3
	ds_bpermute_b32 v3, v22, v3
	s_waitcnt lgkmcnt(0)
	v_cndmask_b32_e32 v3, v3, v28, vcc_lo
	s_delay_alu instid0(VALU_DEP_1) | instskip(NEXT) | instid1(VALU_DEP_1)
	v_cndmask_b32_e64 v3, v3, 0, s7
	v_add_nc_u32_e32 v4, v3, v4
	s_delay_alu instid0(VALU_DEP_1) | instskip(NEXT) | instid1(VALU_DEP_1)
	v_add_nc_u32_e32 v5, v4, v5
	v_add_nc_u32_e32 v6, v5, v6
	s_delay_alu instid0(VALU_DEP_1) | instskip(NEXT) | instid1(VALU_DEP_1)
	v_add_nc_u32_e32 v28, v6, v7
	;; [unrolled: 3-line block ×3, first 2 shown]
	v_add_nc_u32_e32 v1, v0, v2
	ds_store_2addr_b64 v19, v[3:4], v[5:6] offset0:3 offset1:4
	ds_store_2addr_b64 v20, v[28:29], v[0:1] offset0:2 offset1:3
	s_waitcnt lgkmcnt(0)
	s_barrier
	buffer_gl0_inv
	ds_load_b32 v0, v14
	v_lshlrev_b32_e32 v1, 3, v13
	s_waitcnt lgkmcnt(0)
	s_barrier
	buffer_gl0_inv
	v_lshl_add_u32 v0, v0, 3, v1
	v_dual_mov_b32 v1, s22 :: v_dual_mov_b32 v2, s23
	ds_store_b64 v0, v[17:18]
	s_waitcnt lgkmcnt(0)
	s_barrier
	buffer_gl0_inv
	ds_load_b64 v[13:14], v25
	s_waitcnt lgkmcnt(0)
	s_barrier
	buffer_gl0_inv
	ds_store_b64 v0, v[15:16]
	s_waitcnt lgkmcnt(0)
	s_barrier
	buffer_gl0_inv
	ds_load_b64 v[15:16], v25
	s_waitcnt lgkmcnt(0)
	s_barrier
	buffer_gl0_inv
	v_bfe_u32 v3, v14, 16, 1
	v_lshrrev_b32_e32 v4, 16, v14
	s_delay_alu instid0(VALU_DEP_2) | instskip(NEXT) | instid1(VALU_DEP_1)
	v_add_co_u32 v3, s12, v3, -1
	v_cndmask_b32_e64 v5, 0, 1, s12
	s_delay_alu instid0(VALU_DEP_3)
	v_lshlrev_b32_e32 v6, 30, v4
	v_lshlrev_b32_e32 v7, 29, v4
	;; [unrolled: 1-line block ×4, first 2 shown]
	v_cmp_ne_u32_e64 s12, 0, v5
	v_not_b32_e32 v5, v6
	v_cmp_gt_i32_e64 s13, 0, v6
	v_not_b32_e32 v6, v7
	v_lshlrev_b32_e32 v28, 26, v4
	v_xor_b32_e32 v3, s12, v3
	v_ashrrev_i32_e32 v5, 31, v5
	v_cmp_gt_i32_e64 s12, 0, v7
	v_not_b32_e32 v7, v17
	v_ashrrev_i32_e32 v6, 31, v6
	v_and_b32_e32 v3, exec_lo, v3
	v_xor_b32_e32 v5, s13, v5
	v_cmp_gt_i32_e64 s13, 0, v17
	v_not_b32_e32 v17, v18
	v_ashrrev_i32_e32 v7, 31, v7
	v_xor_b32_e32 v6, s12, v6
	v_and_b32_e32 v3, v3, v5
	v_lshlrev_b32_e32 v29, 25, v4
	v_cmp_gt_i32_e64 s12, 0, v18
	v_not_b32_e32 v5, v28
	v_ashrrev_i32_e32 v17, 31, v17
	v_xor_b32_e32 v7, s13, v7
	v_and_b32_e32 v3, v3, v6
	v_lshlrev_b32_e32 v4, 24, v4
	v_cmp_gt_i32_e64 s13, 0, v28
	v_not_b32_e32 v6, v29
	v_ashrrev_i32_e32 v5, 31, v5
	v_xor_b32_e32 v17, s12, v17
	v_and_b32_e32 v3, v3, v7
	v_cmp_gt_i32_e64 s12, 0, v29
	v_not_b32_e32 v7, v4
	v_ashrrev_i32_e32 v6, 31, v6
	v_xor_b32_e32 v5, s13, v5
	v_and_b32_e32 v3, v3, v17
	v_cmp_gt_i32_e64 s13, 0, v4
	v_ashrrev_i32_e32 v4, 31, v7
	v_xor_b32_e32 v6, s12, v6
	s_delay_alu instid0(VALU_DEP_4) | instskip(NEXT) | instid1(VALU_DEP_3)
	v_and_b32_e32 v3, v3, v5
	v_xor_b32_e32 v0, s13, v4
	s_delay_alu instid0(VALU_DEP_2)
	v_and_b32_e32 v5, v3, v6
	v_dual_mov_b32 v3, s16 :: v_dual_mov_b32 v4, s17
	ds_store_2addr_b64 v19, v[1:2], v[3:4] offset0:3 offset1:4
	ds_store_2addr_b64 v20, v[1:2], v[3:4] offset0:2 offset1:3
	v_and_b32_e32 v0, v5, v0
	v_bfe_u32 v5, v14, 16, 8
	s_waitcnt lgkmcnt(0)
	s_barrier
	buffer_gl0_inv
	v_mbcnt_lo_u32_b32 v17, v0, 0
	v_mad_u32_u24 v1, v5, 6, v26
	v_cmp_ne_u32_e64 s13, 0, v0
	; wave barrier
	s_delay_alu instid0(VALU_DEP_3) | instskip(NEXT) | instid1(VALU_DEP_3)
	v_cmp_eq_u32_e64 s12, 0, v17
	v_lshl_add_u32 v18, v1, 2, 24
	s_delay_alu instid0(VALU_DEP_2) | instskip(NEXT) | instid1(SALU_CYCLE_1)
	s_and_b32 s13, s13, s12
	s_and_saveexec_b32 s12, s13
	s_cbranch_execz .LBB161_20
; %bb.19:                               ;   in Loop: Header=BB161_2 Depth=1
	v_bcnt_u32_b32 v0, v0, 0
	ds_store_b32 v18, v0
.LBB161_20:                             ;   in Loop: Header=BB161_2 Depth=1
	s_or_b32 exec_lo, exec_lo, s12
	; wave barrier
	s_waitcnt lgkmcnt(0)
	s_barrier
	buffer_gl0_inv
	ds_load_2addr_b64 v[4:7], v19 offset0:3 offset1:4
	ds_load_2addr_b64 v[0:3], v20 offset0:2 offset1:3
	s_waitcnt lgkmcnt(1)
	v_add_nc_u32_e32 v28, v5, v4
	s_delay_alu instid0(VALU_DEP_1) | instskip(SKIP_1) | instid1(VALU_DEP_1)
	v_add3_u32 v28, v28, v6, v7
	s_waitcnt lgkmcnt(0)
	v_add3_u32 v28, v28, v0, v1
	s_delay_alu instid0(VALU_DEP_1) | instskip(NEXT) | instid1(VALU_DEP_1)
	v_add3_u32 v3, v28, v2, v3
	v_mov_b32_dpp v28, v3 row_shr:1 row_mask:0xf bank_mask:0xf
	s_delay_alu instid0(VALU_DEP_1) | instskip(NEXT) | instid1(VALU_DEP_1)
	v_cndmask_b32_e64 v28, v28, 0, s0
	v_add_nc_u32_e32 v3, v28, v3
	s_delay_alu instid0(VALU_DEP_1) | instskip(NEXT) | instid1(VALU_DEP_1)
	v_mov_b32_dpp v28, v3 row_shr:2 row_mask:0xf bank_mask:0xf
	v_cndmask_b32_e64 v28, 0, v28, s1
	s_delay_alu instid0(VALU_DEP_1) | instskip(NEXT) | instid1(VALU_DEP_1)
	v_add_nc_u32_e32 v3, v3, v28
	v_mov_b32_dpp v28, v3 row_shr:4 row_mask:0xf bank_mask:0xf
	s_delay_alu instid0(VALU_DEP_1) | instskip(NEXT) | instid1(VALU_DEP_1)
	v_cndmask_b32_e64 v28, 0, v28, s2
	v_add_nc_u32_e32 v3, v3, v28
	s_delay_alu instid0(VALU_DEP_1) | instskip(NEXT) | instid1(VALU_DEP_1)
	v_mov_b32_dpp v28, v3 row_shr:8 row_mask:0xf bank_mask:0xf
	v_cndmask_b32_e64 v28, 0, v28, s3
	s_delay_alu instid0(VALU_DEP_1) | instskip(SKIP_3) | instid1(VALU_DEP_1)
	v_add_nc_u32_e32 v3, v3, v28
	ds_swizzle_b32 v28, v3 offset:swizzle(BROADCAST,32,15)
	s_waitcnt lgkmcnt(0)
	v_cndmask_b32_e64 v28, v28, 0, s4
	v_add_nc_u32_e32 v3, v3, v28
	s_and_saveexec_b32 s12, s11
	s_cbranch_execz .LBB161_22
; %bb.21:                               ;   in Loop: Header=BB161_2 Depth=1
	ds_store_b32 v21, v3
.LBB161_22:                             ;   in Loop: Header=BB161_2 Depth=1
	s_or_b32 exec_lo, exec_lo, s12
	s_waitcnt lgkmcnt(0)
	s_barrier
	buffer_gl0_inv
	s_and_saveexec_b32 s12, s5
	s_cbranch_execz .LBB161_24
; %bb.23:                               ;   in Loop: Header=BB161_2 Depth=1
	ds_load_b32 v28, v23
	s_waitcnt lgkmcnt(0)
	v_mov_b32_dpp v29, v28 row_shr:1 row_mask:0xf bank_mask:0xf
	s_delay_alu instid0(VALU_DEP_1) | instskip(NEXT) | instid1(VALU_DEP_1)
	v_cndmask_b32_e64 v29, v29, 0, s8
	v_add_nc_u32_e32 v28, v29, v28
	s_delay_alu instid0(VALU_DEP_1) | instskip(NEXT) | instid1(VALU_DEP_1)
	v_mov_b32_dpp v29, v28 row_shr:2 row_mask:0xf bank_mask:0xf
	v_cndmask_b32_e64 v29, 0, v29, s9
	s_delay_alu instid0(VALU_DEP_1) | instskip(NEXT) | instid1(VALU_DEP_1)
	v_add_nc_u32_e32 v28, v28, v29
	v_mov_b32_dpp v29, v28 row_shr:4 row_mask:0xf bank_mask:0xf
	s_delay_alu instid0(VALU_DEP_1) | instskip(NEXT) | instid1(VALU_DEP_1)
	v_cndmask_b32_e64 v29, 0, v29, s10
	v_add_nc_u32_e32 v28, v28, v29
	ds_store_b32 v23, v28
.LBB161_24:                             ;   in Loop: Header=BB161_2 Depth=1
	s_or_b32 exec_lo, exec_lo, s12
	v_mov_b32_e32 v28, 0
	s_waitcnt lgkmcnt(0)
	s_barrier
	buffer_gl0_inv
	s_and_saveexec_b32 s12, s6
	s_cbranch_execz .LBB161_26
; %bb.25:                               ;   in Loop: Header=BB161_2 Depth=1
	ds_load_b32 v28, v24
.LBB161_26:                             ;   in Loop: Header=BB161_2 Depth=1
	s_or_b32 exec_lo, exec_lo, s12
	s_waitcnt lgkmcnt(0)
	v_add_nc_u32_e32 v3, v28, v3
	ds_bpermute_b32 v3, v22, v3
	s_waitcnt lgkmcnt(0)
	v_cndmask_b32_e32 v3, v3, v28, vcc_lo
	s_delay_alu instid0(VALU_DEP_1) | instskip(NEXT) | instid1(VALU_DEP_1)
	v_cndmask_b32_e64 v3, v3, 0, s7
	v_add_nc_u32_e32 v4, v3, v4
	s_delay_alu instid0(VALU_DEP_1) | instskip(NEXT) | instid1(VALU_DEP_1)
	v_add_nc_u32_e32 v5, v4, v5
	v_add_nc_u32_e32 v6, v5, v6
	s_delay_alu instid0(VALU_DEP_1) | instskip(NEXT) | instid1(VALU_DEP_1)
	v_add_nc_u32_e32 v28, v6, v7
	;; [unrolled: 3-line block ×3, first 2 shown]
	v_add_nc_u32_e32 v1, v0, v2
	ds_store_2addr_b64 v19, v[3:4], v[5:6] offset0:3 offset1:4
	ds_store_2addr_b64 v20, v[28:29], v[0:1] offset0:2 offset1:3
	s_waitcnt lgkmcnt(0)
	s_barrier
	buffer_gl0_inv
	ds_load_b32 v0, v18
	v_lshlrev_b32_e32 v1, 3, v17
	s_waitcnt lgkmcnt(0)
	s_barrier
	buffer_gl0_inv
	v_lshl_add_u32 v0, v0, 3, v1
	ds_store_b64 v0, v[13:14]
	s_waitcnt lgkmcnt(0)
	s_barrier
	buffer_gl0_inv
	ds_load_b64 v[13:14], v25
	s_waitcnt lgkmcnt(0)
	s_barrier
	buffer_gl0_inv
	ds_store_b64 v0, v[15:16]
	s_waitcnt lgkmcnt(0)
	s_barrier
	buffer_gl0_inv
	ds_load_b64 v[15:16], v25
	s_waitcnt lgkmcnt(0)
	s_barrier
	buffer_gl0_inv
	v_bfe_u32 v1, v14, 24, 1
	v_lshrrev_b32_e32 v5, 24, v14
	s_delay_alu instid0(VALU_DEP_2) | instskip(NEXT) | instid1(VALU_DEP_1)
	v_add_co_u32 v1, s12, v1, -1
	v_cndmask_b32_e64 v2, 0, 1, s12
	s_delay_alu instid0(VALU_DEP_3)
	v_lshlrev_b32_e32 v3, 30, v5
	v_lshlrev_b32_e32 v4, 29, v5
	;; [unrolled: 1-line block ×4, first 2 shown]
	v_cmp_ne_u32_e64 s12, 0, v2
	v_not_b32_e32 v2, v3
	v_cmp_gt_i32_e64 s13, 0, v3
	v_not_b32_e32 v3, v4
	v_lshlrev_b32_e32 v17, 26, v5
	v_xor_b32_e32 v1, s12, v1
	v_ashrrev_i32_e32 v2, 31, v2
	v_cmp_gt_i32_e64 s12, 0, v4
	v_not_b32_e32 v4, v6
	v_ashrrev_i32_e32 v3, 31, v3
	v_and_b32_e32 v1, exec_lo, v1
	v_xor_b32_e32 v2, s13, v2
	v_cmp_gt_i32_e64 s13, 0, v6
	v_not_b32_e32 v6, v7
	v_ashrrev_i32_e32 v4, 31, v4
	v_xor_b32_e32 v3, s12, v3
	v_and_b32_e32 v1, v1, v2
	v_lshlrev_b32_e32 v18, 25, v5
	v_cmp_gt_i32_e64 s12, 0, v7
	v_not_b32_e32 v2, v17
	v_ashrrev_i32_e32 v6, 31, v6
	v_xor_b32_e32 v4, s13, v4
	v_and_b32_e32 v1, v1, v3
	v_cmp_gt_i32_e64 s13, 0, v17
	v_not_b32_e32 v3, v18
	v_ashrrev_i32_e32 v2, 31, v2
	v_xor_b32_e32 v6, s12, v6
	v_and_b32_e32 v1, v1, v4
	v_not_b32_e32 v4, v14
	v_cmp_gt_i32_e64 s12, 0, v18
	v_ashrrev_i32_e32 v3, 31, v3
	v_xor_b32_e32 v2, s13, v2
	v_and_b32_e32 v1, v1, v6
	v_cmp_gt_i32_e64 s13, 0, v14
	v_ashrrev_i32_e32 v4, 31, v4
	v_xor_b32_e32 v3, s12, v3
	s_delay_alu instid0(VALU_DEP_4) | instskip(NEXT) | instid1(VALU_DEP_3)
	v_and_b32_e32 v1, v1, v2
	v_xor_b32_e32 v0, s13, v4
	s_delay_alu instid0(VALU_DEP_2) | instskip(SKIP_1) | instid1(VALU_DEP_2)
	v_and_b32_e32 v3, v1, v3
	v_dual_mov_b32 v1, s22 :: v_dual_mov_b32 v2, s23
	v_dual_mov_b32 v3, s16 :: v_dual_and_b32 v0, v3, v0
	v_mov_b32_e32 v4, s17
	ds_store_2addr_b64 v19, v[1:2], v[3:4] offset0:3 offset1:4
	ds_store_2addr_b64 v20, v[1:2], v[3:4] offset0:2 offset1:3
	v_mbcnt_lo_u32_b32 v17, v0, 0
	v_mad_u32_u24 v1, v5, 6, v26
	v_cmp_ne_u32_e64 s13, 0, v0
	s_waitcnt lgkmcnt(0)
	s_barrier
	v_cmp_eq_u32_e64 s12, 0, v17
	v_lshl_add_u32 v18, v1, 2, 24
	buffer_gl0_inv
	; wave barrier
	s_and_b32 s13, s13, s12
	s_delay_alu instid0(SALU_CYCLE_1)
	s_and_saveexec_b32 s12, s13
	s_cbranch_execz .LBB161_28
; %bb.27:                               ;   in Loop: Header=BB161_2 Depth=1
	v_bcnt_u32_b32 v0, v0, 0
	ds_store_b32 v18, v0
.LBB161_28:                             ;   in Loop: Header=BB161_2 Depth=1
	s_or_b32 exec_lo, exec_lo, s12
	; wave barrier
	s_waitcnt lgkmcnt(0)
	s_barrier
	buffer_gl0_inv
	ds_load_2addr_b64 v[4:7], v19 offset0:3 offset1:4
	ds_load_2addr_b64 v[0:3], v20 offset0:2 offset1:3
	s_waitcnt lgkmcnt(1)
	v_add_nc_u32_e32 v28, v5, v4
	s_delay_alu instid0(VALU_DEP_1) | instskip(SKIP_1) | instid1(VALU_DEP_1)
	v_add3_u32 v28, v28, v6, v7
	s_waitcnt lgkmcnt(0)
	v_add3_u32 v28, v28, v0, v1
	s_delay_alu instid0(VALU_DEP_1) | instskip(NEXT) | instid1(VALU_DEP_1)
	v_add3_u32 v3, v28, v2, v3
	v_mov_b32_dpp v28, v3 row_shr:1 row_mask:0xf bank_mask:0xf
	s_delay_alu instid0(VALU_DEP_1) | instskip(NEXT) | instid1(VALU_DEP_1)
	v_cndmask_b32_e64 v28, v28, 0, s0
	v_add_nc_u32_e32 v3, v28, v3
	s_delay_alu instid0(VALU_DEP_1) | instskip(NEXT) | instid1(VALU_DEP_1)
	v_mov_b32_dpp v28, v3 row_shr:2 row_mask:0xf bank_mask:0xf
	v_cndmask_b32_e64 v28, 0, v28, s1
	s_delay_alu instid0(VALU_DEP_1) | instskip(NEXT) | instid1(VALU_DEP_1)
	v_add_nc_u32_e32 v3, v3, v28
	v_mov_b32_dpp v28, v3 row_shr:4 row_mask:0xf bank_mask:0xf
	s_delay_alu instid0(VALU_DEP_1) | instskip(NEXT) | instid1(VALU_DEP_1)
	v_cndmask_b32_e64 v28, 0, v28, s2
	v_add_nc_u32_e32 v3, v3, v28
	s_delay_alu instid0(VALU_DEP_1) | instskip(NEXT) | instid1(VALU_DEP_1)
	v_mov_b32_dpp v28, v3 row_shr:8 row_mask:0xf bank_mask:0xf
	v_cndmask_b32_e64 v28, 0, v28, s3
	s_delay_alu instid0(VALU_DEP_1) | instskip(SKIP_3) | instid1(VALU_DEP_1)
	v_add_nc_u32_e32 v3, v3, v28
	ds_swizzle_b32 v28, v3 offset:swizzle(BROADCAST,32,15)
	s_waitcnt lgkmcnt(0)
	v_cndmask_b32_e64 v28, v28, 0, s4
	v_add_nc_u32_e32 v3, v3, v28
	s_and_saveexec_b32 s12, s11
	s_cbranch_execz .LBB161_30
; %bb.29:                               ;   in Loop: Header=BB161_2 Depth=1
	ds_store_b32 v21, v3
.LBB161_30:                             ;   in Loop: Header=BB161_2 Depth=1
	s_or_b32 exec_lo, exec_lo, s12
	s_waitcnt lgkmcnt(0)
	s_barrier
	buffer_gl0_inv
	s_and_saveexec_b32 s12, s5
	s_cbranch_execz .LBB161_32
; %bb.31:                               ;   in Loop: Header=BB161_2 Depth=1
	ds_load_b32 v28, v23
	s_waitcnt lgkmcnt(0)
	v_mov_b32_dpp v29, v28 row_shr:1 row_mask:0xf bank_mask:0xf
	s_delay_alu instid0(VALU_DEP_1) | instskip(NEXT) | instid1(VALU_DEP_1)
	v_cndmask_b32_e64 v29, v29, 0, s8
	v_add_nc_u32_e32 v28, v29, v28
	s_delay_alu instid0(VALU_DEP_1) | instskip(NEXT) | instid1(VALU_DEP_1)
	v_mov_b32_dpp v29, v28 row_shr:2 row_mask:0xf bank_mask:0xf
	v_cndmask_b32_e64 v29, 0, v29, s9
	s_delay_alu instid0(VALU_DEP_1) | instskip(NEXT) | instid1(VALU_DEP_1)
	v_add_nc_u32_e32 v28, v28, v29
	v_mov_b32_dpp v29, v28 row_shr:4 row_mask:0xf bank_mask:0xf
	s_delay_alu instid0(VALU_DEP_1) | instskip(NEXT) | instid1(VALU_DEP_1)
	v_cndmask_b32_e64 v29, 0, v29, s10
	v_add_nc_u32_e32 v28, v28, v29
	ds_store_b32 v23, v28
.LBB161_32:                             ;   in Loop: Header=BB161_2 Depth=1
	s_or_b32 exec_lo, exec_lo, s12
	v_mov_b32_e32 v28, 0
	s_waitcnt lgkmcnt(0)
	s_barrier
	buffer_gl0_inv
	s_and_saveexec_b32 s12, s6
	s_cbranch_execz .LBB161_34
; %bb.33:                               ;   in Loop: Header=BB161_2 Depth=1
	ds_load_b32 v28, v24
.LBB161_34:                             ;   in Loop: Header=BB161_2 Depth=1
	s_or_b32 exec_lo, exec_lo, s12
	s_waitcnt lgkmcnt(0)
	v_add_nc_u32_e32 v3, v28, v3
	ds_bpermute_b32 v3, v22, v3
	s_waitcnt lgkmcnt(0)
	v_cndmask_b32_e32 v3, v3, v28, vcc_lo
	s_delay_alu instid0(VALU_DEP_1) | instskip(NEXT) | instid1(VALU_DEP_1)
	v_cndmask_b32_e64 v3, v3, 0, s7
	v_add_nc_u32_e32 v4, v3, v4
	s_delay_alu instid0(VALU_DEP_1) | instskip(NEXT) | instid1(VALU_DEP_1)
	v_add_nc_u32_e32 v5, v4, v5
	v_add_nc_u32_e32 v6, v5, v6
	s_delay_alu instid0(VALU_DEP_1) | instskip(NEXT) | instid1(VALU_DEP_1)
	v_add_nc_u32_e32 v28, v6, v7
	;; [unrolled: 3-line block ×3, first 2 shown]
	v_add_nc_u32_e32 v1, v0, v2
	ds_store_2addr_b64 v19, v[3:4], v[5:6] offset0:3 offset1:4
	ds_store_2addr_b64 v20, v[28:29], v[0:1] offset0:2 offset1:3
	s_waitcnt lgkmcnt(0)
	s_barrier
	buffer_gl0_inv
	ds_load_b32 v0, v18
	v_lshlrev_b32_e32 v1, 3, v17
	s_waitcnt lgkmcnt(0)
	s_barrier
	buffer_gl0_inv
	v_lshl_add_u32 v0, v0, 3, v1
	v_dual_mov_b32 v1, s22 :: v_dual_mov_b32 v2, s23
	ds_store_b64 v0, v[13:14]
	s_waitcnt lgkmcnt(0)
	s_barrier
	buffer_gl0_inv
	ds_load_b64 v[13:14], v25
	s_waitcnt lgkmcnt(0)
	s_barrier
	buffer_gl0_inv
	ds_store_b64 v0, v[15:16]
	s_waitcnt lgkmcnt(0)
	s_barrier
	buffer_gl0_inv
	ds_load_b64 v[15:16], v25
	s_waitcnt lgkmcnt(0)
	s_barrier
	buffer_gl0_inv
	v_and_b32_e32 v3, 1, v13
	v_lshlrev_b32_e32 v4, 30, v13
	v_lshlrev_b32_e32 v5, 29, v13
	;; [unrolled: 1-line block ×4, first 2 shown]
	v_add_co_u32 v3, s12, v3, -1
	s_delay_alu instid0(VALU_DEP_1)
	v_cndmask_b32_e64 v7, 0, 1, s12
	v_not_b32_e32 v29, v4
	v_cmp_gt_i32_e64 s13, 0, v4
	v_not_b32_e32 v4, v5
	v_lshlrev_b32_e32 v18, 26, v13
	v_cmp_ne_u32_e64 s12, 0, v7
	v_ashrrev_i32_e32 v29, 31, v29
	v_lshlrev_b32_e32 v28, 25, v13
	v_ashrrev_i32_e32 v4, 31, v4
	v_lshlrev_b32_e32 v7, 24, v13
	v_xor_b32_e32 v3, s12, v3
	v_cmp_gt_i32_e64 s12, 0, v5
	v_not_b32_e32 v5, v6
	v_xor_b32_e32 v29, s13, v29
	v_cmp_gt_i32_e64 s13, 0, v6
	v_and_b32_e32 v3, exec_lo, v3
	v_not_b32_e32 v6, v17
	v_ashrrev_i32_e32 v5, 31, v5
	v_xor_b32_e32 v4, s12, v4
	v_cmp_gt_i32_e64 s12, 0, v17
	v_and_b32_e32 v3, v3, v29
	v_not_b32_e32 v17, v18
	v_ashrrev_i32_e32 v6, 31, v6
	v_xor_b32_e32 v5, s13, v5
	v_cmp_gt_i32_e64 s13, 0, v18
	v_and_b32_e32 v3, v3, v4
	v_not_b32_e32 v4, v28
	v_ashrrev_i32_e32 v17, 31, v17
	v_xor_b32_e32 v6, s12, v6
	v_cmp_gt_i32_e64 s12, 0, v28
	v_and_b32_e32 v3, v3, v5
	v_not_b32_e32 v5, v7
	v_ashrrev_i32_e32 v4, 31, v4
	v_xor_b32_e32 v17, s13, v17
	v_cmp_gt_i32_e64 s13, 0, v7
	v_and_b32_e32 v3, v3, v6
	v_ashrrev_i32_e32 v5, 31, v5
	v_xor_b32_e32 v4, s12, v4
	s_delay_alu instid0(VALU_DEP_3) | instskip(NEXT) | instid1(VALU_DEP_3)
	v_and_b32_e32 v3, v3, v17
	v_xor_b32_e32 v0, s13, v5
	s_delay_alu instid0(VALU_DEP_2)
	v_and_b32_e32 v5, v3, v4
	v_dual_mov_b32 v3, s16 :: v_dual_mov_b32 v4, s17
	ds_store_2addr_b64 v19, v[1:2], v[3:4] offset0:3 offset1:4
	ds_store_2addr_b64 v20, v[1:2], v[3:4] offset0:2 offset1:3
	v_and_b32_e32 v0, v5, v0
	v_and_b32_e32 v5, 0xff, v13
	s_waitcnt lgkmcnt(0)
	s_barrier
	buffer_gl0_inv
	v_mbcnt_lo_u32_b32 v17, v0, 0
	v_mad_u32_u24 v1, v5, 6, v26
	v_cmp_ne_u32_e64 s13, 0, v0
	; wave barrier
	s_delay_alu instid0(VALU_DEP_3) | instskip(NEXT) | instid1(VALU_DEP_3)
	v_cmp_eq_u32_e64 s12, 0, v17
	v_lshl_add_u32 v18, v1, 2, 24
	s_delay_alu instid0(VALU_DEP_2) | instskip(NEXT) | instid1(SALU_CYCLE_1)
	s_and_b32 s13, s13, s12
	s_and_saveexec_b32 s12, s13
	s_cbranch_execz .LBB161_36
; %bb.35:                               ;   in Loop: Header=BB161_2 Depth=1
	v_bcnt_u32_b32 v0, v0, 0
	ds_store_b32 v18, v0
.LBB161_36:                             ;   in Loop: Header=BB161_2 Depth=1
	s_or_b32 exec_lo, exec_lo, s12
	; wave barrier
	s_waitcnt lgkmcnt(0)
	s_barrier
	buffer_gl0_inv
	ds_load_2addr_b64 v[4:7], v19 offset0:3 offset1:4
	ds_load_2addr_b64 v[0:3], v20 offset0:2 offset1:3
	s_waitcnt lgkmcnt(1)
	v_add_nc_u32_e32 v28, v5, v4
	s_delay_alu instid0(VALU_DEP_1) | instskip(SKIP_1) | instid1(VALU_DEP_1)
	v_add3_u32 v28, v28, v6, v7
	s_waitcnt lgkmcnt(0)
	v_add3_u32 v28, v28, v0, v1
	s_delay_alu instid0(VALU_DEP_1) | instskip(NEXT) | instid1(VALU_DEP_1)
	v_add3_u32 v3, v28, v2, v3
	v_mov_b32_dpp v28, v3 row_shr:1 row_mask:0xf bank_mask:0xf
	s_delay_alu instid0(VALU_DEP_1) | instskip(NEXT) | instid1(VALU_DEP_1)
	v_cndmask_b32_e64 v28, v28, 0, s0
	v_add_nc_u32_e32 v3, v28, v3
	s_delay_alu instid0(VALU_DEP_1) | instskip(NEXT) | instid1(VALU_DEP_1)
	v_mov_b32_dpp v28, v3 row_shr:2 row_mask:0xf bank_mask:0xf
	v_cndmask_b32_e64 v28, 0, v28, s1
	s_delay_alu instid0(VALU_DEP_1) | instskip(NEXT) | instid1(VALU_DEP_1)
	v_add_nc_u32_e32 v3, v3, v28
	v_mov_b32_dpp v28, v3 row_shr:4 row_mask:0xf bank_mask:0xf
	s_delay_alu instid0(VALU_DEP_1) | instskip(NEXT) | instid1(VALU_DEP_1)
	v_cndmask_b32_e64 v28, 0, v28, s2
	v_add_nc_u32_e32 v3, v3, v28
	s_delay_alu instid0(VALU_DEP_1) | instskip(NEXT) | instid1(VALU_DEP_1)
	v_mov_b32_dpp v28, v3 row_shr:8 row_mask:0xf bank_mask:0xf
	v_cndmask_b32_e64 v28, 0, v28, s3
	s_delay_alu instid0(VALU_DEP_1) | instskip(SKIP_3) | instid1(VALU_DEP_1)
	v_add_nc_u32_e32 v3, v3, v28
	ds_swizzle_b32 v28, v3 offset:swizzle(BROADCAST,32,15)
	s_waitcnt lgkmcnt(0)
	v_cndmask_b32_e64 v28, v28, 0, s4
	v_add_nc_u32_e32 v3, v3, v28
	s_and_saveexec_b32 s12, s11
	s_cbranch_execz .LBB161_38
; %bb.37:                               ;   in Loop: Header=BB161_2 Depth=1
	ds_store_b32 v21, v3
.LBB161_38:                             ;   in Loop: Header=BB161_2 Depth=1
	s_or_b32 exec_lo, exec_lo, s12
	s_waitcnt lgkmcnt(0)
	s_barrier
	buffer_gl0_inv
	s_and_saveexec_b32 s12, s5
	s_cbranch_execz .LBB161_40
; %bb.39:                               ;   in Loop: Header=BB161_2 Depth=1
	ds_load_b32 v28, v23
	s_waitcnt lgkmcnt(0)
	v_mov_b32_dpp v29, v28 row_shr:1 row_mask:0xf bank_mask:0xf
	s_delay_alu instid0(VALU_DEP_1) | instskip(NEXT) | instid1(VALU_DEP_1)
	v_cndmask_b32_e64 v29, v29, 0, s8
	v_add_nc_u32_e32 v28, v29, v28
	s_delay_alu instid0(VALU_DEP_1) | instskip(NEXT) | instid1(VALU_DEP_1)
	v_mov_b32_dpp v29, v28 row_shr:2 row_mask:0xf bank_mask:0xf
	v_cndmask_b32_e64 v29, 0, v29, s9
	s_delay_alu instid0(VALU_DEP_1) | instskip(NEXT) | instid1(VALU_DEP_1)
	v_add_nc_u32_e32 v28, v28, v29
	v_mov_b32_dpp v29, v28 row_shr:4 row_mask:0xf bank_mask:0xf
	s_delay_alu instid0(VALU_DEP_1) | instskip(NEXT) | instid1(VALU_DEP_1)
	v_cndmask_b32_e64 v29, 0, v29, s10
	v_add_nc_u32_e32 v28, v28, v29
	ds_store_b32 v23, v28
.LBB161_40:                             ;   in Loop: Header=BB161_2 Depth=1
	s_or_b32 exec_lo, exec_lo, s12
	v_mov_b32_e32 v28, 0
	s_waitcnt lgkmcnt(0)
	s_barrier
	buffer_gl0_inv
	s_and_saveexec_b32 s12, s6
	s_cbranch_execz .LBB161_42
; %bb.41:                               ;   in Loop: Header=BB161_2 Depth=1
	ds_load_b32 v28, v24
.LBB161_42:                             ;   in Loop: Header=BB161_2 Depth=1
	s_or_b32 exec_lo, exec_lo, s12
	s_waitcnt lgkmcnt(0)
	v_add_nc_u32_e32 v3, v28, v3
	ds_bpermute_b32 v3, v22, v3
	s_waitcnt lgkmcnt(0)
	v_cndmask_b32_e32 v3, v3, v28, vcc_lo
	s_delay_alu instid0(VALU_DEP_1) | instskip(NEXT) | instid1(VALU_DEP_1)
	v_cndmask_b32_e64 v3, v3, 0, s7
	v_add_nc_u32_e32 v4, v3, v4
	s_delay_alu instid0(VALU_DEP_1) | instskip(NEXT) | instid1(VALU_DEP_1)
	v_add_nc_u32_e32 v5, v4, v5
	v_add_nc_u32_e32 v6, v5, v6
	s_delay_alu instid0(VALU_DEP_1) | instskip(NEXT) | instid1(VALU_DEP_1)
	v_add_nc_u32_e32 v28, v6, v7
	;; [unrolled: 3-line block ×3, first 2 shown]
	v_add_nc_u32_e32 v1, v0, v2
	ds_store_2addr_b64 v19, v[3:4], v[5:6] offset0:3 offset1:4
	ds_store_2addr_b64 v20, v[28:29], v[0:1] offset0:2 offset1:3
	s_waitcnt lgkmcnt(0)
	s_barrier
	buffer_gl0_inv
	ds_load_b32 v0, v18
	v_lshlrev_b32_e32 v1, 3, v17
	s_waitcnt lgkmcnt(0)
	s_barrier
	buffer_gl0_inv
	v_lshl_add_u32 v0, v0, 3, v1
	v_dual_mov_b32 v1, s22 :: v_dual_mov_b32 v2, s23
	ds_store_b64 v0, v[13:14]
	s_waitcnt lgkmcnt(0)
	s_barrier
	buffer_gl0_inv
	ds_load_b64 v[13:14], v25
	s_waitcnt lgkmcnt(0)
	s_barrier
	buffer_gl0_inv
	ds_store_b64 v0, v[15:16]
	s_waitcnt lgkmcnt(0)
	s_barrier
	buffer_gl0_inv
	ds_load_b64 v[15:16], v25
	s_waitcnt lgkmcnt(0)
	s_barrier
	buffer_gl0_inv
	v_bfe_u32 v3, v13, 8, 1
	v_lshrrev_b32_e32 v4, 8, v13
	s_delay_alu instid0(VALU_DEP_2) | instskip(NEXT) | instid1(VALU_DEP_1)
	v_add_co_u32 v3, s12, v3, -1
	v_cndmask_b32_e64 v5, 0, 1, s12
	s_delay_alu instid0(VALU_DEP_3)
	v_lshlrev_b32_e32 v6, 30, v4
	v_lshlrev_b32_e32 v7, 29, v4
	;; [unrolled: 1-line block ×4, first 2 shown]
	v_cmp_ne_u32_e64 s12, 0, v5
	v_not_b32_e32 v5, v6
	v_cmp_gt_i32_e64 s13, 0, v6
	v_not_b32_e32 v6, v7
	v_lshlrev_b32_e32 v28, 26, v4
	v_xor_b32_e32 v3, s12, v3
	v_ashrrev_i32_e32 v5, 31, v5
	v_cmp_gt_i32_e64 s12, 0, v7
	v_not_b32_e32 v7, v17
	v_ashrrev_i32_e32 v6, 31, v6
	v_and_b32_e32 v3, exec_lo, v3
	v_xor_b32_e32 v5, s13, v5
	v_cmp_gt_i32_e64 s13, 0, v17
	v_not_b32_e32 v17, v18
	v_ashrrev_i32_e32 v7, 31, v7
	v_xor_b32_e32 v6, s12, v6
	v_and_b32_e32 v3, v3, v5
	v_lshlrev_b32_e32 v29, 25, v4
	v_cmp_gt_i32_e64 s12, 0, v18
	v_not_b32_e32 v5, v28
	v_ashrrev_i32_e32 v17, 31, v17
	v_xor_b32_e32 v7, s13, v7
	v_and_b32_e32 v3, v3, v6
	v_lshlrev_b32_e32 v4, 24, v4
	v_cmp_gt_i32_e64 s13, 0, v28
	v_not_b32_e32 v6, v29
	v_ashrrev_i32_e32 v5, 31, v5
	v_xor_b32_e32 v17, s12, v17
	v_and_b32_e32 v3, v3, v7
	v_cmp_gt_i32_e64 s12, 0, v29
	v_not_b32_e32 v7, v4
	v_ashrrev_i32_e32 v6, 31, v6
	v_xor_b32_e32 v5, s13, v5
	v_and_b32_e32 v3, v3, v17
	v_cmp_gt_i32_e64 s13, 0, v4
	v_ashrrev_i32_e32 v4, 31, v7
	v_xor_b32_e32 v6, s12, v6
	s_delay_alu instid0(VALU_DEP_4) | instskip(NEXT) | instid1(VALU_DEP_3)
	v_and_b32_e32 v3, v3, v5
	v_xor_b32_e32 v0, s13, v4
	s_delay_alu instid0(VALU_DEP_2)
	v_and_b32_e32 v5, v3, v6
	v_dual_mov_b32 v3, s16 :: v_dual_mov_b32 v4, s17
	ds_store_2addr_b64 v19, v[1:2], v[3:4] offset0:3 offset1:4
	ds_store_2addr_b64 v20, v[1:2], v[3:4] offset0:2 offset1:3
	v_and_b32_e32 v0, v5, v0
	v_bfe_u32 v5, v13, 8, 8
	s_waitcnt lgkmcnt(0)
	s_barrier
	buffer_gl0_inv
	v_mbcnt_lo_u32_b32 v17, v0, 0
	v_mad_u32_u24 v1, v5, 6, v26
	v_cmp_ne_u32_e64 s13, 0, v0
	; wave barrier
	s_delay_alu instid0(VALU_DEP_3) | instskip(NEXT) | instid1(VALU_DEP_3)
	v_cmp_eq_u32_e64 s12, 0, v17
	v_lshl_add_u32 v18, v1, 2, 24
	s_delay_alu instid0(VALU_DEP_2) | instskip(NEXT) | instid1(SALU_CYCLE_1)
	s_and_b32 s13, s13, s12
	s_and_saveexec_b32 s12, s13
	s_cbranch_execz .LBB161_44
; %bb.43:                               ;   in Loop: Header=BB161_2 Depth=1
	v_bcnt_u32_b32 v0, v0, 0
	ds_store_b32 v18, v0
.LBB161_44:                             ;   in Loop: Header=BB161_2 Depth=1
	s_or_b32 exec_lo, exec_lo, s12
	; wave barrier
	s_waitcnt lgkmcnt(0)
	s_barrier
	buffer_gl0_inv
	ds_load_2addr_b64 v[4:7], v19 offset0:3 offset1:4
	ds_load_2addr_b64 v[0:3], v20 offset0:2 offset1:3
	s_waitcnt lgkmcnt(1)
	v_add_nc_u32_e32 v28, v5, v4
	s_delay_alu instid0(VALU_DEP_1) | instskip(SKIP_1) | instid1(VALU_DEP_1)
	v_add3_u32 v28, v28, v6, v7
	s_waitcnt lgkmcnt(0)
	v_add3_u32 v28, v28, v0, v1
	s_delay_alu instid0(VALU_DEP_1) | instskip(NEXT) | instid1(VALU_DEP_1)
	v_add3_u32 v3, v28, v2, v3
	v_mov_b32_dpp v28, v3 row_shr:1 row_mask:0xf bank_mask:0xf
	s_delay_alu instid0(VALU_DEP_1) | instskip(NEXT) | instid1(VALU_DEP_1)
	v_cndmask_b32_e64 v28, v28, 0, s0
	v_add_nc_u32_e32 v3, v28, v3
	s_delay_alu instid0(VALU_DEP_1) | instskip(NEXT) | instid1(VALU_DEP_1)
	v_mov_b32_dpp v28, v3 row_shr:2 row_mask:0xf bank_mask:0xf
	v_cndmask_b32_e64 v28, 0, v28, s1
	s_delay_alu instid0(VALU_DEP_1) | instskip(NEXT) | instid1(VALU_DEP_1)
	v_add_nc_u32_e32 v3, v3, v28
	v_mov_b32_dpp v28, v3 row_shr:4 row_mask:0xf bank_mask:0xf
	s_delay_alu instid0(VALU_DEP_1) | instskip(NEXT) | instid1(VALU_DEP_1)
	v_cndmask_b32_e64 v28, 0, v28, s2
	v_add_nc_u32_e32 v3, v3, v28
	s_delay_alu instid0(VALU_DEP_1) | instskip(NEXT) | instid1(VALU_DEP_1)
	v_mov_b32_dpp v28, v3 row_shr:8 row_mask:0xf bank_mask:0xf
	v_cndmask_b32_e64 v28, 0, v28, s3
	s_delay_alu instid0(VALU_DEP_1) | instskip(SKIP_3) | instid1(VALU_DEP_1)
	v_add_nc_u32_e32 v3, v3, v28
	ds_swizzle_b32 v28, v3 offset:swizzle(BROADCAST,32,15)
	s_waitcnt lgkmcnt(0)
	v_cndmask_b32_e64 v28, v28, 0, s4
	v_add_nc_u32_e32 v3, v3, v28
	s_and_saveexec_b32 s12, s11
	s_cbranch_execz .LBB161_46
; %bb.45:                               ;   in Loop: Header=BB161_2 Depth=1
	ds_store_b32 v21, v3
.LBB161_46:                             ;   in Loop: Header=BB161_2 Depth=1
	s_or_b32 exec_lo, exec_lo, s12
	s_waitcnt lgkmcnt(0)
	s_barrier
	buffer_gl0_inv
	s_and_saveexec_b32 s12, s5
	s_cbranch_execz .LBB161_48
; %bb.47:                               ;   in Loop: Header=BB161_2 Depth=1
	ds_load_b32 v28, v23
	s_waitcnt lgkmcnt(0)
	v_mov_b32_dpp v29, v28 row_shr:1 row_mask:0xf bank_mask:0xf
	s_delay_alu instid0(VALU_DEP_1) | instskip(NEXT) | instid1(VALU_DEP_1)
	v_cndmask_b32_e64 v29, v29, 0, s8
	v_add_nc_u32_e32 v28, v29, v28
	s_delay_alu instid0(VALU_DEP_1) | instskip(NEXT) | instid1(VALU_DEP_1)
	v_mov_b32_dpp v29, v28 row_shr:2 row_mask:0xf bank_mask:0xf
	v_cndmask_b32_e64 v29, 0, v29, s9
	s_delay_alu instid0(VALU_DEP_1) | instskip(NEXT) | instid1(VALU_DEP_1)
	v_add_nc_u32_e32 v28, v28, v29
	v_mov_b32_dpp v29, v28 row_shr:4 row_mask:0xf bank_mask:0xf
	s_delay_alu instid0(VALU_DEP_1) | instskip(NEXT) | instid1(VALU_DEP_1)
	v_cndmask_b32_e64 v29, 0, v29, s10
	v_add_nc_u32_e32 v28, v28, v29
	ds_store_b32 v23, v28
.LBB161_48:                             ;   in Loop: Header=BB161_2 Depth=1
	s_or_b32 exec_lo, exec_lo, s12
	v_mov_b32_e32 v28, 0
	s_waitcnt lgkmcnt(0)
	s_barrier
	buffer_gl0_inv
	s_and_saveexec_b32 s12, s6
	s_cbranch_execz .LBB161_50
; %bb.49:                               ;   in Loop: Header=BB161_2 Depth=1
	ds_load_b32 v28, v24
.LBB161_50:                             ;   in Loop: Header=BB161_2 Depth=1
	s_or_b32 exec_lo, exec_lo, s12
	s_waitcnt lgkmcnt(0)
	v_add_nc_u32_e32 v3, v28, v3
	ds_bpermute_b32 v3, v22, v3
	s_waitcnt lgkmcnt(0)
	v_cndmask_b32_e32 v3, v3, v28, vcc_lo
	s_delay_alu instid0(VALU_DEP_1) | instskip(NEXT) | instid1(VALU_DEP_1)
	v_cndmask_b32_e64 v3, v3, 0, s7
	v_add_nc_u32_e32 v4, v3, v4
	s_delay_alu instid0(VALU_DEP_1) | instskip(NEXT) | instid1(VALU_DEP_1)
	v_add_nc_u32_e32 v5, v4, v5
	v_add_nc_u32_e32 v6, v5, v6
	s_delay_alu instid0(VALU_DEP_1) | instskip(NEXT) | instid1(VALU_DEP_1)
	v_add_nc_u32_e32 v28, v6, v7
	;; [unrolled: 3-line block ×3, first 2 shown]
	v_add_nc_u32_e32 v1, v0, v2
	ds_store_2addr_b64 v19, v[3:4], v[5:6] offset0:3 offset1:4
	ds_store_2addr_b64 v20, v[28:29], v[0:1] offset0:2 offset1:3
	s_waitcnt lgkmcnt(0)
	s_barrier
	buffer_gl0_inv
	ds_load_b32 v0, v18
	v_lshlrev_b32_e32 v1, 3, v17
	s_waitcnt lgkmcnt(0)
	s_barrier
	buffer_gl0_inv
	v_lshl_add_u32 v0, v0, 3, v1
	v_dual_mov_b32 v1, s22 :: v_dual_mov_b32 v2, s23
	ds_store_b64 v0, v[13:14]
	s_waitcnt lgkmcnt(0)
	s_barrier
	buffer_gl0_inv
	ds_load_b64 v[13:14], v25
	s_waitcnt lgkmcnt(0)
	s_barrier
	buffer_gl0_inv
	ds_store_b64 v0, v[15:16]
	s_waitcnt lgkmcnt(0)
	s_barrier
	buffer_gl0_inv
	ds_load_b64 v[15:16], v25
	s_waitcnt lgkmcnt(0)
	s_barrier
	buffer_gl0_inv
	v_bfe_u32 v3, v13, 16, 1
	v_lshrrev_b32_e32 v4, 16, v13
	s_delay_alu instid0(VALU_DEP_2) | instskip(NEXT) | instid1(VALU_DEP_1)
	v_add_co_u32 v3, s12, v3, -1
	v_cndmask_b32_e64 v5, 0, 1, s12
	s_delay_alu instid0(VALU_DEP_3)
	v_lshlrev_b32_e32 v6, 30, v4
	v_lshlrev_b32_e32 v7, 29, v4
	;; [unrolled: 1-line block ×4, first 2 shown]
	v_cmp_ne_u32_e64 s12, 0, v5
	v_not_b32_e32 v5, v6
	v_cmp_gt_i32_e64 s13, 0, v6
	v_not_b32_e32 v6, v7
	v_lshlrev_b32_e32 v28, 26, v4
	v_xor_b32_e32 v3, s12, v3
	v_ashrrev_i32_e32 v5, 31, v5
	v_cmp_gt_i32_e64 s12, 0, v7
	v_not_b32_e32 v7, v17
	v_ashrrev_i32_e32 v6, 31, v6
	v_and_b32_e32 v3, exec_lo, v3
	v_xor_b32_e32 v5, s13, v5
	v_cmp_gt_i32_e64 s13, 0, v17
	v_not_b32_e32 v17, v18
	v_ashrrev_i32_e32 v7, 31, v7
	v_xor_b32_e32 v6, s12, v6
	v_and_b32_e32 v3, v3, v5
	v_lshlrev_b32_e32 v29, 25, v4
	v_cmp_gt_i32_e64 s12, 0, v18
	v_not_b32_e32 v5, v28
	v_ashrrev_i32_e32 v17, 31, v17
	v_xor_b32_e32 v7, s13, v7
	v_and_b32_e32 v3, v3, v6
	v_lshlrev_b32_e32 v4, 24, v4
	v_cmp_gt_i32_e64 s13, 0, v28
	v_not_b32_e32 v6, v29
	v_ashrrev_i32_e32 v5, 31, v5
	v_xor_b32_e32 v17, s12, v17
	v_and_b32_e32 v3, v3, v7
	v_cmp_gt_i32_e64 s12, 0, v29
	v_not_b32_e32 v7, v4
	v_ashrrev_i32_e32 v6, 31, v6
	v_xor_b32_e32 v5, s13, v5
	v_and_b32_e32 v3, v3, v17
	v_cmp_gt_i32_e64 s13, 0, v4
	v_ashrrev_i32_e32 v4, 31, v7
	v_xor_b32_e32 v6, s12, v6
	s_delay_alu instid0(VALU_DEP_4) | instskip(NEXT) | instid1(VALU_DEP_3)
	v_and_b32_e32 v3, v3, v5
	v_xor_b32_e32 v0, s13, v4
	s_delay_alu instid0(VALU_DEP_2)
	v_and_b32_e32 v5, v3, v6
	v_dual_mov_b32 v3, s16 :: v_dual_mov_b32 v4, s17
	ds_store_2addr_b64 v19, v[1:2], v[3:4] offset0:3 offset1:4
	ds_store_2addr_b64 v20, v[1:2], v[3:4] offset0:2 offset1:3
	v_and_b32_e32 v0, v5, v0
	v_bfe_u32 v5, v13, 16, 8
	s_waitcnt lgkmcnt(0)
	s_barrier
	buffer_gl0_inv
	v_mbcnt_lo_u32_b32 v17, v0, 0
	v_mad_u32_u24 v1, v5, 6, v26
	v_cmp_ne_u32_e64 s13, 0, v0
	; wave barrier
	s_delay_alu instid0(VALU_DEP_3) | instskip(NEXT) | instid1(VALU_DEP_3)
	v_cmp_eq_u32_e64 s12, 0, v17
	v_lshl_add_u32 v18, v1, 2, 24
	s_delay_alu instid0(VALU_DEP_2) | instskip(NEXT) | instid1(SALU_CYCLE_1)
	s_and_b32 s13, s13, s12
	s_and_saveexec_b32 s12, s13
	s_cbranch_execz .LBB161_52
; %bb.51:                               ;   in Loop: Header=BB161_2 Depth=1
	v_bcnt_u32_b32 v0, v0, 0
	ds_store_b32 v18, v0
.LBB161_52:                             ;   in Loop: Header=BB161_2 Depth=1
	s_or_b32 exec_lo, exec_lo, s12
	; wave barrier
	s_waitcnt lgkmcnt(0)
	s_barrier
	buffer_gl0_inv
	ds_load_2addr_b64 v[4:7], v19 offset0:3 offset1:4
	ds_load_2addr_b64 v[0:3], v20 offset0:2 offset1:3
	s_waitcnt lgkmcnt(1)
	v_add_nc_u32_e32 v28, v5, v4
	s_delay_alu instid0(VALU_DEP_1) | instskip(SKIP_1) | instid1(VALU_DEP_1)
	v_add3_u32 v28, v28, v6, v7
	s_waitcnt lgkmcnt(0)
	v_add3_u32 v28, v28, v0, v1
	s_delay_alu instid0(VALU_DEP_1) | instskip(NEXT) | instid1(VALU_DEP_1)
	v_add3_u32 v3, v28, v2, v3
	v_mov_b32_dpp v28, v3 row_shr:1 row_mask:0xf bank_mask:0xf
	s_delay_alu instid0(VALU_DEP_1) | instskip(NEXT) | instid1(VALU_DEP_1)
	v_cndmask_b32_e64 v28, v28, 0, s0
	v_add_nc_u32_e32 v3, v28, v3
	s_delay_alu instid0(VALU_DEP_1) | instskip(NEXT) | instid1(VALU_DEP_1)
	v_mov_b32_dpp v28, v3 row_shr:2 row_mask:0xf bank_mask:0xf
	v_cndmask_b32_e64 v28, 0, v28, s1
	s_delay_alu instid0(VALU_DEP_1) | instskip(NEXT) | instid1(VALU_DEP_1)
	v_add_nc_u32_e32 v3, v3, v28
	v_mov_b32_dpp v28, v3 row_shr:4 row_mask:0xf bank_mask:0xf
	s_delay_alu instid0(VALU_DEP_1) | instskip(NEXT) | instid1(VALU_DEP_1)
	v_cndmask_b32_e64 v28, 0, v28, s2
	v_add_nc_u32_e32 v3, v3, v28
	s_delay_alu instid0(VALU_DEP_1) | instskip(NEXT) | instid1(VALU_DEP_1)
	v_mov_b32_dpp v28, v3 row_shr:8 row_mask:0xf bank_mask:0xf
	v_cndmask_b32_e64 v28, 0, v28, s3
	s_delay_alu instid0(VALU_DEP_1) | instskip(SKIP_3) | instid1(VALU_DEP_1)
	v_add_nc_u32_e32 v3, v3, v28
	ds_swizzle_b32 v28, v3 offset:swizzle(BROADCAST,32,15)
	s_waitcnt lgkmcnt(0)
	v_cndmask_b32_e64 v28, v28, 0, s4
	v_add_nc_u32_e32 v3, v3, v28
	s_and_saveexec_b32 s12, s11
	s_cbranch_execz .LBB161_54
; %bb.53:                               ;   in Loop: Header=BB161_2 Depth=1
	ds_store_b32 v21, v3
.LBB161_54:                             ;   in Loop: Header=BB161_2 Depth=1
	s_or_b32 exec_lo, exec_lo, s12
	s_waitcnt lgkmcnt(0)
	s_barrier
	buffer_gl0_inv
	s_and_saveexec_b32 s12, s5
	s_cbranch_execz .LBB161_56
; %bb.55:                               ;   in Loop: Header=BB161_2 Depth=1
	ds_load_b32 v28, v23
	s_waitcnt lgkmcnt(0)
	v_mov_b32_dpp v29, v28 row_shr:1 row_mask:0xf bank_mask:0xf
	s_delay_alu instid0(VALU_DEP_1) | instskip(NEXT) | instid1(VALU_DEP_1)
	v_cndmask_b32_e64 v29, v29, 0, s8
	v_add_nc_u32_e32 v28, v29, v28
	s_delay_alu instid0(VALU_DEP_1) | instskip(NEXT) | instid1(VALU_DEP_1)
	v_mov_b32_dpp v29, v28 row_shr:2 row_mask:0xf bank_mask:0xf
	v_cndmask_b32_e64 v29, 0, v29, s9
	s_delay_alu instid0(VALU_DEP_1) | instskip(NEXT) | instid1(VALU_DEP_1)
	v_add_nc_u32_e32 v28, v28, v29
	v_mov_b32_dpp v29, v28 row_shr:4 row_mask:0xf bank_mask:0xf
	s_delay_alu instid0(VALU_DEP_1) | instskip(NEXT) | instid1(VALU_DEP_1)
	v_cndmask_b32_e64 v29, 0, v29, s10
	v_add_nc_u32_e32 v28, v28, v29
	ds_store_b32 v23, v28
.LBB161_56:                             ;   in Loop: Header=BB161_2 Depth=1
	s_or_b32 exec_lo, exec_lo, s12
	v_mov_b32_e32 v28, 0
	s_waitcnt lgkmcnt(0)
	s_barrier
	buffer_gl0_inv
	s_and_saveexec_b32 s12, s6
	s_cbranch_execz .LBB161_58
; %bb.57:                               ;   in Loop: Header=BB161_2 Depth=1
	ds_load_b32 v28, v24
.LBB161_58:                             ;   in Loop: Header=BB161_2 Depth=1
	s_or_b32 exec_lo, exec_lo, s12
	s_waitcnt lgkmcnt(0)
	v_add_nc_u32_e32 v3, v28, v3
	ds_bpermute_b32 v3, v22, v3
	s_waitcnt lgkmcnt(0)
	v_cndmask_b32_e32 v3, v3, v28, vcc_lo
	s_delay_alu instid0(VALU_DEP_1) | instskip(NEXT) | instid1(VALU_DEP_1)
	v_cndmask_b32_e64 v3, v3, 0, s7
	v_add_nc_u32_e32 v4, v3, v4
	s_delay_alu instid0(VALU_DEP_1) | instskip(NEXT) | instid1(VALU_DEP_1)
	v_add_nc_u32_e32 v5, v4, v5
	v_add_nc_u32_e32 v6, v5, v6
	s_delay_alu instid0(VALU_DEP_1) | instskip(NEXT) | instid1(VALU_DEP_1)
	v_add_nc_u32_e32 v28, v6, v7
	;; [unrolled: 3-line block ×3, first 2 shown]
	v_add_nc_u32_e32 v1, v0, v2
	ds_store_2addr_b64 v19, v[3:4], v[5:6] offset0:3 offset1:4
	ds_store_2addr_b64 v20, v[28:29], v[0:1] offset0:2 offset1:3
	s_waitcnt lgkmcnt(0)
	s_barrier
	buffer_gl0_inv
	ds_load_b32 v0, v18
	v_lshlrev_b32_e32 v1, 3, v17
	s_waitcnt lgkmcnt(0)
	s_barrier
	buffer_gl0_inv
	v_lshl_add_u32 v0, v0, 3, v1
	ds_store_b64 v0, v[13:14]
	s_waitcnt lgkmcnt(0)
	s_barrier
	buffer_gl0_inv
	ds_load_b64 v[13:14], v25
	s_waitcnt lgkmcnt(0)
	s_barrier
	buffer_gl0_inv
	ds_store_b64 v0, v[15:16]
	s_waitcnt lgkmcnt(0)
	s_barrier
	buffer_gl0_inv
	v_bfe_u32 v1, v13, 24, 1
	v_lshrrev_b32_e32 v5, 24, v13
	s_delay_alu instid0(VALU_DEP_2) | instskip(NEXT) | instid1(VALU_DEP_1)
	v_add_co_u32 v1, s12, v1, -1
	v_cndmask_b32_e64 v2, 0, 1, s12
	s_delay_alu instid0(VALU_DEP_3)
	v_lshlrev_b32_e32 v3, 30, v5
	v_lshlrev_b32_e32 v4, 29, v5
	;; [unrolled: 1-line block ×4, first 2 shown]
	v_cmp_ne_u32_e64 s12, 0, v2
	v_not_b32_e32 v2, v3
	v_cmp_gt_i32_e64 s13, 0, v3
	v_not_b32_e32 v3, v4
	v_lshlrev_b32_e32 v17, 26, v5
	v_xor_b32_e32 v1, s12, v1
	v_ashrrev_i32_e32 v2, 31, v2
	v_cmp_gt_i32_e64 s12, 0, v4
	v_not_b32_e32 v4, v6
	v_ashrrev_i32_e32 v3, 31, v3
	v_and_b32_e32 v1, exec_lo, v1
	v_xor_b32_e32 v2, s13, v2
	v_cmp_gt_i32_e64 s13, 0, v6
	v_not_b32_e32 v6, v7
	v_ashrrev_i32_e32 v4, 31, v4
	v_xor_b32_e32 v3, s12, v3
	v_and_b32_e32 v1, v1, v2
	v_lshlrev_b32_e32 v18, 25, v5
	v_cmp_gt_i32_e64 s12, 0, v7
	v_not_b32_e32 v2, v17
	v_ashrrev_i32_e32 v6, 31, v6
	v_xor_b32_e32 v4, s13, v4
	v_and_b32_e32 v1, v1, v3
	v_cmp_gt_i32_e64 s13, 0, v17
	v_not_b32_e32 v3, v18
	v_ashrrev_i32_e32 v2, 31, v2
	v_xor_b32_e32 v6, s12, v6
	v_and_b32_e32 v1, v1, v4
	v_not_b32_e32 v4, v13
	v_cmp_gt_i32_e64 s12, 0, v18
	v_ashrrev_i32_e32 v3, 31, v3
	v_xor_b32_e32 v2, s13, v2
	v_and_b32_e32 v1, v1, v6
	v_cmp_gt_i32_e64 s13, 0, v13
	v_ashrrev_i32_e32 v4, 31, v4
	v_xor_b32_e32 v3, s12, v3
	ds_load_b64 v[17:18], v25
	v_and_b32_e32 v1, v1, v2
	s_waitcnt lgkmcnt(0)
	v_xor_b32_e32 v0, s13, v4
	s_barrier
	buffer_gl0_inv
	v_and_b32_e32 v3, v1, v3
	v_dual_mov_b32 v1, s22 :: v_dual_mov_b32 v2, s23
	s_delay_alu instid0(VALU_DEP_2)
	v_dual_mov_b32 v3, s16 :: v_dual_and_b32 v0, v3, v0
	v_mov_b32_e32 v4, s17
	ds_store_2addr_b64 v19, v[1:2], v[3:4] offset0:3 offset1:4
	ds_store_2addr_b64 v20, v[1:2], v[3:4] offset0:2 offset1:3
	v_mbcnt_lo_u32_b32 v15, v0, 0
	v_mad_u32_u24 v1, v5, 6, v26
	v_cmp_ne_u32_e64 s13, 0, v0
	s_waitcnt lgkmcnt(0)
	s_barrier
	v_cmp_eq_u32_e64 s12, 0, v15
	v_lshl_add_u32 v16, v1, 2, 24
	buffer_gl0_inv
	; wave barrier
	s_and_b32 s13, s13, s12
	s_delay_alu instid0(SALU_CYCLE_1)
	s_and_saveexec_b32 s12, s13
	s_cbranch_execz .LBB161_60
; %bb.59:                               ;   in Loop: Header=BB161_2 Depth=1
	v_bcnt_u32_b32 v0, v0, 0
	ds_store_b32 v16, v0
.LBB161_60:                             ;   in Loop: Header=BB161_2 Depth=1
	s_or_b32 exec_lo, exec_lo, s12
	; wave barrier
	s_waitcnt lgkmcnt(0)
	s_barrier
	buffer_gl0_inv
	ds_load_2addr_b64 v[4:7], v19 offset0:3 offset1:4
	ds_load_2addr_b64 v[0:3], v20 offset0:2 offset1:3
	s_waitcnt lgkmcnt(1)
	v_add_nc_u32_e32 v28, v5, v4
	s_delay_alu instid0(VALU_DEP_1) | instskip(SKIP_1) | instid1(VALU_DEP_1)
	v_add3_u32 v28, v28, v6, v7
	s_waitcnt lgkmcnt(0)
	v_add3_u32 v28, v28, v0, v1
	s_delay_alu instid0(VALU_DEP_1) | instskip(NEXT) | instid1(VALU_DEP_1)
	v_add3_u32 v3, v28, v2, v3
	v_mov_b32_dpp v28, v3 row_shr:1 row_mask:0xf bank_mask:0xf
	s_delay_alu instid0(VALU_DEP_1) | instskip(NEXT) | instid1(VALU_DEP_1)
	v_cndmask_b32_e64 v28, v28, 0, s0
	v_add_nc_u32_e32 v3, v28, v3
	s_delay_alu instid0(VALU_DEP_1) | instskip(NEXT) | instid1(VALU_DEP_1)
	v_mov_b32_dpp v28, v3 row_shr:2 row_mask:0xf bank_mask:0xf
	v_cndmask_b32_e64 v28, 0, v28, s1
	s_delay_alu instid0(VALU_DEP_1) | instskip(NEXT) | instid1(VALU_DEP_1)
	v_add_nc_u32_e32 v3, v3, v28
	v_mov_b32_dpp v28, v3 row_shr:4 row_mask:0xf bank_mask:0xf
	s_delay_alu instid0(VALU_DEP_1) | instskip(NEXT) | instid1(VALU_DEP_1)
	v_cndmask_b32_e64 v28, 0, v28, s2
	v_add_nc_u32_e32 v3, v3, v28
	s_delay_alu instid0(VALU_DEP_1) | instskip(NEXT) | instid1(VALU_DEP_1)
	v_mov_b32_dpp v28, v3 row_shr:8 row_mask:0xf bank_mask:0xf
	v_cndmask_b32_e64 v28, 0, v28, s3
	s_delay_alu instid0(VALU_DEP_1) | instskip(SKIP_3) | instid1(VALU_DEP_1)
	v_add_nc_u32_e32 v3, v3, v28
	ds_swizzle_b32 v28, v3 offset:swizzle(BROADCAST,32,15)
	s_waitcnt lgkmcnt(0)
	v_cndmask_b32_e64 v28, v28, 0, s4
	v_add_nc_u32_e32 v3, v3, v28
	s_and_saveexec_b32 s12, s11
	s_cbranch_execz .LBB161_62
; %bb.61:                               ;   in Loop: Header=BB161_2 Depth=1
	ds_store_b32 v21, v3
.LBB161_62:                             ;   in Loop: Header=BB161_2 Depth=1
	s_or_b32 exec_lo, exec_lo, s12
	s_waitcnt lgkmcnt(0)
	s_barrier
	buffer_gl0_inv
	s_and_saveexec_b32 s12, s5
	s_cbranch_execz .LBB161_64
; %bb.63:                               ;   in Loop: Header=BB161_2 Depth=1
	ds_load_b32 v28, v23
	s_waitcnt lgkmcnt(0)
	v_mov_b32_dpp v29, v28 row_shr:1 row_mask:0xf bank_mask:0xf
	s_delay_alu instid0(VALU_DEP_1) | instskip(NEXT) | instid1(VALU_DEP_1)
	v_cndmask_b32_e64 v29, v29, 0, s8
	v_add_nc_u32_e32 v28, v29, v28
	s_delay_alu instid0(VALU_DEP_1) | instskip(NEXT) | instid1(VALU_DEP_1)
	v_mov_b32_dpp v29, v28 row_shr:2 row_mask:0xf bank_mask:0xf
	v_cndmask_b32_e64 v29, 0, v29, s9
	s_delay_alu instid0(VALU_DEP_1) | instskip(NEXT) | instid1(VALU_DEP_1)
	v_add_nc_u32_e32 v28, v28, v29
	v_mov_b32_dpp v29, v28 row_shr:4 row_mask:0xf bank_mask:0xf
	s_delay_alu instid0(VALU_DEP_1) | instskip(NEXT) | instid1(VALU_DEP_1)
	v_cndmask_b32_e64 v29, 0, v29, s10
	v_add_nc_u32_e32 v28, v28, v29
	ds_store_b32 v23, v28
.LBB161_64:                             ;   in Loop: Header=BB161_2 Depth=1
	s_or_b32 exec_lo, exec_lo, s12
	v_mov_b32_e32 v28, 0
	s_waitcnt lgkmcnt(0)
	s_barrier
	buffer_gl0_inv
	s_and_saveexec_b32 s12, s6
	s_cbranch_execz .LBB161_1
; %bb.65:                               ;   in Loop: Header=BB161_2 Depth=1
	ds_load_b32 v28, v24
	s_branch .LBB161_1
.LBB161_66:
	s_waitcnt lgkmcnt(0)
	v_add3_u32 v0, v13, v15, 0x80000000
	v_add3_u32 v1, v14, v16, 0x80000000
	v_lshlrev_b32_e32 v2, 3, v8
	s_add_u32 s0, s18, s20
	s_addc_u32 s1, s19, s21
	global_store_b64 v2, v[0:1], s[0:1]
	s_nop 0
	s_sendmsg sendmsg(MSG_DEALLOC_VGPRS)
	s_endpgm
	.section	.rodata,"a",@progbits
	.p2align	6, 0x0
	.amdhsa_kernel _Z17sort_pairs_kernelI22helper_blocked_blockedN15benchmark_utils11custom_typeIiiEELj192ELj1ELj10EEvPKT0_PS4_
		.amdhsa_group_segment_fixed_size 6176
		.amdhsa_private_segment_fixed_size 0
		.amdhsa_kernarg_size 272
		.amdhsa_user_sgpr_count 15
		.amdhsa_user_sgpr_dispatch_ptr 0
		.amdhsa_user_sgpr_queue_ptr 0
		.amdhsa_user_sgpr_kernarg_segment_ptr 1
		.amdhsa_user_sgpr_dispatch_id 0
		.amdhsa_user_sgpr_private_segment_size 0
		.amdhsa_wavefront_size32 1
		.amdhsa_uses_dynamic_stack 0
		.amdhsa_enable_private_segment 0
		.amdhsa_system_sgpr_workgroup_id_x 1
		.amdhsa_system_sgpr_workgroup_id_y 0
		.amdhsa_system_sgpr_workgroup_id_z 0
		.amdhsa_system_sgpr_workgroup_info 0
		.amdhsa_system_vgpr_workitem_id 2
		.amdhsa_next_free_vgpr 30
		.amdhsa_next_free_sgpr 24
		.amdhsa_reserve_vcc 1
		.amdhsa_float_round_mode_32 0
		.amdhsa_float_round_mode_16_64 0
		.amdhsa_float_denorm_mode_32 3
		.amdhsa_float_denorm_mode_16_64 3
		.amdhsa_dx10_clamp 1
		.amdhsa_ieee_mode 1
		.amdhsa_fp16_overflow 0
		.amdhsa_workgroup_processor_mode 1
		.amdhsa_memory_ordered 1
		.amdhsa_forward_progress 0
		.amdhsa_shared_vgpr_count 0
		.amdhsa_exception_fp_ieee_invalid_op 0
		.amdhsa_exception_fp_denorm_src 0
		.amdhsa_exception_fp_ieee_div_zero 0
		.amdhsa_exception_fp_ieee_overflow 0
		.amdhsa_exception_fp_ieee_underflow 0
		.amdhsa_exception_fp_ieee_inexact 0
		.amdhsa_exception_int_div_zero 0
	.end_amdhsa_kernel
	.section	.text._Z17sort_pairs_kernelI22helper_blocked_blockedN15benchmark_utils11custom_typeIiiEELj192ELj1ELj10EEvPKT0_PS4_,"axG",@progbits,_Z17sort_pairs_kernelI22helper_blocked_blockedN15benchmark_utils11custom_typeIiiEELj192ELj1ELj10EEvPKT0_PS4_,comdat
.Lfunc_end161:
	.size	_Z17sort_pairs_kernelI22helper_blocked_blockedN15benchmark_utils11custom_typeIiiEELj192ELj1ELj10EEvPKT0_PS4_, .Lfunc_end161-_Z17sort_pairs_kernelI22helper_blocked_blockedN15benchmark_utils11custom_typeIiiEELj192ELj1ELj10EEvPKT0_PS4_
                                        ; -- End function
	.section	.AMDGPU.csdata,"",@progbits
; Kernel info:
; codeLenInByte = 8536
; NumSgprs: 26
; NumVgprs: 30
; ScratchSize: 0
; MemoryBound: 0
; FloatMode: 240
; IeeeMode: 1
; LDSByteSize: 6176 bytes/workgroup (compile time only)
; SGPRBlocks: 3
; VGPRBlocks: 3
; NumSGPRsForWavesPerEU: 26
; NumVGPRsForWavesPerEU: 30
; Occupancy: 15
; WaveLimiterHint : 0
; COMPUTE_PGM_RSRC2:SCRATCH_EN: 0
; COMPUTE_PGM_RSRC2:USER_SGPR: 15
; COMPUTE_PGM_RSRC2:TRAP_HANDLER: 0
; COMPUTE_PGM_RSRC2:TGID_X_EN: 1
; COMPUTE_PGM_RSRC2:TGID_Y_EN: 0
; COMPUTE_PGM_RSRC2:TGID_Z_EN: 0
; COMPUTE_PGM_RSRC2:TIDIG_COMP_CNT: 2
	.section	.text._Z16sort_keys_kernelI22helper_blocked_blockedN15benchmark_utils11custom_typeIiiEELj192ELj3ELj10EEvPKT0_PS4_,"axG",@progbits,_Z16sort_keys_kernelI22helper_blocked_blockedN15benchmark_utils11custom_typeIiiEELj192ELj3ELj10EEvPKT0_PS4_,comdat
	.protected	_Z16sort_keys_kernelI22helper_blocked_blockedN15benchmark_utils11custom_typeIiiEELj192ELj3ELj10EEvPKT0_PS4_ ; -- Begin function _Z16sort_keys_kernelI22helper_blocked_blockedN15benchmark_utils11custom_typeIiiEELj192ELj3ELj10EEvPKT0_PS4_
	.globl	_Z16sort_keys_kernelI22helper_blocked_blockedN15benchmark_utils11custom_typeIiiEELj192ELj3ELj10EEvPKT0_PS4_
	.p2align	8
	.type	_Z16sort_keys_kernelI22helper_blocked_blockedN15benchmark_utils11custom_typeIiiEELj192ELj3ELj10EEvPKT0_PS4_,@function
_Z16sort_keys_kernelI22helper_blocked_blockedN15benchmark_utils11custom_typeIiiEELj192ELj3ELj10EEvPKT0_PS4_: ; @_Z16sort_keys_kernelI22helper_blocked_blockedN15benchmark_utils11custom_typeIiiEELj192ELj3ELj10EEvPKT0_PS4_
; %bb.0:
	s_clause 0x1
	s_load_b128 s[16:19], s[0:1], 0x0
	s_load_b32 s2, s[0:1], 0x1c
	s_mov_b32 s23, 0
	s_mul_i32 s22, s15, 0x240
	v_bfe_u32 v9, v0, 10, 10
	s_lshl_b64 s[20:21], s[22:23], 3
	s_mov_b32 s22, s23
	v_and_b32_e32 v8, 0x3ff, v0
	v_bfe_u32 v0, v0, 20, 10
	v_mbcnt_lo_u32_b32 v12, -1, 0
	s_mov_b32 s14, s23
	s_mov_b32 s15, s23
	v_lshlrev_b32_e32 v5, 3, v8
	v_lshrrev_b32_e32 v7, 5, v8
	v_and_b32_e32 v14, 16, v12
	v_cmp_eq_u32_e64 s8, 0, v12
	s_delay_alu instid0(VALU_DEP_3) | instskip(NEXT) | instid1(VALU_DEP_3)
	v_mul_u32_u24_e32 v11, 0x60, v7
	v_cmp_eq_u32_e64 s4, 0, v14
	s_waitcnt lgkmcnt(0)
	s_add_u32 s0, s16, s20
	s_addc_u32 s1, s17, s21
	s_clause 0x2
	global_load_b64 v[1:2], v5, s[0:1]
	global_load_b64 v[3:4], v5, s[0:1] offset:1536
	global_load_b64 v[5:6], v5, s[0:1] offset:3072
	s_lshr_b32 s0, s2, 16
	v_lshlrev_b32_e32 v13, 3, v11
	v_mad_u32_u24 v0, v0, s0, v9
	s_and_b32 s0, s2, 0xffff
	v_lshlrev_b32_e32 v25, 2, v7
	s_delay_alu instid0(VALU_DEP_3)
	v_mad_u32_u24 v21, v12, 24, v13
	v_add_nc_u32_e32 v13, -1, v12
	v_mad_u64_u32 v[9:10], null, v0, s0, v[8:9]
	v_or_b32_e32 v0, v12, v11
	v_and_b32_e32 v11, 0xe0, v8
	v_and_b32_e32 v10, 15, v12
	v_cmp_gt_i32_e32 vcc_lo, 0, v13
	v_add_nc_u32_e32 v27, -4, v25
	v_lshlrev_b32_e32 v22, 3, v0
	v_min_u32_e32 v0, 0xa0, v11
	v_cmp_eq_u32_e64 s0, 0, v10
	v_cmp_lt_u32_e64 s1, 1, v10
	v_cmp_lt_u32_e64 s2, 3, v10
	;; [unrolled: 1-line block ×3, first 2 shown]
	v_cndmask_b32_e32 v10, v13, v12, vcc_lo
	v_or_b32_e32 v0, 31, v0
	v_lshrrev_b32_e32 v9, 5, v9
	s_delay_alu instid0(VALU_DEP_3) | instskip(SKIP_1) | instid1(VALU_DEP_4)
	v_lshlrev_b32_e32 v24, 2, v10
	v_and_b32_e32 v10, 7, v12
	v_cmp_eq_u32_e64 s5, v0, v8
	v_mul_u32_u24_e32 v0, 3, v11
	s_delay_alu instid0(VALU_DEP_3)
	v_cmp_eq_u32_e64 s10, 0, v10
	v_cmp_lt_u32_e64 s11, 1, v10
	v_cmp_lt_u32_e64 s12, 3, v10
	v_mov_b32_e32 v10, s22
	v_or_b32_e32 v0, v12, v0
	v_dual_mov_b32 v11, s23 :: v_dual_lshlrev_b32 v20, 5, v8
	v_dual_mov_b32 v12, s14 :: v_dual_mov_b32 v13, s15
	s_delay_alu instid0(VALU_DEP_3) | instskip(SKIP_1) | instid1(VALU_DEP_4)
	v_lshlrev_b32_e32 v28, 3, v0
	v_mul_u32_u24_e32 v0, 20, v8
	v_mad_i32_i24 v26, 0xffffffe4, v8, v20
	v_or_b32_e32 v23, 24, v20
	v_cmp_gt_u32_e64 s6, 6, v8
	v_cmp_lt_u32_e64 s7, 31, v8
	v_cmp_eq_u32_e64 s9, 0, v8
	v_add_nc_u32_e32 v29, v26, v0
	s_branch .LBB162_2
.LBB162_1:                              ;   in Loop: Header=BB162_2 Depth=1
	s_barrier
	buffer_gl0_inv
	ds_store_b64 v6, v[14:15]
	ds_store_b64 v7, v[18:19]
	;; [unrolled: 1-line block ×3, first 2 shown]
	s_waitcnt lgkmcnt(0)
	s_barrier
	buffer_gl0_inv
	ds_load_2addr_b64 v[1:4], v29 offset1:1
	ds_load_b64 v[5:6], v29 offset:16
	s_add_i32 s23, s23, 1
	s_delay_alu instid0(SALU_CYCLE_1)
	s_cmp_eq_u32 s23, 10
	s_waitcnt lgkmcnt(1)
	v_xor_b32_e32 v1, 0x80000000, v1
	v_xor_b32_e32 v2, 0x80000000, v2
	;; [unrolled: 1-line block ×4, first 2 shown]
	s_waitcnt lgkmcnt(0)
	v_xor_b32_e32 v5, 0x80000000, v5
	v_xor_b32_e32 v6, 0x80000000, v6
	s_cbranch_scc1 .LBB162_18
.LBB162_2:                              ; =>This Loop Header: Depth=1
                                        ;     Child Loop BB162_4 Depth 2
	s_waitcnt vmcnt(2)
	v_xor_b32_e32 v2, 0x80000000, v2
	v_xor_b32_e32 v1, 0x80000000, v1
	s_waitcnt vmcnt(1)
	v_xor_b32_e32 v4, 0x80000000, v4
	v_xor_b32_e32 v3, 0x80000000, v3
	;; [unrolled: 3-line block ×3, first 2 shown]
	ds_store_2addr_b64 v21, v[1:2], v[3:4] offset1:1
	ds_store_b64 v21, v[5:6] offset:16
	; wave barrier
	ds_load_2addr_b64 v[0:3], v22 offset1:32
	ds_load_b64 v[4:5], v22 offset:512
	s_mov_b32 s16, 8
	s_mov_b32 s17, 32
	;; [unrolled: 1-line block ×3, first 2 shown]
	s_waitcnt lgkmcnt(0)
	s_barrier
	buffer_gl0_inv
	; wave barrier
	s_barrier
	s_branch .LBB162_4
.LBB162_3:                              ;   in Loop: Header=BB162_4 Depth=2
	s_barrier
	buffer_gl0_inv
	ds_store_b64 v6, v[14:15]
	ds_store_b64 v7, v[18:19]
	;; [unrolled: 1-line block ×3, first 2 shown]
	s_waitcnt lgkmcnt(0)
	s_barrier
	buffer_gl0_inv
	ds_load_2addr_b64 v[0:3], v28 offset1:32
	ds_load_b64 v[4:5], v28 offset:512
	s_add_i32 s17, s17, -8
	s_add_i32 s16, s16, 8
	s_add_i32 s22, s22, 8
	s_waitcnt lgkmcnt(0)
	s_barrier
	s_cbranch_execz .LBB162_1
.LBB162_4:                              ;   Parent Loop BB162_2 Depth=1
                                        ; =>  This Inner Loop Header: Depth=2
	s_min_i32 s14, s16, 32
	s_cmp_lt_u32 s22, 32
	v_dual_mov_b32 v15, v1 :: v_dual_mov_b32 v14, v0
	s_cselect_b32 vcc_lo, -1, 0
	s_cmp_gt_u32 s22, 24
	buffer_gl0_inv
	s_cselect_b32 s13, -1, 0
	s_sub_i32 s14, s14, 32
	v_lshrrev_b32_e32 v1, s22, v15
	s_add_i32 s15, s14, s17
	ds_store_2addr_b64 v20, v[10:11], v[12:13] offset0:3 offset1:4
	ds_store_2addr_b64 v23, v[10:11], v[12:13] offset0:2 offset1:3
	s_lshl_b32 s15, -1, s15
	s_waitcnt lgkmcnt(0)
	s_not_b32 s15, s15
	s_cmp_lg_u32 s14, s22
	s_barrier
	s_cselect_b32 s24, s15, -1
	s_max_i32 s25, s17, 0
	s_max_i32 s14, s22, 32
	v_and_b32_e32 v1, s24, v1
	s_sub_i32 s15, s14, s25
	s_sub_i32 s26, s14, 32
	;; [unrolled: 1-line block ×3, first 2 shown]
	v_lshrrev_b32_e32 v0, s26, v14
	s_min_i32 s14, s15, 32
	buffer_gl0_inv
	s_sub_i32 s14, s14, s26
	s_delay_alu instid0(SALU_CYCLE_1) | instskip(NEXT) | instid1(SALU_CYCLE_1)
	s_lshl_b32 s15, -1, s14
	; wave barrier
	s_not_b32 s15, s15
	s_cmp_lg_u32 s14, 32
	v_cndmask_b32_e32 v1, 0, v1, vcc_lo
	s_cselect_b32 s27, s15, -1
	s_delay_alu instid0(SALU_CYCLE_1) | instskip(NEXT) | instid1(VALU_DEP_1)
	v_and_b32_e32 v0, s27, v0
	v_lshlrev_b32_e32 v0, s25, v0
	s_delay_alu instid0(VALU_DEP_1) | instskip(NEXT) | instid1(VALU_DEP_1)
	v_cndmask_b32_e64 v0, 0, v0, s13
	v_or_b32_e32 v6, v1, v0
	s_delay_alu instid0(VALU_DEP_1)
	v_and_b32_e32 v0, 1, v6
	v_lshlrev_b32_e32 v1, 30, v6
	v_lshlrev_b32_e32 v7, 29, v6
	;; [unrolled: 1-line block ×4, first 2 shown]
	v_add_co_u32 v0, s14, v0, -1
	s_delay_alu instid0(VALU_DEP_1)
	v_cndmask_b32_e64 v17, 0, 1, s14
	v_not_b32_e32 v31, v1
	v_cmp_gt_i32_e64 s15, 0, v1
	v_not_b32_e32 v1, v7
	v_lshlrev_b32_e32 v19, 26, v6
	v_cmp_ne_u32_e64 s14, 0, v17
	v_ashrrev_i32_e32 v31, 31, v31
	v_lshlrev_b32_e32 v30, 25, v6
	v_ashrrev_i32_e32 v1, 31, v1
	v_lshlrev_b32_e32 v17, 24, v6
	v_xor_b32_e32 v0, s14, v0
	v_cmp_gt_i32_e64 s14, 0, v7
	v_not_b32_e32 v7, v16
	v_xor_b32_e32 v31, s15, v31
	v_cmp_gt_i32_e64 s15, 0, v16
	v_and_b32_e32 v0, exec_lo, v0
	v_not_b32_e32 v16, v18
	v_ashrrev_i32_e32 v7, 31, v7
	v_xor_b32_e32 v1, s14, v1
	v_cmp_gt_i32_e64 s14, 0, v18
	v_and_b32_e32 v0, v0, v31
	v_not_b32_e32 v18, v19
	v_ashrrev_i32_e32 v16, 31, v16
	v_xor_b32_e32 v7, s15, v7
	v_cmp_gt_i32_e64 s15, 0, v19
	v_and_b32_e32 v0, v0, v1
	;; [unrolled: 5-line block ×4, first 2 shown]
	v_ashrrev_i32_e32 v7, 31, v7
	v_xor_b32_e32 v1, s14, v1
	v_dual_mov_b32 v17, v5 :: v_dual_mov_b32 v16, v4
	s_delay_alu instid0(VALU_DEP_4) | instskip(NEXT) | instid1(VALU_DEP_4)
	v_and_b32_e32 v0, v0, v18
	v_xor_b32_e32 v7, s15, v7
	v_dual_mov_b32 v19, v3 :: v_dual_mov_b32 v18, v2
	s_delay_alu instid0(VALU_DEP_3) | instskip(SKIP_1) | instid1(VALU_DEP_2)
	v_and_b32_e32 v0, v0, v1
	v_mad_u64_u32 v[1:2], null, v6, 6, v[9:10]
	v_and_b32_e32 v0, v0, v7
	s_delay_alu instid0(VALU_DEP_2) | instskip(NEXT) | instid1(VALU_DEP_2)
	v_lshl_add_u32 v31, v1, 2, 24
	v_mbcnt_lo_u32_b32 v30, v0, 0
	v_cmp_ne_u32_e64 s15, 0, v0
	s_delay_alu instid0(VALU_DEP_2) | instskip(NEXT) | instid1(VALU_DEP_1)
	v_cmp_eq_u32_e64 s14, 0, v30
	s_and_b32 s15, s14, s15
	s_delay_alu instid0(SALU_CYCLE_1)
	s_and_saveexec_b32 s14, s15
	s_cbranch_execz .LBB162_6
; %bb.5:                                ;   in Loop: Header=BB162_4 Depth=2
	v_bcnt_u32_b32 v0, v0, 0
	ds_store_b32 v31, v0
.LBB162_6:                              ;   in Loop: Header=BB162_4 Depth=2
	s_or_b32 exec_lo, exec_lo, s14
	v_lshrrev_b32_e32 v0, s26, v18
	v_lshrrev_b32_e32 v1, s22, v19
	; wave barrier
	s_delay_alu instid0(VALU_DEP_1) | instskip(NEXT) | instid1(VALU_DEP_1)
	v_and_b32_e32 v1, s24, v1
	v_dual_cndmask_b32 v1, 0, v1 :: v_dual_and_b32 v0, s27, v0
	s_delay_alu instid0(VALU_DEP_1) | instskip(NEXT) | instid1(VALU_DEP_1)
	v_lshlrev_b32_e32 v0, s25, v0
	v_cndmask_b32_e64 v0, 0, v0, s13
	s_delay_alu instid0(VALU_DEP_1) | instskip(NEXT) | instid1(VALU_DEP_1)
	v_or_b32_e32 v0, v1, v0
	v_and_b32_e32 v2, 1, v0
	v_lshlrev_b32_e32 v3, 30, v0
	v_lshlrev_b32_e32 v4, 29, v0
	;; [unrolled: 1-line block ×4, first 2 shown]
	v_add_co_u32 v2, s14, v2, -1
	s_delay_alu instid0(VALU_DEP_1)
	v_cndmask_b32_e64 v6, 0, 1, s14
	v_not_b32_e32 v34, v3
	v_cmp_gt_i32_e64 s15, 0, v3
	v_not_b32_e32 v3, v4
	v_lshlrev_b32_e32 v32, 26, v0
	v_cmp_ne_u32_e64 s14, 0, v6
	v_ashrrev_i32_e32 v6, 31, v34
	v_lshlrev_b32_e32 v33, 25, v0
	v_ashrrev_i32_e32 v3, 31, v3
	v_mul_lo_u32 v1, v0, 6
	v_xor_b32_e32 v2, s14, v2
	v_cmp_gt_i32_e64 s14, 0, v4
	v_not_b32_e32 v4, v5
	v_xor_b32_e32 v6, s15, v6
	v_cmp_gt_i32_e64 s15, 0, v5
	v_and_b32_e32 v2, exec_lo, v2
	v_not_b32_e32 v5, v7
	v_ashrrev_i32_e32 v4, 31, v4
	v_xor_b32_e32 v3, s14, v3
	v_cmp_gt_i32_e64 s14, 0, v7
	v_and_b32_e32 v2, v2, v6
	v_not_b32_e32 v6, v32
	v_ashrrev_i32_e32 v5, 31, v5
	v_xor_b32_e32 v4, s15, v4
	v_lshlrev_b32_e32 v0, 24, v0
	v_and_b32_e32 v2, v2, v3
	v_cmp_gt_i32_e64 s15, 0, v32
	v_not_b32_e32 v3, v33
	v_ashrrev_i32_e32 v6, 31, v6
	v_xor_b32_e32 v5, s14, v5
	v_and_b32_e32 v2, v2, v4
	v_cmp_gt_i32_e64 s14, 0, v33
	v_not_b32_e32 v4, v0
	v_ashrrev_i32_e32 v3, 31, v3
	v_xor_b32_e32 v6, s15, v6
	v_and_b32_e32 v2, v2, v5
	v_cmp_gt_i32_e64 s15, 0, v0
	v_ashrrev_i32_e32 v0, 31, v4
	v_xor_b32_e32 v3, s14, v3
	v_add_lshl_u32 v1, v1, v9, 2
	v_and_b32_e32 v2, v2, v6
	s_delay_alu instid0(VALU_DEP_4) | instskip(SKIP_3) | instid1(VALU_DEP_2)
	v_xor_b32_e32 v0, s15, v0
	ds_load_b32 v32, v1 offset:24
	v_and_b32_e32 v2, v2, v3
	v_add_nc_u32_e32 v34, 24, v1
	; wave barrier
	v_and_b32_e32 v0, v2, v0
	s_delay_alu instid0(VALU_DEP_1) | instskip(SKIP_1) | instid1(VALU_DEP_2)
	v_mbcnt_lo_u32_b32 v33, v0, 0
	v_cmp_ne_u32_e64 s15, 0, v0
	v_cmp_eq_u32_e64 s14, 0, v33
	s_delay_alu instid0(VALU_DEP_1) | instskip(NEXT) | instid1(SALU_CYCLE_1)
	s_and_b32 s15, s14, s15
	s_and_saveexec_b32 s14, s15
	s_cbranch_execz .LBB162_8
; %bb.7:                                ;   in Loop: Header=BB162_4 Depth=2
	s_waitcnt lgkmcnt(0)
	v_bcnt_u32_b32 v0, v0, v32
	ds_store_b32 v34, v0
.LBB162_8:                              ;   in Loop: Header=BB162_4 Depth=2
	s_or_b32 exec_lo, exec_lo, s14
	v_lshrrev_b32_e32 v0, s26, v16
	v_lshrrev_b32_e32 v1, s22, v17
	; wave barrier
	s_delay_alu instid0(VALU_DEP_1) | instskip(NEXT) | instid1(VALU_DEP_1)
	v_and_b32_e32 v1, s24, v1
	v_dual_cndmask_b32 v1, 0, v1 :: v_dual_and_b32 v0, s27, v0
	s_delay_alu instid0(VALU_DEP_1) | instskip(NEXT) | instid1(VALU_DEP_1)
	v_lshlrev_b32_e32 v0, s25, v0
	v_cndmask_b32_e64 v0, 0, v0, s13
	s_delay_alu instid0(VALU_DEP_1) | instskip(NEXT) | instid1(VALU_DEP_1)
	v_or_b32_e32 v0, v1, v0
	v_and_b32_e32 v2, 1, v0
	v_lshlrev_b32_e32 v3, 30, v0
	v_lshlrev_b32_e32 v4, 29, v0
	;; [unrolled: 1-line block ×4, first 2 shown]
	v_add_co_u32 v2, s13, v2, -1
	s_delay_alu instid0(VALU_DEP_1)
	v_cndmask_b32_e64 v6, 0, 1, s13
	v_not_b32_e32 v37, v3
	v_cmp_gt_i32_e64 s13, 0, v3
	v_not_b32_e32 v3, v4
	v_lshlrev_b32_e32 v35, 26, v0
	v_cmp_ne_u32_e32 vcc_lo, 0, v6
	v_ashrrev_i32_e32 v6, 31, v37
	v_lshlrev_b32_e32 v36, 25, v0
	v_ashrrev_i32_e32 v3, 31, v3
	v_mul_lo_u32 v1, v0, 6
	v_xor_b32_e32 v2, vcc_lo, v2
	v_cmp_gt_i32_e32 vcc_lo, 0, v4
	v_not_b32_e32 v4, v5
	v_xor_b32_e32 v6, s13, v6
	v_cmp_gt_i32_e64 s13, 0, v5
	v_and_b32_e32 v2, exec_lo, v2
	v_not_b32_e32 v5, v7
	v_ashrrev_i32_e32 v4, 31, v4
	v_xor_b32_e32 v3, vcc_lo, v3
	v_cmp_gt_i32_e32 vcc_lo, 0, v7
	v_and_b32_e32 v2, v2, v6
	v_not_b32_e32 v6, v35
	v_ashrrev_i32_e32 v5, 31, v5
	v_xor_b32_e32 v4, s13, v4
	v_lshlrev_b32_e32 v0, 24, v0
	v_and_b32_e32 v2, v2, v3
	v_cmp_gt_i32_e64 s13, 0, v35
	v_not_b32_e32 v3, v36
	v_ashrrev_i32_e32 v6, 31, v6
	v_xor_b32_e32 v5, vcc_lo, v5
	v_and_b32_e32 v2, v2, v4
	v_cmp_gt_i32_e32 vcc_lo, 0, v36
	v_not_b32_e32 v4, v0
	v_ashrrev_i32_e32 v3, 31, v3
	v_xor_b32_e32 v6, s13, v6
	v_and_b32_e32 v2, v2, v5
	v_cmp_gt_i32_e64 s13, 0, v0
	v_ashrrev_i32_e32 v0, 31, v4
	v_xor_b32_e32 v3, vcc_lo, v3
	v_add_lshl_u32 v1, v1, v9, 2
	v_and_b32_e32 v2, v2, v6
	s_delay_alu instid0(VALU_DEP_4) | instskip(SKIP_3) | instid1(VALU_DEP_2)
	v_xor_b32_e32 v0, s13, v0
	ds_load_b32 v35, v1 offset:24
	v_and_b32_e32 v2, v2, v3
	v_add_nc_u32_e32 v37, 24, v1
	; wave barrier
	v_and_b32_e32 v0, v2, v0
	s_delay_alu instid0(VALU_DEP_1) | instskip(SKIP_1) | instid1(VALU_DEP_2)
	v_mbcnt_lo_u32_b32 v36, v0, 0
	v_cmp_ne_u32_e64 s13, 0, v0
	v_cmp_eq_u32_e32 vcc_lo, 0, v36
	s_delay_alu instid0(VALU_DEP_2) | instskip(NEXT) | instid1(SALU_CYCLE_1)
	s_and_b32 s14, vcc_lo, s13
	s_and_saveexec_b32 s13, s14
	s_cbranch_execz .LBB162_10
; %bb.9:                                ;   in Loop: Header=BB162_4 Depth=2
	s_waitcnt lgkmcnt(0)
	v_bcnt_u32_b32 v0, v0, v35
	ds_store_b32 v37, v0
.LBB162_10:                             ;   in Loop: Header=BB162_4 Depth=2
	s_or_b32 exec_lo, exec_lo, s13
	; wave barrier
	s_waitcnt lgkmcnt(0)
	s_barrier
	buffer_gl0_inv
	ds_load_2addr_b64 v[4:7], v20 offset0:3 offset1:4
	ds_load_2addr_b64 v[0:3], v23 offset0:2 offset1:3
	s_waitcnt lgkmcnt(1)
	v_add_nc_u32_e32 v38, v5, v4
	s_delay_alu instid0(VALU_DEP_1) | instskip(SKIP_1) | instid1(VALU_DEP_1)
	v_add3_u32 v38, v38, v6, v7
	s_waitcnt lgkmcnt(0)
	v_add3_u32 v38, v38, v0, v1
	s_delay_alu instid0(VALU_DEP_1) | instskip(NEXT) | instid1(VALU_DEP_1)
	v_add3_u32 v3, v38, v2, v3
	v_mov_b32_dpp v38, v3 row_shr:1 row_mask:0xf bank_mask:0xf
	s_delay_alu instid0(VALU_DEP_1) | instskip(NEXT) | instid1(VALU_DEP_1)
	v_cndmask_b32_e64 v38, v38, 0, s0
	v_add_nc_u32_e32 v3, v38, v3
	s_delay_alu instid0(VALU_DEP_1) | instskip(NEXT) | instid1(VALU_DEP_1)
	v_mov_b32_dpp v38, v3 row_shr:2 row_mask:0xf bank_mask:0xf
	v_cndmask_b32_e64 v38, 0, v38, s1
	s_delay_alu instid0(VALU_DEP_1) | instskip(NEXT) | instid1(VALU_DEP_1)
	v_add_nc_u32_e32 v3, v3, v38
	v_mov_b32_dpp v38, v3 row_shr:4 row_mask:0xf bank_mask:0xf
	s_delay_alu instid0(VALU_DEP_1) | instskip(NEXT) | instid1(VALU_DEP_1)
	v_cndmask_b32_e64 v38, 0, v38, s2
	v_add_nc_u32_e32 v3, v3, v38
	s_delay_alu instid0(VALU_DEP_1) | instskip(NEXT) | instid1(VALU_DEP_1)
	v_mov_b32_dpp v38, v3 row_shr:8 row_mask:0xf bank_mask:0xf
	v_cndmask_b32_e64 v38, 0, v38, s3
	s_delay_alu instid0(VALU_DEP_1) | instskip(SKIP_3) | instid1(VALU_DEP_1)
	v_add_nc_u32_e32 v3, v3, v38
	ds_swizzle_b32 v38, v3 offset:swizzle(BROADCAST,32,15)
	s_waitcnt lgkmcnt(0)
	v_cndmask_b32_e64 v38, v38, 0, s4
	v_add_nc_u32_e32 v3, v3, v38
	s_and_saveexec_b32 s13, s5
	s_cbranch_execz .LBB162_12
; %bb.11:                               ;   in Loop: Header=BB162_4 Depth=2
	ds_store_b32 v25, v3
.LBB162_12:                             ;   in Loop: Header=BB162_4 Depth=2
	s_or_b32 exec_lo, exec_lo, s13
	s_waitcnt lgkmcnt(0)
	s_barrier
	buffer_gl0_inv
	s_and_saveexec_b32 s13, s6
	s_cbranch_execz .LBB162_14
; %bb.13:                               ;   in Loop: Header=BB162_4 Depth=2
	ds_load_b32 v38, v26
	s_waitcnt lgkmcnt(0)
	v_mov_b32_dpp v39, v38 row_shr:1 row_mask:0xf bank_mask:0xf
	s_delay_alu instid0(VALU_DEP_1) | instskip(NEXT) | instid1(VALU_DEP_1)
	v_cndmask_b32_e64 v39, v39, 0, s10
	v_add_nc_u32_e32 v38, v39, v38
	s_delay_alu instid0(VALU_DEP_1) | instskip(NEXT) | instid1(VALU_DEP_1)
	v_mov_b32_dpp v39, v38 row_shr:2 row_mask:0xf bank_mask:0xf
	v_cndmask_b32_e64 v39, 0, v39, s11
	s_delay_alu instid0(VALU_DEP_1) | instskip(NEXT) | instid1(VALU_DEP_1)
	v_add_nc_u32_e32 v38, v38, v39
	v_mov_b32_dpp v39, v38 row_shr:4 row_mask:0xf bank_mask:0xf
	s_delay_alu instid0(VALU_DEP_1) | instskip(NEXT) | instid1(VALU_DEP_1)
	v_cndmask_b32_e64 v39, 0, v39, s12
	v_add_nc_u32_e32 v38, v38, v39
	ds_store_b32 v26, v38
.LBB162_14:                             ;   in Loop: Header=BB162_4 Depth=2
	s_or_b32 exec_lo, exec_lo, s13
	v_mov_b32_e32 v38, 0
	s_waitcnt lgkmcnt(0)
	s_barrier
	buffer_gl0_inv
	s_and_saveexec_b32 s13, s7
	s_cbranch_execz .LBB162_16
; %bb.15:                               ;   in Loop: Header=BB162_4 Depth=2
	ds_load_b32 v38, v27
.LBB162_16:                             ;   in Loop: Header=BB162_4 Depth=2
	s_or_b32 exec_lo, exec_lo, s13
	s_waitcnt lgkmcnt(0)
	v_add_nc_u32_e32 v3, v38, v3
	s_cmp_gt_u32 s22, 55
	ds_bpermute_b32 v3, v24, v3
	s_waitcnt lgkmcnt(0)
	v_cndmask_b32_e64 v3, v3, v38, s8
	s_delay_alu instid0(VALU_DEP_1) | instskip(NEXT) | instid1(VALU_DEP_1)
	v_cndmask_b32_e64 v3, v3, 0, s9
	v_add_nc_u32_e32 v4, v3, v4
	s_delay_alu instid0(VALU_DEP_1) | instskip(NEXT) | instid1(VALU_DEP_1)
	v_add_nc_u32_e32 v5, v4, v5
	v_add_nc_u32_e32 v6, v5, v6
	s_delay_alu instid0(VALU_DEP_1) | instskip(NEXT) | instid1(VALU_DEP_1)
	v_add_nc_u32_e32 v38, v6, v7
	;; [unrolled: 3-line block ×3, first 2 shown]
	v_add_nc_u32_e32 v1, v0, v2
	ds_store_2addr_b64 v20, v[3:4], v[5:6] offset0:3 offset1:4
	ds_store_2addr_b64 v23, v[38:39], v[0:1] offset0:2 offset1:3
	s_waitcnt lgkmcnt(0)
	s_barrier
	buffer_gl0_inv
	ds_load_b32 v0, v34
	ds_load_b32 v1, v37
	;; [unrolled: 1-line block ×3, first 2 shown]
	v_lshlrev_b32_e32 v3, 3, v30
	v_lshlrev_b32_e32 v4, 3, v33
	v_lshlrev_b32_e32 v5, 3, v32
	v_lshlrev_b32_e32 v30, 3, v36
	v_lshlrev_b32_e32 v31, 3, v35
	s_waitcnt lgkmcnt(0)
	v_lshlrev_b32_e32 v0, 3, v0
	v_lshlrev_b32_e32 v1, 3, v1
	v_lshl_add_u32 v6, v2, 3, v3
	s_delay_alu instid0(VALU_DEP_3) | instskip(NEXT) | instid1(VALU_DEP_3)
	v_add3_u32 v7, v4, v5, v0
	v_add3_u32 v30, v30, v31, v1
	s_cbranch_scc0 .LBB162_3
; %bb.17:                               ;   in Loop: Header=BB162_2 Depth=1
                                        ; implicit-def: $sgpr22
                                        ; implicit-def: $vgpr0_vgpr1
                                        ; implicit-def: $vgpr4_vgpr5
                                        ; implicit-def: $sgpr17
                                        ; implicit-def: $sgpr16
	s_branch .LBB162_1
.LBB162_18:
	v_lshlrev_b32_e32 v0, 3, v8
	s_add_u32 s0, s18, s20
	s_addc_u32 s1, s19, s21
	s_clause 0x2
	global_store_b64 v0, v[1:2], s[0:1]
	global_store_b64 v0, v[3:4], s[0:1] offset:1536
	global_store_b64 v0, v[5:6], s[0:1] offset:3072
	s_nop 0
	s_sendmsg sendmsg(MSG_DEALLOC_VGPRS)
	s_endpgm
	.section	.rodata,"a",@progbits
	.p2align	6, 0x0
	.amdhsa_kernel _Z16sort_keys_kernelI22helper_blocked_blockedN15benchmark_utils11custom_typeIiiEELj192ELj3ELj10EEvPKT0_PS4_
		.amdhsa_group_segment_fixed_size 6176
		.amdhsa_private_segment_fixed_size 0
		.amdhsa_kernarg_size 272
		.amdhsa_user_sgpr_count 15
		.amdhsa_user_sgpr_dispatch_ptr 0
		.amdhsa_user_sgpr_queue_ptr 0
		.amdhsa_user_sgpr_kernarg_segment_ptr 1
		.amdhsa_user_sgpr_dispatch_id 0
		.amdhsa_user_sgpr_private_segment_size 0
		.amdhsa_wavefront_size32 1
		.amdhsa_uses_dynamic_stack 0
		.amdhsa_enable_private_segment 0
		.amdhsa_system_sgpr_workgroup_id_x 1
		.amdhsa_system_sgpr_workgroup_id_y 0
		.amdhsa_system_sgpr_workgroup_id_z 0
		.amdhsa_system_sgpr_workgroup_info 0
		.amdhsa_system_vgpr_workitem_id 2
		.amdhsa_next_free_vgpr 40
		.amdhsa_next_free_sgpr 28
		.amdhsa_reserve_vcc 1
		.amdhsa_float_round_mode_32 0
		.amdhsa_float_round_mode_16_64 0
		.amdhsa_float_denorm_mode_32 3
		.amdhsa_float_denorm_mode_16_64 3
		.amdhsa_dx10_clamp 1
		.amdhsa_ieee_mode 1
		.amdhsa_fp16_overflow 0
		.amdhsa_workgroup_processor_mode 1
		.amdhsa_memory_ordered 1
		.amdhsa_forward_progress 0
		.amdhsa_shared_vgpr_count 0
		.amdhsa_exception_fp_ieee_invalid_op 0
		.amdhsa_exception_fp_denorm_src 0
		.amdhsa_exception_fp_ieee_div_zero 0
		.amdhsa_exception_fp_ieee_overflow 0
		.amdhsa_exception_fp_ieee_underflow 0
		.amdhsa_exception_fp_ieee_inexact 0
		.amdhsa_exception_int_div_zero 0
	.end_amdhsa_kernel
	.section	.text._Z16sort_keys_kernelI22helper_blocked_blockedN15benchmark_utils11custom_typeIiiEELj192ELj3ELj10EEvPKT0_PS4_,"axG",@progbits,_Z16sort_keys_kernelI22helper_blocked_blockedN15benchmark_utils11custom_typeIiiEELj192ELj3ELj10EEvPKT0_PS4_,comdat
.Lfunc_end162:
	.size	_Z16sort_keys_kernelI22helper_blocked_blockedN15benchmark_utils11custom_typeIiiEELj192ELj3ELj10EEvPKT0_PS4_, .Lfunc_end162-_Z16sort_keys_kernelI22helper_blocked_blockedN15benchmark_utils11custom_typeIiiEELj192ELj3ELj10EEvPKT0_PS4_
                                        ; -- End function
	.section	.AMDGPU.csdata,"",@progbits
; Kernel info:
; codeLenInByte = 2716
; NumSgprs: 30
; NumVgprs: 40
; ScratchSize: 0
; MemoryBound: 0
; FloatMode: 240
; IeeeMode: 1
; LDSByteSize: 6176 bytes/workgroup (compile time only)
; SGPRBlocks: 3
; VGPRBlocks: 4
; NumSGPRsForWavesPerEU: 30
; NumVGPRsForWavesPerEU: 40
; Occupancy: 15
; WaveLimiterHint : 1
; COMPUTE_PGM_RSRC2:SCRATCH_EN: 0
; COMPUTE_PGM_RSRC2:USER_SGPR: 15
; COMPUTE_PGM_RSRC2:TRAP_HANDLER: 0
; COMPUTE_PGM_RSRC2:TGID_X_EN: 1
; COMPUTE_PGM_RSRC2:TGID_Y_EN: 0
; COMPUTE_PGM_RSRC2:TGID_Z_EN: 0
; COMPUTE_PGM_RSRC2:TIDIG_COMP_CNT: 2
	.section	.text._Z17sort_pairs_kernelI22helper_blocked_blockedN15benchmark_utils11custom_typeIiiEELj192ELj3ELj10EEvPKT0_PS4_,"axG",@progbits,_Z17sort_pairs_kernelI22helper_blocked_blockedN15benchmark_utils11custom_typeIiiEELj192ELj3ELj10EEvPKT0_PS4_,comdat
	.protected	_Z17sort_pairs_kernelI22helper_blocked_blockedN15benchmark_utils11custom_typeIiiEELj192ELj3ELj10EEvPKT0_PS4_ ; -- Begin function _Z17sort_pairs_kernelI22helper_blocked_blockedN15benchmark_utils11custom_typeIiiEELj192ELj3ELj10EEvPKT0_PS4_
	.globl	_Z17sort_pairs_kernelI22helper_blocked_blockedN15benchmark_utils11custom_typeIiiEELj192ELj3ELj10EEvPKT0_PS4_
	.p2align	8
	.type	_Z17sort_pairs_kernelI22helper_blocked_blockedN15benchmark_utils11custom_typeIiiEELj192ELj3ELj10EEvPKT0_PS4_,@function
_Z17sort_pairs_kernelI22helper_blocked_blockedN15benchmark_utils11custom_typeIiiEELj192ELj3ELj10EEvPKT0_PS4_: ; @_Z17sort_pairs_kernelI22helper_blocked_blockedN15benchmark_utils11custom_typeIiiEELj192ELj3ELj10EEvPKT0_PS4_
; %bb.0:
	s_clause 0x1
	s_load_b128 s[16:19], s[0:1], 0x0
	s_load_b32 s12, s[0:1], 0x1c
	s_mov_b32 s23, 0
	s_mul_i32 s22, s15, 0x240
	v_mbcnt_lo_u32_b32 v5, -1, 0
	s_lshl_b64 s[20:21], s[22:23], 3
	s_mov_b32 s22, s23
	s_delay_alu instid0(SALU_CYCLE_1) | instskip(SKIP_3) | instid1(VALU_DEP_2)
	v_dual_mov_b32 v9, s22 :: v_dual_and_b32 v8, 0x3ff, v0
	v_mov_b32_e32 v10, s23
	s_mov_b32 s14, s23
	s_mov_b32 s15, s23
	v_lshlrev_b32_e32 v3, 3, v8
	v_add_nc_u32_e32 v7, -1, v5
	v_and_b32_e32 v4, 15, v5
	v_and_b32_e32 v6, 16, v5
	;; [unrolled: 1-line block ×3, first 2 shown]
	v_lshrrev_b32_e32 v12, 5, v8
	v_cmp_gt_i32_e32 vcc_lo, 0, v7
	v_cmp_lt_u32_e64 s2, 1, v4
	s_waitcnt lgkmcnt(0)
	s_add_u32 s0, s16, s20
	s_addc_u32 s1, s17, s21
	v_cmp_lt_u32_e64 s3, 3, v4
	s_clause 0x2
	global_load_b64 v[1:2], v3, s[0:1]
	global_load_b64 v[16:17], v3, s[0:1] offset:1536
	global_load_b64 v[14:15], v3, s[0:1] offset:3072
	v_bfe_u32 v3, v0, 10, 10
	v_bfe_u32 v0, v0, 20, 10
	v_cmp_eq_u32_e64 s1, 0, v4
	v_cmp_lt_u32_e64 s4, 7, v4
	v_and_b32_e32 v4, 0xe0, v8
	v_cmp_eq_u32_e64 s5, 0, v6
	v_dual_cndmask_b32 v6, v7, v5 :: v_dual_lshlrev_b32 v33, 2, v12
	s_lshr_b32 s13, s12, 16
	v_cmp_eq_u32_e64 s9, 0, v11
	v_mad_u32_u24 v0, v0, s13, v3
	v_cmp_lt_u32_e64 s10, 1, v11
	v_cmp_lt_u32_e64 s11, 3, v11
	v_mul_u32_u24_e32 v11, 0x60, v12
	v_min_u32_e32 v13, 0xa0, v4
	v_lshlrev_b32_e32 v30, 5, v8
	v_lshlrev_b32_e32 v32, 2, v6
	v_mul_u32_u24_e32 v6, 3, v4
	s_and_b32 s12, s12, 0xffff
	v_lshlrev_b32_e32 v12, 3, v11
	v_mad_u64_u32 v[3:4], null, v0, s12, v[8:9]
	v_or_b32_e32 v13, 31, v13
	v_mul_u32_u24_e32 v7, 20, v8
	v_mad_i32_i24 v34, 0xffffffe4, v8, v30
	v_or_b32_e32 v11, v5, v11
	v_or_b32_e32 v0, v5, v6
	v_mad_u32_u24 v37, v5, 24, v12
	v_cmp_eq_u32_e64 s12, v13, v8
	v_mov_b32_e32 v12, s14
	v_cmp_eq_u32_e64 s0, 0, v5
	v_cmp_gt_u32_e64 s6, 6, v8
	v_cmp_lt_u32_e64 s7, 31, v8
	v_cmp_eq_u32_e64 s8, 0, v8
	v_or_b32_e32 v31, 24, v30
	v_add_nc_u32_e32 v35, -4, v33
	v_add_nc_u32_e32 v36, v34, v7
	v_lshlrev_b32_e32 v38, 3, v11
	v_lshlrev_b32_e32 v39, 3, v0
	v_lshrrev_b32_e32 v11, 5, v3
	v_mov_b32_e32 v13, s15
	s_waitcnt vmcnt(2)
	v_add_nc_u32_e32 v5, 1, v2
	v_add_nc_u32_e32 v4, 1, v1
	s_waitcnt vmcnt(1)
	v_add_nc_u32_e32 v7, 1, v17
	v_add_nc_u32_e32 v6, 1, v16
	;; [unrolled: 3-line block ×3, first 2 shown]
	s_branch .LBB163_2
.LBB163_1:                              ;   in Loop: Header=BB163_2 Depth=1
	s_barrier
	buffer_gl0_inv
	ds_store_b64 v40, v[14:15]
	ds_store_b64 v41, v[24:25]
	;; [unrolled: 1-line block ×3, first 2 shown]
	s_waitcnt lgkmcnt(0)
	s_barrier
	buffer_gl0_inv
	ds_load_2addr_b64 v[22:25], v36 offset1:1
	ds_load_b64 v[14:15], v36 offset:16
	s_waitcnt lgkmcnt(0)
	s_barrier
	buffer_gl0_inv
	ds_store_b64 v40, v[20:21]
	ds_store_b64 v41, v[18:19]
	;; [unrolled: 1-line block ×3, first 2 shown]
	s_waitcnt lgkmcnt(0)
	s_barrier
	buffer_gl0_inv
	ds_load_2addr_b64 v[4:7], v36 offset1:1
	ds_load_b64 v[18:19], v36 offset:16
	s_add_i32 s23, s23, 1
	s_delay_alu instid0(SALU_CYCLE_1)
	s_cmp_lg_u32 s23, 10
	v_xor_b32_e32 v1, 0x80000000, v22
	v_xor_b32_e32 v2, 0x80000000, v23
	;; [unrolled: 1-line block ×6, first 2 shown]
	s_cbranch_scc0 .LBB163_18
.LBB163_2:                              ; =>This Loop Header: Depth=1
                                        ;     Child Loop BB163_4 Depth 2
	v_xor_b32_e32 v2, 0x80000000, v2
	v_xor_b32_e32 v1, 0x80000000, v1
	;; [unrolled: 1-line block ×6, first 2 shown]
	ds_store_2addr_b64 v37, v[1:2], v[16:17] offset1:1
	ds_store_b64 v37, v[14:15] offset:16
	; wave barrier
	ds_load_2addr_b64 v[0:3], v38 offset1:32
	ds_load_b64 v[26:27], v38 offset:512
	; wave barrier
	s_waitcnt lgkmcnt(5)
	ds_store_2addr_b64 v37, v[4:5], v[6:7] offset1:1
	s_waitcnt lgkmcnt(5)
	ds_store_b64 v37, v[18:19] offset:16
	; wave barrier
	ds_load_2addr_b64 v[4:7], v38 offset1:32
	ds_load_b64 v[28:29], v38 offset:512
	s_mov_b32 s16, 8
	s_mov_b32 s17, 32
	;; [unrolled: 1-line block ×3, first 2 shown]
	s_waitcnt lgkmcnt(0)
	s_barrier
	s_branch .LBB163_4
.LBB163_3:                              ;   in Loop: Header=BB163_4 Depth=2
	s_barrier
	buffer_gl0_inv
	ds_store_b64 v40, v[14:15]
	ds_store_b64 v41, v[24:25]
	;; [unrolled: 1-line block ×3, first 2 shown]
	s_waitcnt lgkmcnt(0)
	s_barrier
	buffer_gl0_inv
	ds_load_2addr_b64 v[0:3], v39 offset1:32
	ds_load_b64 v[26:27], v39 offset:512
	s_waitcnt lgkmcnt(0)
	s_barrier
	buffer_gl0_inv
	ds_store_b64 v40, v[20:21]
	ds_store_b64 v41, v[18:19]
	;; [unrolled: 1-line block ×3, first 2 shown]
	s_waitcnt lgkmcnt(0)
	s_barrier
	buffer_gl0_inv
	ds_load_2addr_b64 v[4:7], v39 offset1:32
	ds_load_b64 v[28:29], v39 offset:512
	s_add_i32 s17, s17, -8
	s_add_i32 s16, s16, 8
	s_add_i32 s22, s22, 8
	s_waitcnt lgkmcnt(0)
	s_barrier
	s_cbranch_execz .LBB163_1
.LBB163_4:                              ;   Parent Loop BB163_2 Depth=1
                                        ; =>  This Inner Loop Header: Depth=2
	s_min_i32 s14, s16, 32
	s_cmp_lt_u32 s22, 32
	v_dual_mov_b32 v15, v1 :: v_dual_mov_b32 v14, v0
	s_cselect_b32 vcc_lo, -1, 0
	s_cmp_gt_u32 s22, 24
	buffer_gl0_inv
	s_cselect_b32 s13, -1, 0
	s_sub_i32 s14, s14, 32
	v_lshrrev_b32_e32 v1, s22, v15
	s_add_i32 s15, s14, s17
	ds_store_2addr_b64 v30, v[9:10], v[12:13] offset0:3 offset1:4
	ds_store_2addr_b64 v31, v[9:10], v[12:13] offset0:2 offset1:3
	s_lshl_b32 s15, -1, s15
	s_waitcnt lgkmcnt(0)
	s_not_b32 s15, s15
	s_cmp_lg_u32 s14, s22
	s_barrier
	s_cselect_b32 s24, s15, -1
	s_max_i32 s25, s17, 0
	s_max_i32 s14, s22, 32
	v_and_b32_e32 v1, s24, v1
	s_sub_i32 s15, s14, s25
	s_sub_i32 s26, s14, 32
	s_sub_i32 s15, s15, 24
	v_lshrrev_b32_e32 v0, s26, v14
	s_min_i32 s14, s15, 32
	buffer_gl0_inv
	s_sub_i32 s14, s14, s26
	s_delay_alu instid0(SALU_CYCLE_1) | instskip(NEXT) | instid1(SALU_CYCLE_1)
	s_lshl_b32 s15, -1, s14
	; wave barrier
	s_not_b32 s15, s15
	s_cmp_lg_u32 s14, 32
	v_cndmask_b32_e32 v1, 0, v1, vcc_lo
	s_cselect_b32 s27, s15, -1
	s_delay_alu instid0(SALU_CYCLE_1) | instskip(SKIP_1) | instid1(VALU_DEP_2)
	v_dual_mov_b32 v25, v3 :: v_dual_and_b32 v0, s27, v0
	v_mov_b32_e32 v24, v2
	v_lshlrev_b32_e32 v0, s25, v0
	s_delay_alu instid0(VALU_DEP_1) | instskip(NEXT) | instid1(VALU_DEP_1)
	v_cndmask_b32_e64 v0, 0, v0, s13
	v_or_b32_e32 v40, v1, v0
	s_delay_alu instid0(VALU_DEP_1)
	v_and_b32_e32 v0, 1, v40
	v_lshlrev_b32_e32 v1, 30, v40
	v_lshlrev_b32_e32 v16, 29, v40
	;; [unrolled: 1-line block ×4, first 2 shown]
	v_add_co_u32 v0, s14, v0, -1
	s_delay_alu instid0(VALU_DEP_1)
	v_cndmask_b32_e64 v18, 0, 1, s14
	v_not_b32_e32 v22, v1
	v_cmp_gt_i32_e64 s15, 0, v1
	v_not_b32_e32 v1, v16
	v_lshlrev_b32_e32 v19, 27, v40
	v_cmp_ne_u32_e64 s14, 0, v18
	v_ashrrev_i32_e32 v22, 31, v22
	v_lshlrev_b32_e32 v21, 25, v40
	v_ashrrev_i32_e32 v1, 31, v1
	v_lshlrev_b32_e32 v18, 24, v40
	v_xor_b32_e32 v0, s14, v0
	v_cmp_gt_i32_e64 s14, 0, v16
	v_not_b32_e32 v16, v17
	v_xor_b32_e32 v22, s15, v22
	v_cmp_gt_i32_e64 s15, 0, v17
	v_and_b32_e32 v0, exec_lo, v0
	v_not_b32_e32 v17, v19
	v_ashrrev_i32_e32 v16, 31, v16
	v_xor_b32_e32 v1, s14, v1
	v_cmp_gt_i32_e64 s14, 0, v19
	v_and_b32_e32 v0, v0, v22
	v_not_b32_e32 v19, v20
	v_ashrrev_i32_e32 v17, 31, v17
	v_xor_b32_e32 v16, s15, v16
	v_cmp_gt_i32_e64 s15, 0, v20
	v_and_b32_e32 v0, v0, v1
	;; [unrolled: 5-line block ×4, first 2 shown]
	v_ashrrev_i32_e32 v16, 31, v16
	v_xor_b32_e32 v1, s14, v1
	v_dual_mov_b32 v21, v5 :: v_dual_mov_b32 v20, v4
	s_delay_alu instid0(VALU_DEP_4) | instskip(NEXT) | instid1(VALU_DEP_4)
	v_and_b32_e32 v0, v0, v19
	v_xor_b32_e32 v22, s15, v16
	v_dual_mov_b32 v19, v7 :: v_dual_mov_b32 v16, v28
	v_mov_b32_e32 v18, v6
	s_delay_alu instid0(VALU_DEP_4) | instskip(SKIP_1) | instid1(VALU_DEP_2)
	v_and_b32_e32 v0, v0, v1
	v_mad_u64_u32 v[1:2], null, v40, 6, v[11:12]
	v_dual_mov_b32 v17, v29 :: v_dual_and_b32 v0, v0, v22
	v_dual_mov_b32 v22, v26 :: v_dual_mov_b32 v23, v27
	s_delay_alu instid0(VALU_DEP_3) | instskip(NEXT) | instid1(VALU_DEP_3)
	v_lshl_add_u32 v27, v1, 2, 24
	v_mbcnt_lo_u32_b32 v26, v0, 0
	v_cmp_ne_u32_e64 s15, 0, v0
	s_delay_alu instid0(VALU_DEP_2) | instskip(NEXT) | instid1(VALU_DEP_1)
	v_cmp_eq_u32_e64 s14, 0, v26
	s_and_b32 s15, s14, s15
	s_delay_alu instid0(SALU_CYCLE_1)
	s_and_saveexec_b32 s14, s15
	s_cbranch_execz .LBB163_6
; %bb.5:                                ;   in Loop: Header=BB163_4 Depth=2
	v_bcnt_u32_b32 v0, v0, 0
	ds_store_b32 v27, v0
.LBB163_6:                              ;   in Loop: Header=BB163_4 Depth=2
	s_or_b32 exec_lo, exec_lo, s14
	v_lshrrev_b32_e32 v0, s26, v24
	v_lshrrev_b32_e32 v1, s22, v25
	; wave barrier
	s_delay_alu instid0(VALU_DEP_1) | instskip(NEXT) | instid1(VALU_DEP_1)
	v_and_b32_e32 v1, s24, v1
	v_dual_cndmask_b32 v1, 0, v1 :: v_dual_and_b32 v0, s27, v0
	s_delay_alu instid0(VALU_DEP_1) | instskip(NEXT) | instid1(VALU_DEP_1)
	v_lshlrev_b32_e32 v0, s25, v0
	v_cndmask_b32_e64 v0, 0, v0, s13
	s_delay_alu instid0(VALU_DEP_1) | instskip(NEXT) | instid1(VALU_DEP_1)
	v_or_b32_e32 v0, v1, v0
	v_and_b32_e32 v2, 1, v0
	v_lshlrev_b32_e32 v3, 30, v0
	v_lshlrev_b32_e32 v4, 29, v0
	;; [unrolled: 1-line block ×4, first 2 shown]
	v_add_co_u32 v2, s14, v2, -1
	s_delay_alu instid0(VALU_DEP_1)
	v_cndmask_b32_e64 v6, 0, 1, s14
	v_not_b32_e32 v40, v3
	v_cmp_gt_i32_e64 s15, 0, v3
	v_not_b32_e32 v3, v4
	v_lshlrev_b32_e32 v28, 26, v0
	v_cmp_ne_u32_e64 s14, 0, v6
	v_ashrrev_i32_e32 v6, 31, v40
	v_lshlrev_b32_e32 v29, 25, v0
	v_ashrrev_i32_e32 v3, 31, v3
	v_mul_lo_u32 v1, v0, 6
	v_xor_b32_e32 v2, s14, v2
	v_cmp_gt_i32_e64 s14, 0, v4
	v_not_b32_e32 v4, v5
	v_xor_b32_e32 v6, s15, v6
	v_cmp_gt_i32_e64 s15, 0, v5
	v_and_b32_e32 v2, exec_lo, v2
	v_not_b32_e32 v5, v7
	v_ashrrev_i32_e32 v4, 31, v4
	v_xor_b32_e32 v3, s14, v3
	v_cmp_gt_i32_e64 s14, 0, v7
	v_and_b32_e32 v2, v2, v6
	v_not_b32_e32 v6, v28
	v_ashrrev_i32_e32 v5, 31, v5
	v_xor_b32_e32 v4, s15, v4
	v_lshlrev_b32_e32 v0, 24, v0
	v_and_b32_e32 v2, v2, v3
	v_cmp_gt_i32_e64 s15, 0, v28
	v_not_b32_e32 v3, v29
	v_ashrrev_i32_e32 v6, 31, v6
	v_xor_b32_e32 v5, s14, v5
	v_and_b32_e32 v2, v2, v4
	v_cmp_gt_i32_e64 s14, 0, v29
	v_not_b32_e32 v4, v0
	v_ashrrev_i32_e32 v3, 31, v3
	v_xor_b32_e32 v6, s15, v6
	v_and_b32_e32 v2, v2, v5
	v_cmp_gt_i32_e64 s15, 0, v0
	v_ashrrev_i32_e32 v0, 31, v4
	v_xor_b32_e32 v3, s14, v3
	v_add_lshl_u32 v1, v1, v11, 2
	v_and_b32_e32 v2, v2, v6
	s_delay_alu instid0(VALU_DEP_4) | instskip(SKIP_3) | instid1(VALU_DEP_2)
	v_xor_b32_e32 v0, s15, v0
	ds_load_b32 v28, v1 offset:24
	v_and_b32_e32 v2, v2, v3
	v_add_nc_u32_e32 v40, 24, v1
	; wave barrier
	v_and_b32_e32 v0, v2, v0
	s_delay_alu instid0(VALU_DEP_1) | instskip(SKIP_1) | instid1(VALU_DEP_2)
	v_mbcnt_lo_u32_b32 v29, v0, 0
	v_cmp_ne_u32_e64 s15, 0, v0
	v_cmp_eq_u32_e64 s14, 0, v29
	s_delay_alu instid0(VALU_DEP_1) | instskip(NEXT) | instid1(SALU_CYCLE_1)
	s_and_b32 s15, s14, s15
	s_and_saveexec_b32 s14, s15
	s_cbranch_execz .LBB163_8
; %bb.7:                                ;   in Loop: Header=BB163_4 Depth=2
	s_waitcnt lgkmcnt(0)
	v_bcnt_u32_b32 v0, v0, v28
	ds_store_b32 v40, v0
.LBB163_8:                              ;   in Loop: Header=BB163_4 Depth=2
	s_or_b32 exec_lo, exec_lo, s14
	v_lshrrev_b32_e32 v0, s26, v22
	v_lshrrev_b32_e32 v1, s22, v23
	; wave barrier
	s_delay_alu instid0(VALU_DEP_1) | instskip(NEXT) | instid1(VALU_DEP_1)
	v_and_b32_e32 v1, s24, v1
	v_dual_cndmask_b32 v1, 0, v1 :: v_dual_and_b32 v0, s27, v0
	s_delay_alu instid0(VALU_DEP_1) | instskip(NEXT) | instid1(VALU_DEP_1)
	v_lshlrev_b32_e32 v0, s25, v0
	v_cndmask_b32_e64 v0, 0, v0, s13
	s_delay_alu instid0(VALU_DEP_1) | instskip(NEXT) | instid1(VALU_DEP_1)
	v_or_b32_e32 v0, v1, v0
	v_and_b32_e32 v2, 1, v0
	v_lshlrev_b32_e32 v3, 30, v0
	v_lshlrev_b32_e32 v4, 29, v0
	;; [unrolled: 1-line block ×4, first 2 shown]
	v_add_co_u32 v2, s13, v2, -1
	s_delay_alu instid0(VALU_DEP_1)
	v_cndmask_b32_e64 v6, 0, 1, s13
	v_not_b32_e32 v43, v3
	v_cmp_gt_i32_e64 s13, 0, v3
	v_not_b32_e32 v3, v4
	v_lshlrev_b32_e32 v41, 26, v0
	v_cmp_ne_u32_e32 vcc_lo, 0, v6
	v_ashrrev_i32_e32 v6, 31, v43
	v_lshlrev_b32_e32 v42, 25, v0
	v_ashrrev_i32_e32 v3, 31, v3
	v_mul_lo_u32 v1, v0, 6
	v_xor_b32_e32 v2, vcc_lo, v2
	v_cmp_gt_i32_e32 vcc_lo, 0, v4
	v_not_b32_e32 v4, v5
	v_xor_b32_e32 v6, s13, v6
	v_cmp_gt_i32_e64 s13, 0, v5
	v_and_b32_e32 v2, exec_lo, v2
	v_not_b32_e32 v5, v7
	v_ashrrev_i32_e32 v4, 31, v4
	v_xor_b32_e32 v3, vcc_lo, v3
	v_cmp_gt_i32_e32 vcc_lo, 0, v7
	v_and_b32_e32 v2, v2, v6
	v_not_b32_e32 v6, v41
	v_ashrrev_i32_e32 v5, 31, v5
	v_xor_b32_e32 v4, s13, v4
	v_lshlrev_b32_e32 v0, 24, v0
	v_and_b32_e32 v2, v2, v3
	v_cmp_gt_i32_e64 s13, 0, v41
	v_not_b32_e32 v3, v42
	v_ashrrev_i32_e32 v6, 31, v6
	v_xor_b32_e32 v5, vcc_lo, v5
	v_and_b32_e32 v2, v2, v4
	v_cmp_gt_i32_e32 vcc_lo, 0, v42
	v_not_b32_e32 v4, v0
	v_ashrrev_i32_e32 v3, 31, v3
	v_xor_b32_e32 v6, s13, v6
	v_and_b32_e32 v2, v2, v5
	v_cmp_gt_i32_e64 s13, 0, v0
	v_ashrrev_i32_e32 v0, 31, v4
	v_xor_b32_e32 v3, vcc_lo, v3
	v_add_lshl_u32 v1, v1, v11, 2
	v_and_b32_e32 v2, v2, v6
	s_delay_alu instid0(VALU_DEP_4) | instskip(SKIP_3) | instid1(VALU_DEP_2)
	v_xor_b32_e32 v0, s13, v0
	ds_load_b32 v41, v1 offset:24
	v_and_b32_e32 v2, v2, v3
	v_add_nc_u32_e32 v43, 24, v1
	; wave barrier
	v_and_b32_e32 v0, v2, v0
	s_delay_alu instid0(VALU_DEP_1) | instskip(SKIP_1) | instid1(VALU_DEP_2)
	v_mbcnt_lo_u32_b32 v42, v0, 0
	v_cmp_ne_u32_e64 s13, 0, v0
	v_cmp_eq_u32_e32 vcc_lo, 0, v42
	s_delay_alu instid0(VALU_DEP_2) | instskip(NEXT) | instid1(SALU_CYCLE_1)
	s_and_b32 s14, vcc_lo, s13
	s_and_saveexec_b32 s13, s14
	s_cbranch_execz .LBB163_10
; %bb.9:                                ;   in Loop: Header=BB163_4 Depth=2
	s_waitcnt lgkmcnt(0)
	v_bcnt_u32_b32 v0, v0, v41
	ds_store_b32 v43, v0
.LBB163_10:                             ;   in Loop: Header=BB163_4 Depth=2
	s_or_b32 exec_lo, exec_lo, s13
	; wave barrier
	s_waitcnt lgkmcnt(0)
	s_barrier
	buffer_gl0_inv
	ds_load_2addr_b64 v[4:7], v30 offset0:3 offset1:4
	ds_load_2addr_b64 v[0:3], v31 offset0:2 offset1:3
	s_waitcnt lgkmcnt(1)
	v_add_nc_u32_e32 v44, v5, v4
	s_delay_alu instid0(VALU_DEP_1) | instskip(SKIP_1) | instid1(VALU_DEP_1)
	v_add3_u32 v44, v44, v6, v7
	s_waitcnt lgkmcnt(0)
	v_add3_u32 v44, v44, v0, v1
	s_delay_alu instid0(VALU_DEP_1) | instskip(NEXT) | instid1(VALU_DEP_1)
	v_add3_u32 v3, v44, v2, v3
	v_mov_b32_dpp v44, v3 row_shr:1 row_mask:0xf bank_mask:0xf
	s_delay_alu instid0(VALU_DEP_1) | instskip(NEXT) | instid1(VALU_DEP_1)
	v_cndmask_b32_e64 v44, v44, 0, s1
	v_add_nc_u32_e32 v3, v44, v3
	s_delay_alu instid0(VALU_DEP_1) | instskip(NEXT) | instid1(VALU_DEP_1)
	v_mov_b32_dpp v44, v3 row_shr:2 row_mask:0xf bank_mask:0xf
	v_cndmask_b32_e64 v44, 0, v44, s2
	s_delay_alu instid0(VALU_DEP_1) | instskip(NEXT) | instid1(VALU_DEP_1)
	v_add_nc_u32_e32 v3, v3, v44
	v_mov_b32_dpp v44, v3 row_shr:4 row_mask:0xf bank_mask:0xf
	s_delay_alu instid0(VALU_DEP_1) | instskip(NEXT) | instid1(VALU_DEP_1)
	v_cndmask_b32_e64 v44, 0, v44, s3
	v_add_nc_u32_e32 v3, v3, v44
	s_delay_alu instid0(VALU_DEP_1) | instskip(NEXT) | instid1(VALU_DEP_1)
	v_mov_b32_dpp v44, v3 row_shr:8 row_mask:0xf bank_mask:0xf
	v_cndmask_b32_e64 v44, 0, v44, s4
	s_delay_alu instid0(VALU_DEP_1) | instskip(SKIP_3) | instid1(VALU_DEP_1)
	v_add_nc_u32_e32 v3, v3, v44
	ds_swizzle_b32 v44, v3 offset:swizzle(BROADCAST,32,15)
	s_waitcnt lgkmcnt(0)
	v_cndmask_b32_e64 v44, v44, 0, s5
	v_add_nc_u32_e32 v3, v3, v44
	s_and_saveexec_b32 s13, s12
	s_cbranch_execz .LBB163_12
; %bb.11:                               ;   in Loop: Header=BB163_4 Depth=2
	ds_store_b32 v33, v3
.LBB163_12:                             ;   in Loop: Header=BB163_4 Depth=2
	s_or_b32 exec_lo, exec_lo, s13
	s_waitcnt lgkmcnt(0)
	s_barrier
	buffer_gl0_inv
	s_and_saveexec_b32 s13, s6
	s_cbranch_execz .LBB163_14
; %bb.13:                               ;   in Loop: Header=BB163_4 Depth=2
	ds_load_b32 v44, v34
	s_waitcnt lgkmcnt(0)
	v_mov_b32_dpp v45, v44 row_shr:1 row_mask:0xf bank_mask:0xf
	s_delay_alu instid0(VALU_DEP_1) | instskip(NEXT) | instid1(VALU_DEP_1)
	v_cndmask_b32_e64 v45, v45, 0, s9
	v_add_nc_u32_e32 v44, v45, v44
	s_delay_alu instid0(VALU_DEP_1) | instskip(NEXT) | instid1(VALU_DEP_1)
	v_mov_b32_dpp v45, v44 row_shr:2 row_mask:0xf bank_mask:0xf
	v_cndmask_b32_e64 v45, 0, v45, s10
	s_delay_alu instid0(VALU_DEP_1) | instskip(NEXT) | instid1(VALU_DEP_1)
	v_add_nc_u32_e32 v44, v44, v45
	v_mov_b32_dpp v45, v44 row_shr:4 row_mask:0xf bank_mask:0xf
	s_delay_alu instid0(VALU_DEP_1) | instskip(NEXT) | instid1(VALU_DEP_1)
	v_cndmask_b32_e64 v45, 0, v45, s11
	v_add_nc_u32_e32 v44, v44, v45
	ds_store_b32 v34, v44
.LBB163_14:                             ;   in Loop: Header=BB163_4 Depth=2
	s_or_b32 exec_lo, exec_lo, s13
	v_mov_b32_e32 v44, 0
	s_waitcnt lgkmcnt(0)
	s_barrier
	buffer_gl0_inv
	s_and_saveexec_b32 s13, s7
	s_cbranch_execz .LBB163_16
; %bb.15:                               ;   in Loop: Header=BB163_4 Depth=2
	ds_load_b32 v44, v35
.LBB163_16:                             ;   in Loop: Header=BB163_4 Depth=2
	s_or_b32 exec_lo, exec_lo, s13
	s_waitcnt lgkmcnt(0)
	v_add_nc_u32_e32 v3, v44, v3
	s_cmp_gt_u32 s22, 55
	ds_bpermute_b32 v3, v32, v3
	s_waitcnt lgkmcnt(0)
	v_cndmask_b32_e64 v3, v3, v44, s0
	s_delay_alu instid0(VALU_DEP_1) | instskip(NEXT) | instid1(VALU_DEP_1)
	v_cndmask_b32_e64 v3, v3, 0, s8
	v_add_nc_u32_e32 v4, v3, v4
	s_delay_alu instid0(VALU_DEP_1) | instskip(NEXT) | instid1(VALU_DEP_1)
	v_add_nc_u32_e32 v5, v4, v5
	v_add_nc_u32_e32 v6, v5, v6
	s_delay_alu instid0(VALU_DEP_1) | instskip(SKIP_1) | instid1(VALU_DEP_2)
	v_add_nc_u32_e32 v44, v6, v7
	v_lshlrev_b32_e32 v7, 3, v41
	v_add_nc_u32_e32 v45, v44, v0
	s_delay_alu instid0(VALU_DEP_1) | instskip(NEXT) | instid1(VALU_DEP_1)
	v_add_nc_u32_e32 v0, v45, v1
	v_add_nc_u32_e32 v1, v0, v2
	ds_store_2addr_b64 v30, v[3:4], v[5:6] offset0:3 offset1:4
	ds_store_2addr_b64 v31, v[44:45], v[0:1] offset0:2 offset1:3
	s_waitcnt lgkmcnt(0)
	s_barrier
	buffer_gl0_inv
	ds_load_b32 v0, v40
	ds_load_b32 v1, v43
	;; [unrolled: 1-line block ×3, first 2 shown]
	v_lshlrev_b32_e32 v3, 3, v26
	v_lshlrev_b32_e32 v4, 3, v29
	v_lshlrev_b32_e32 v5, 3, v28
	v_lshlrev_b32_e32 v6, 3, v42
	s_waitcnt lgkmcnt(0)
	v_lshlrev_b32_e32 v0, 3, v0
	v_lshlrev_b32_e32 v1, 3, v1
	v_lshl_add_u32 v40, v2, 3, v3
	s_delay_alu instid0(VALU_DEP_3) | instskip(NEXT) | instid1(VALU_DEP_3)
	v_add3_u32 v41, v4, v5, v0
	v_add3_u32 v42, v6, v7, v1
	s_cbranch_scc0 .LBB163_3
; %bb.17:                               ;   in Loop: Header=BB163_2 Depth=1
                                        ; implicit-def: $sgpr22
                                        ; implicit-def: $vgpr4_vgpr5
                                        ; implicit-def: $vgpr28_vgpr29
                                        ; implicit-def: $vgpr0_vgpr1
                                        ; implicit-def: $vgpr26_vgpr27
                                        ; implicit-def: $sgpr17
                                        ; implicit-def: $sgpr16
	s_branch .LBB163_1
.LBB163_18:
	s_waitcnt lgkmcnt(1)
	v_add_nc_u32_e32 v0, v1, v4
	v_add_nc_u32_e32 v1, v2, v5
	;; [unrolled: 1-line block ×3, first 2 shown]
	v_lshlrev_b32_e32 v6, 3, v8
	v_add_nc_u32_e32 v3, v17, v7
	s_waitcnt lgkmcnt(0)
	v_add_nc_u32_e32 v4, v14, v18
	v_add_nc_u32_e32 v5, v15, v19
	s_add_u32 s0, s18, s20
	s_addc_u32 s1, s19, s21
	s_clause 0x2
	global_store_b64 v6, v[0:1], s[0:1]
	global_store_b64 v6, v[2:3], s[0:1] offset:1536
	global_store_b64 v6, v[4:5], s[0:1] offset:3072
	s_nop 0
	s_sendmsg sendmsg(MSG_DEALLOC_VGPRS)
	s_endpgm
	.section	.rodata,"a",@progbits
	.p2align	6, 0x0
	.amdhsa_kernel _Z17sort_pairs_kernelI22helper_blocked_blockedN15benchmark_utils11custom_typeIiiEELj192ELj3ELj10EEvPKT0_PS4_
		.amdhsa_group_segment_fixed_size 6176
		.amdhsa_private_segment_fixed_size 0
		.amdhsa_kernarg_size 272
		.amdhsa_user_sgpr_count 15
		.amdhsa_user_sgpr_dispatch_ptr 0
		.amdhsa_user_sgpr_queue_ptr 0
		.amdhsa_user_sgpr_kernarg_segment_ptr 1
		.amdhsa_user_sgpr_dispatch_id 0
		.amdhsa_user_sgpr_private_segment_size 0
		.amdhsa_wavefront_size32 1
		.amdhsa_uses_dynamic_stack 0
		.amdhsa_enable_private_segment 0
		.amdhsa_system_sgpr_workgroup_id_x 1
		.amdhsa_system_sgpr_workgroup_id_y 0
		.amdhsa_system_sgpr_workgroup_id_z 0
		.amdhsa_system_sgpr_workgroup_info 0
		.amdhsa_system_vgpr_workitem_id 2
		.amdhsa_next_free_vgpr 46
		.amdhsa_next_free_sgpr 28
		.amdhsa_reserve_vcc 1
		.amdhsa_float_round_mode_32 0
		.amdhsa_float_round_mode_16_64 0
		.amdhsa_float_denorm_mode_32 3
		.amdhsa_float_denorm_mode_16_64 3
		.amdhsa_dx10_clamp 1
		.amdhsa_ieee_mode 1
		.amdhsa_fp16_overflow 0
		.amdhsa_workgroup_processor_mode 1
		.amdhsa_memory_ordered 1
		.amdhsa_forward_progress 0
		.amdhsa_shared_vgpr_count 0
		.amdhsa_exception_fp_ieee_invalid_op 0
		.amdhsa_exception_fp_denorm_src 0
		.amdhsa_exception_fp_ieee_div_zero 0
		.amdhsa_exception_fp_ieee_overflow 0
		.amdhsa_exception_fp_ieee_underflow 0
		.amdhsa_exception_fp_ieee_inexact 0
		.amdhsa_exception_int_div_zero 0
	.end_amdhsa_kernel
	.section	.text._Z17sort_pairs_kernelI22helper_blocked_blockedN15benchmark_utils11custom_typeIiiEELj192ELj3ELj10EEvPKT0_PS4_,"axG",@progbits,_Z17sort_pairs_kernelI22helper_blocked_blockedN15benchmark_utils11custom_typeIiiEELj192ELj3ELj10EEvPKT0_PS4_,comdat
.Lfunc_end163:
	.size	_Z17sort_pairs_kernelI22helper_blocked_blockedN15benchmark_utils11custom_typeIiiEELj192ELj3ELj10EEvPKT0_PS4_, .Lfunc_end163-_Z17sort_pairs_kernelI22helper_blocked_blockedN15benchmark_utils11custom_typeIiiEELj192ELj3ELj10EEvPKT0_PS4_
                                        ; -- End function
	.section	.AMDGPU.csdata,"",@progbits
; Kernel info:
; codeLenInByte = 2944
; NumSgprs: 30
; NumVgprs: 46
; ScratchSize: 0
; MemoryBound: 0
; FloatMode: 240
; IeeeMode: 1
; LDSByteSize: 6176 bytes/workgroup (compile time only)
; SGPRBlocks: 3
; VGPRBlocks: 5
; NumSGPRsForWavesPerEU: 30
; NumVGPRsForWavesPerEU: 46
; Occupancy: 15
; WaveLimiterHint : 1
; COMPUTE_PGM_RSRC2:SCRATCH_EN: 0
; COMPUTE_PGM_RSRC2:USER_SGPR: 15
; COMPUTE_PGM_RSRC2:TRAP_HANDLER: 0
; COMPUTE_PGM_RSRC2:TGID_X_EN: 1
; COMPUTE_PGM_RSRC2:TGID_Y_EN: 0
; COMPUTE_PGM_RSRC2:TGID_Z_EN: 0
; COMPUTE_PGM_RSRC2:TIDIG_COMP_CNT: 2
	.section	.text._Z16sort_keys_kernelI22helper_blocked_blockedN15benchmark_utils11custom_typeIiiEELj192ELj4ELj10EEvPKT0_PS4_,"axG",@progbits,_Z16sort_keys_kernelI22helper_blocked_blockedN15benchmark_utils11custom_typeIiiEELj192ELj4ELj10EEvPKT0_PS4_,comdat
	.protected	_Z16sort_keys_kernelI22helper_blocked_blockedN15benchmark_utils11custom_typeIiiEELj192ELj4ELj10EEvPKT0_PS4_ ; -- Begin function _Z16sort_keys_kernelI22helper_blocked_blockedN15benchmark_utils11custom_typeIiiEELj192ELj4ELj10EEvPKT0_PS4_
	.globl	_Z16sort_keys_kernelI22helper_blocked_blockedN15benchmark_utils11custom_typeIiiEELj192ELj4ELj10EEvPKT0_PS4_
	.p2align	8
	.type	_Z16sort_keys_kernelI22helper_blocked_blockedN15benchmark_utils11custom_typeIiiEELj192ELj4ELj10EEvPKT0_PS4_,@function
_Z16sort_keys_kernelI22helper_blocked_blockedN15benchmark_utils11custom_typeIiiEELj192ELj4ELj10EEvPKT0_PS4_: ; @_Z16sort_keys_kernelI22helper_blocked_blockedN15benchmark_utils11custom_typeIiiEELj192ELj4ELj10EEvPKT0_PS4_
; %bb.0:
	s_clause 0x1
	s_load_b128 s[20:23], s[0:1], 0x0
	s_load_b32 s4, s[0:1], 0x1c
	v_mbcnt_lo_u32_b32 v7, -1, 0
	s_mov_b32 s27, 0
	s_mul_i32 s26, s15, 0x300
	s_mov_b32 s18, s27
	s_lshl_b64 s[24:25], s[26:27], 3
	v_and_b32_e32 v12, 16, v7
	s_mov_b32 s26, s27
	v_and_b32_e32 v8, 0x3ff, v0
	s_mov_b32 s19, s27
	v_add_nc_u32_e32 v11, -1, v7
	v_cmp_eq_u32_e64 s8, 0, v12
	s_delay_alu instid0(VALU_DEP_3)
	v_dual_mov_b32 v12, s18 :: v_dual_lshlrev_b32 v3, 3, v8
	v_bfe_u32 v10, v0, 10, 10
	v_bfe_u32 v0, v0, 20, 10
	v_and_b32_e32 v9, 3, v7
	v_dual_mov_b32 v13, s19 :: v_dual_and_b32 v22, 28, v7
	s_waitcnt lgkmcnt(0)
	s_add_u32 s0, s20, s24
	s_addc_u32 s1, s21, s25
	v_add_co_u32 v1, s2, s0, v3
	s_delay_alu instid0(VALU_DEP_1) | instskip(SKIP_1) | instid1(VALU_DEP_2)
	v_add_co_ci_u32_e64 v2, null, s1, 0, s2
	s_lshr_b32 s2, s4, 16
	v_add_co_u32 v1, vcc_lo, 0x1000, v1
	s_delay_alu instid0(VALU_DEP_2)
	v_add_co_ci_u32_e32 v2, vcc_lo, 0, v2, vcc_lo
	s_clause 0x3
	global_load_b64 v[5:6], v3, s[0:1]
	global_load_b64 v[14:15], v3, s[0:1] offset:1536
	global_load_b64 v[3:4], v3, s[0:1] offset:3072
	global_load_b64 v[1:2], v[1:2], off offset:512
	v_mad_u32_u24 v0, v0, s2, v10
	s_and_b32 s4, s4, 0xffff
	v_cmp_eq_u32_e64 s0, 0, v9
	v_cmp_eq_u32_e64 s1, 1, v9
	;; [unrolled: 1-line block ×4, first 2 shown]
	v_mad_u64_u32 v[9:10], null, v0, s4, v[8:9]
	v_and_b32_e32 v10, 0xe0, v8
	v_and_b32_e32 v0, 15, v7
	v_cmp_gt_i32_e32 vcc_lo, 0, v11
	v_or_b32_e32 v23, 32, v22
	v_or_b32_e32 v25, 64, v22
	v_min_u32_e32 v10, 0xa0, v10
	v_cmp_eq_u32_e64 s4, 0, v0
	v_cmp_lt_u32_e64 s5, 1, v0
	v_cmp_lt_u32_e64 s6, 3, v0
	;; [unrolled: 1-line block ×3, first 2 shown]
	v_or_b32_e32 v10, 31, v10
	v_cndmask_b32_e32 v0, v11, v7, vcc_lo
	v_and_b32_e32 v11, 7, v7
	v_or_b32_e32 v26, 0x60, v22
	v_lshrrev_b32_e32 v9, 5, v9
	v_cmp_eq_u32_e64 s9, v10, v8
	v_lshlrev_b32_e32 v28, 2, v0
	v_lshrrev_b32_e32 v0, 3, v8
	v_lshlrev_b32_e32 v10, 2, v8
	v_cmp_eq_u32_e64 s14, 0, v11
	v_cmp_lt_u32_e64 s15, 1, v11
	v_cmp_lt_u32_e64 s16, 3, v11
	v_and_b32_e32 v29, 28, v0
	v_and_or_b32 v0, 0x380, v10, v7
	v_dual_mov_b32 v10, s26 :: v_dual_mov_b32 v11, s27
	v_lshlrev_b32_e32 v24, 5, v8
	v_cmp_gt_u32_e64 s10, 6, v8
	s_delay_alu instid0(VALU_DEP_4)
	v_lshlrev_b32_e32 v32, 3, v0
	v_mul_u32_u24_e32 v0, 28, v8
	v_cmp_lt_u32_e64 s11, 31, v8
	v_mad_i32_i24 v30, 0xffffffe4, v8, v24
	v_or_b32_e32 v27, 24, v24
	v_cmp_eq_u32_e64 s12, 0, v7
	v_cmp_eq_u32_e64 s13, 0, v8
	v_add_nc_u32_e32 v31, -4, v29
	v_add_nc_u32_e32 v33, v30, v0
	s_branch .LBB164_2
.LBB164_1:                              ;   in Loop: Header=BB164_2 Depth=1
	s_barrier
	buffer_gl0_inv
	ds_store_b64 v34, v[14:15]
	ds_store_b64 v35, v[16:17]
	;; [unrolled: 1-line block ×4, first 2 shown]
	s_waitcnt lgkmcnt(0)
	s_barrier
	buffer_gl0_inv
	ds_load_2addr_b64 v[0:3], v33 offset1:1
	ds_load_2addr_b64 v[16:19], v33 offset0:2 offset1:3
	s_add_i32 s27, s27, 1
	s_delay_alu instid0(SALU_CYCLE_1)
	s_cmp_eq_u32 s27, 10
	s_waitcnt lgkmcnt(1)
	v_xor_b32_e32 v5, 0x80000000, v0
	v_xor_b32_e32 v6, 0x80000000, v1
	;; [unrolled: 1-line block ×4, first 2 shown]
	s_waitcnt lgkmcnt(0)
	v_xor_b32_e32 v3, 0x80000000, v16
	v_xor_b32_e32 v4, 0x80000000, v17
	;; [unrolled: 1-line block ×4, first 2 shown]
	s_cbranch_scc1 .LBB164_20
.LBB164_2:                              ; =>This Loop Header: Depth=1
                                        ;     Child Loop BB164_4 Depth 2
	s_waitcnt vmcnt(3)
	v_xor_b32_e32 v0, 0x80000000, v6
	v_xor_b32_e32 v5, 0x80000000, v5
	s_waitcnt vmcnt(2)
	v_xor_b32_e32 v6, 0x80000000, v14
	v_xor_b32_e32 v7, 0x80000000, v15
	s_waitcnt vmcnt(1)
	v_xor_b32_e32 v3, 0x80000000, v3
	ds_bpermute_b32 v14, v22, v0
	ds_bpermute_b32 v15, v22, v5
	s_waitcnt vmcnt(0)
	v_xor_b32_e32 v16, 0x80000000, v1
	ds_bpermute_b32 v1, v22, v7
	ds_bpermute_b32 v17, v22, v6
	v_xor_b32_e32 v4, 0x80000000, v4
	ds_bpermute_b32 v18, v23, v0
	ds_bpermute_b32 v21, v22, v3
	;; [unrolled: 3-line block ×3, first 2 shown]
	ds_bpermute_b32 v34, v22, v16
	ds_bpermute_b32 v35, v23, v7
	;; [unrolled: 1-line block ×9, first 2 shown]
	s_waitcnt lgkmcnt(16)
	v_cndmask_b32_e64 v14, 0, v14, s0
	s_waitcnt lgkmcnt(15)
	v_cndmask_b32_e64 v15, 0, v15, s0
	ds_bpermute_b32 v42, v25, v6
	ds_bpermute_b32 v43, v25, v7
	;; [unrolled: 1-line block ×3, first 2 shown]
	s_waitcnt lgkmcnt(17)
	v_cndmask_b32_e64 v1, v14, v1, s1
	s_waitcnt lgkmcnt(16)
	v_cndmask_b32_e64 v14, v15, v17, s1
	ds_bpermute_b32 v15, v26, v0
	s_waitcnt lgkmcnt(16)
	v_cndmask_b32_e64 v0, 0, v18, s0
	ds_bpermute_b32 v6, v26, v6
	s_waitcnt lgkmcnt(15)
	v_cndmask_b32_e64 v17, 0, v19, s0
	v_cndmask_b32_e64 v14, v14, v21, s2
	s_waitcnt lgkmcnt(14)
	v_cndmask_b32_e64 v1, v1, v20, s2
	s_waitcnt lgkmcnt(12)
	v_cndmask_b32_e64 v18, v0, v35, s1
	ds_bpermute_b32 v19, v25, v4
	ds_bpermute_b32 v20, v25, v3
	v_cndmask_b32_e64 v0, v14, v34, s3
	ds_bpermute_b32 v14, v23, v2
	ds_bpermute_b32 v4, v26, v4
	;; [unrolled: 1-line block ×3, first 2 shown]
	s_waitcnt lgkmcnt(16)
	v_cndmask_b32_e64 v17, v17, v36, s1
	s_waitcnt lgkmcnt(15)
	v_cndmask_b32_e64 v1, v1, v37, s3
	ds_bpermute_b32 v34, v23, v16
	ds_bpermute_b32 v35, v25, v2
	;; [unrolled: 1-line block ×5, first 2 shown]
	s_waitcnt lgkmcnt(19)
	v_cndmask_b32_e64 v2, v18, v39, s2
	s_waitcnt lgkmcnt(17)
	v_cndmask_b32_e64 v3, 0, v41, s0
	v_cndmask_b32_e64 v18, 0, v40, s0
	s_waitcnt lgkmcnt(11)
	v_cndmask_b32_e64 v15, 0, v15, s0
	v_cndmask_b32_e64 v5, 0, v5, s0
	;; [unrolled: 1-line block ×6, first 2 shown]
	s_waitcnt lgkmcnt(10)
	v_cndmask_b32_e64 v5, v5, v6, s1
	s_waitcnt lgkmcnt(7)
	v_cndmask_b32_e64 v3, v2, v14, s3
	v_cndmask_b32_e64 v6, v38, v19, s2
	;; [unrolled: 1-line block ×3, first 2 shown]
	s_waitcnt lgkmcnt(6)
	v_cndmask_b32_e64 v7, v7, v4, s2
	s_waitcnt lgkmcnt(5)
	v_cndmask_b32_e64 v15, v5, v21, s2
	;; [unrolled: 2-line block ×7, first 2 shown]
	s_mov_b32 s20, 8
	s_mov_b32 s21, 32
	;; [unrolled: 1-line block ×3, first 2 shown]
	s_barrier
	s_branch .LBB164_4
.LBB164_3:                              ;   in Loop: Header=BB164_4 Depth=2
	s_barrier
	buffer_gl0_inv
	ds_store_b64 v34, v[14:15]
	ds_store_b64 v35, v[16:17]
	;; [unrolled: 1-line block ×4, first 2 shown]
	s_waitcnt lgkmcnt(0)
	s_barrier
	buffer_gl0_inv
	ds_load_2addr_b64 v[0:3], v32 offset1:32
	ds_load_2addr_b64 v[4:7], v32 offset0:64 offset1:96
	s_add_i32 s21, s21, -8
	s_add_i32 s20, s20, 8
	s_add_i32 s26, s26, 8
	s_waitcnt lgkmcnt(0)
	s_barrier
	s_cbranch_execz .LBB164_1
.LBB164_4:                              ;   Parent Loop BB164_2 Depth=1
                                        ; =>  This Inner Loop Header: Depth=2
	s_min_i32 s18, s20, 32
	s_cmp_lt_u32 s26, 32
	v_dual_mov_b32 v15, v1 :: v_dual_mov_b32 v14, v0
	s_cselect_b32 vcc_lo, -1, 0
	s_cmp_gt_u32 s26, 24
	buffer_gl0_inv
	s_cselect_b32 s17, -1, 0
	s_sub_i32 s18, s18, 32
	v_lshrrev_b32_e32 v1, s26, v15
	s_add_i32 s19, s18, s21
	ds_store_2addr_b64 v24, v[10:11], v[12:13] offset0:3 offset1:4
	ds_store_2addr_b64 v27, v[10:11], v[12:13] offset0:2 offset1:3
	s_lshl_b32 s19, -1, s19
	s_waitcnt lgkmcnt(0)
	s_not_b32 s19, s19
	s_cmp_lg_u32 s18, s26
	s_barrier
	s_cselect_b32 s28, s19, -1
	s_max_i32 s29, s21, 0
	s_max_i32 s18, s26, 32
	v_and_b32_e32 v1, s28, v1
	s_sub_i32 s19, s18, s29
	s_sub_i32 s30, s18, 32
	;; [unrolled: 1-line block ×3, first 2 shown]
	v_lshrrev_b32_e32 v0, s30, v14
	s_min_i32 s18, s19, 32
	buffer_gl0_inv
	s_sub_i32 s18, s18, s30
	s_delay_alu instid0(SALU_CYCLE_1) | instskip(NEXT) | instid1(SALU_CYCLE_1)
	s_lshl_b32 s19, -1, s18
	; wave barrier
	s_not_b32 s19, s19
	s_cmp_lg_u32 s18, 32
	v_cndmask_b32_e32 v1, 0, v1, vcc_lo
	s_cselect_b32 s31, s19, -1
	s_delay_alu instid0(SALU_CYCLE_1) | instskip(NEXT) | instid1(VALU_DEP_1)
	v_and_b32_e32 v0, s31, v0
	v_lshlrev_b32_e32 v0, s29, v0
	s_delay_alu instid0(VALU_DEP_1) | instskip(NEXT) | instid1(VALU_DEP_1)
	v_cndmask_b32_e64 v0, 0, v0, s17
	v_or_b32_e32 v34, v1, v0
	s_delay_alu instid0(VALU_DEP_1)
	v_and_b32_e32 v0, 1, v34
	v_lshlrev_b32_e32 v1, 30, v34
	v_lshlrev_b32_e32 v16, 29, v34
	v_lshlrev_b32_e32 v17, 28, v34
	v_lshlrev_b32_e32 v19, 27, v34
	v_add_co_u32 v0, s18, v0, -1
	s_delay_alu instid0(VALU_DEP_1)
	v_cndmask_b32_e64 v18, 0, 1, s18
	v_not_b32_e32 v35, v1
	v_cmp_gt_i32_e64 s19, 0, v1
	v_not_b32_e32 v1, v16
	v_lshlrev_b32_e32 v20, 26, v34
	v_cmp_ne_u32_e64 s18, 0, v18
	v_ashrrev_i32_e32 v35, 31, v35
	v_lshlrev_b32_e32 v21, 25, v34
	v_ashrrev_i32_e32 v1, 31, v1
	v_lshlrev_b32_e32 v18, 24, v34
	v_xor_b32_e32 v0, s18, v0
	v_cmp_gt_i32_e64 s18, 0, v16
	v_not_b32_e32 v16, v17
	v_xor_b32_e32 v35, s19, v35
	v_cmp_gt_i32_e64 s19, 0, v17
	v_and_b32_e32 v0, exec_lo, v0
	v_not_b32_e32 v17, v19
	v_ashrrev_i32_e32 v16, 31, v16
	v_xor_b32_e32 v1, s18, v1
	v_cmp_gt_i32_e64 s18, 0, v19
	v_and_b32_e32 v0, v0, v35
	v_not_b32_e32 v19, v20
	v_ashrrev_i32_e32 v17, 31, v17
	v_xor_b32_e32 v16, s19, v16
	v_cmp_gt_i32_e64 s19, 0, v20
	v_and_b32_e32 v0, v0, v1
	;; [unrolled: 5-line block ×4, first 2 shown]
	v_ashrrev_i32_e32 v16, 31, v16
	v_xor_b32_e32 v1, s18, v1
	v_dual_mov_b32 v21, v5 :: v_dual_mov_b32 v20, v4
	s_delay_alu instid0(VALU_DEP_4) | instskip(NEXT) | instid1(VALU_DEP_4)
	v_and_b32_e32 v0, v0, v19
	v_xor_b32_e32 v18, s19, v16
	v_dual_mov_b32 v17, v3 :: v_dual_mov_b32 v16, v2
	s_delay_alu instid0(VALU_DEP_3) | instskip(SKIP_1) | instid1(VALU_DEP_2)
	v_and_b32_e32 v0, v0, v1
	v_mad_u64_u32 v[1:2], null, v34, 6, v[9:10]
	v_dual_mov_b32 v19, v7 :: v_dual_and_b32 v0, v0, v18
	v_mov_b32_e32 v18, v6
	s_delay_alu instid0(VALU_DEP_3) | instskip(NEXT) | instid1(VALU_DEP_3)
	v_lshl_add_u32 v35, v1, 2, 24
	v_mbcnt_lo_u32_b32 v34, v0, 0
	v_cmp_ne_u32_e64 s19, 0, v0
	s_delay_alu instid0(VALU_DEP_2) | instskip(NEXT) | instid1(VALU_DEP_1)
	v_cmp_eq_u32_e64 s18, 0, v34
	s_and_b32 s19, s18, s19
	s_delay_alu instid0(SALU_CYCLE_1)
	s_and_saveexec_b32 s18, s19
	s_cbranch_execz .LBB164_6
; %bb.5:                                ;   in Loop: Header=BB164_4 Depth=2
	v_bcnt_u32_b32 v0, v0, 0
	ds_store_b32 v35, v0
.LBB164_6:                              ;   in Loop: Header=BB164_4 Depth=2
	s_or_b32 exec_lo, exec_lo, s18
	v_lshrrev_b32_e32 v0, s30, v16
	v_lshrrev_b32_e32 v1, s26, v17
	; wave barrier
	s_delay_alu instid0(VALU_DEP_1) | instskip(NEXT) | instid1(VALU_DEP_1)
	v_and_b32_e32 v1, s28, v1
	v_dual_cndmask_b32 v1, 0, v1 :: v_dual_and_b32 v0, s31, v0
	s_delay_alu instid0(VALU_DEP_1) | instskip(NEXT) | instid1(VALU_DEP_1)
	v_lshlrev_b32_e32 v0, s29, v0
	v_cndmask_b32_e64 v0, 0, v0, s17
	s_delay_alu instid0(VALU_DEP_1) | instskip(NEXT) | instid1(VALU_DEP_1)
	v_or_b32_e32 v0, v1, v0
	v_and_b32_e32 v2, 1, v0
	v_lshlrev_b32_e32 v3, 30, v0
	v_lshlrev_b32_e32 v4, 29, v0
	;; [unrolled: 1-line block ×4, first 2 shown]
	v_add_co_u32 v2, s18, v2, -1
	s_delay_alu instid0(VALU_DEP_1)
	v_cndmask_b32_e64 v6, 0, 1, s18
	v_not_b32_e32 v38, v3
	v_cmp_gt_i32_e64 s19, 0, v3
	v_not_b32_e32 v3, v4
	v_lshlrev_b32_e32 v36, 26, v0
	v_cmp_ne_u32_e64 s18, 0, v6
	v_ashrrev_i32_e32 v6, 31, v38
	v_lshlrev_b32_e32 v37, 25, v0
	v_ashrrev_i32_e32 v3, 31, v3
	v_mul_lo_u32 v1, v0, 6
	v_xor_b32_e32 v2, s18, v2
	v_cmp_gt_i32_e64 s18, 0, v4
	v_not_b32_e32 v4, v5
	v_xor_b32_e32 v6, s19, v6
	v_cmp_gt_i32_e64 s19, 0, v5
	v_and_b32_e32 v2, exec_lo, v2
	v_not_b32_e32 v5, v7
	v_ashrrev_i32_e32 v4, 31, v4
	v_xor_b32_e32 v3, s18, v3
	v_cmp_gt_i32_e64 s18, 0, v7
	v_and_b32_e32 v2, v2, v6
	v_not_b32_e32 v6, v36
	v_ashrrev_i32_e32 v5, 31, v5
	v_xor_b32_e32 v4, s19, v4
	v_lshlrev_b32_e32 v0, 24, v0
	v_and_b32_e32 v2, v2, v3
	v_cmp_gt_i32_e64 s19, 0, v36
	v_not_b32_e32 v3, v37
	v_ashrrev_i32_e32 v6, 31, v6
	v_xor_b32_e32 v5, s18, v5
	v_and_b32_e32 v2, v2, v4
	v_cmp_gt_i32_e64 s18, 0, v37
	v_not_b32_e32 v4, v0
	v_ashrrev_i32_e32 v3, 31, v3
	v_xor_b32_e32 v6, s19, v6
	v_and_b32_e32 v2, v2, v5
	v_cmp_gt_i32_e64 s19, 0, v0
	v_ashrrev_i32_e32 v0, 31, v4
	v_xor_b32_e32 v3, s18, v3
	v_add_lshl_u32 v1, v1, v9, 2
	v_and_b32_e32 v2, v2, v6
	s_delay_alu instid0(VALU_DEP_4) | instskip(SKIP_3) | instid1(VALU_DEP_2)
	v_xor_b32_e32 v0, s19, v0
	ds_load_b32 v36, v1 offset:24
	v_and_b32_e32 v2, v2, v3
	v_add_nc_u32_e32 v38, 24, v1
	; wave barrier
	v_and_b32_e32 v0, v2, v0
	s_delay_alu instid0(VALU_DEP_1) | instskip(SKIP_1) | instid1(VALU_DEP_2)
	v_mbcnt_lo_u32_b32 v37, v0, 0
	v_cmp_ne_u32_e64 s19, 0, v0
	v_cmp_eq_u32_e64 s18, 0, v37
	s_delay_alu instid0(VALU_DEP_1) | instskip(NEXT) | instid1(SALU_CYCLE_1)
	s_and_b32 s19, s18, s19
	s_and_saveexec_b32 s18, s19
	s_cbranch_execz .LBB164_8
; %bb.7:                                ;   in Loop: Header=BB164_4 Depth=2
	s_waitcnt lgkmcnt(0)
	v_bcnt_u32_b32 v0, v0, v36
	ds_store_b32 v38, v0
.LBB164_8:                              ;   in Loop: Header=BB164_4 Depth=2
	s_or_b32 exec_lo, exec_lo, s18
	v_lshrrev_b32_e32 v0, s30, v20
	v_lshrrev_b32_e32 v1, s26, v21
	; wave barrier
	s_delay_alu instid0(VALU_DEP_1) | instskip(NEXT) | instid1(VALU_DEP_1)
	v_and_b32_e32 v1, s28, v1
	v_dual_cndmask_b32 v1, 0, v1 :: v_dual_and_b32 v0, s31, v0
	s_delay_alu instid0(VALU_DEP_1) | instskip(NEXT) | instid1(VALU_DEP_1)
	v_lshlrev_b32_e32 v0, s29, v0
	v_cndmask_b32_e64 v0, 0, v0, s17
	s_delay_alu instid0(VALU_DEP_1) | instskip(NEXT) | instid1(VALU_DEP_1)
	v_or_b32_e32 v0, v1, v0
	v_and_b32_e32 v2, 1, v0
	v_lshlrev_b32_e32 v3, 30, v0
	v_lshlrev_b32_e32 v4, 29, v0
	;; [unrolled: 1-line block ×4, first 2 shown]
	v_add_co_u32 v2, s18, v2, -1
	s_delay_alu instid0(VALU_DEP_1)
	v_cndmask_b32_e64 v6, 0, 1, s18
	v_not_b32_e32 v41, v3
	v_cmp_gt_i32_e64 s19, 0, v3
	v_not_b32_e32 v3, v4
	v_lshlrev_b32_e32 v39, 26, v0
	v_cmp_ne_u32_e64 s18, 0, v6
	v_ashrrev_i32_e32 v6, 31, v41
	v_lshlrev_b32_e32 v40, 25, v0
	v_ashrrev_i32_e32 v3, 31, v3
	v_mul_lo_u32 v1, v0, 6
	v_xor_b32_e32 v2, s18, v2
	v_cmp_gt_i32_e64 s18, 0, v4
	v_not_b32_e32 v4, v5
	v_xor_b32_e32 v6, s19, v6
	v_cmp_gt_i32_e64 s19, 0, v5
	v_and_b32_e32 v2, exec_lo, v2
	v_not_b32_e32 v5, v7
	v_ashrrev_i32_e32 v4, 31, v4
	v_xor_b32_e32 v3, s18, v3
	v_cmp_gt_i32_e64 s18, 0, v7
	v_and_b32_e32 v2, v2, v6
	v_not_b32_e32 v6, v39
	v_ashrrev_i32_e32 v5, 31, v5
	v_xor_b32_e32 v4, s19, v4
	v_lshlrev_b32_e32 v0, 24, v0
	v_and_b32_e32 v2, v2, v3
	v_cmp_gt_i32_e64 s19, 0, v39
	v_not_b32_e32 v3, v40
	v_ashrrev_i32_e32 v6, 31, v6
	v_xor_b32_e32 v5, s18, v5
	v_and_b32_e32 v2, v2, v4
	v_cmp_gt_i32_e64 s18, 0, v40
	v_not_b32_e32 v4, v0
	v_ashrrev_i32_e32 v3, 31, v3
	v_xor_b32_e32 v6, s19, v6
	v_and_b32_e32 v2, v2, v5
	v_cmp_gt_i32_e64 s19, 0, v0
	v_ashrrev_i32_e32 v0, 31, v4
	v_xor_b32_e32 v3, s18, v3
	v_add_lshl_u32 v1, v1, v9, 2
	v_and_b32_e32 v2, v2, v6
	s_delay_alu instid0(VALU_DEP_4) | instskip(SKIP_3) | instid1(VALU_DEP_2)
	v_xor_b32_e32 v0, s19, v0
	ds_load_b32 v39, v1 offset:24
	v_and_b32_e32 v2, v2, v3
	v_add_nc_u32_e32 v41, 24, v1
	; wave barrier
	v_and_b32_e32 v0, v2, v0
	s_delay_alu instid0(VALU_DEP_1) | instskip(SKIP_1) | instid1(VALU_DEP_2)
	v_mbcnt_lo_u32_b32 v40, v0, 0
	v_cmp_ne_u32_e64 s19, 0, v0
	v_cmp_eq_u32_e64 s18, 0, v40
	s_delay_alu instid0(VALU_DEP_1) | instskip(NEXT) | instid1(SALU_CYCLE_1)
	s_and_b32 s19, s18, s19
	s_and_saveexec_b32 s18, s19
	s_cbranch_execz .LBB164_10
; %bb.9:                                ;   in Loop: Header=BB164_4 Depth=2
	s_waitcnt lgkmcnt(0)
	v_bcnt_u32_b32 v0, v0, v39
	ds_store_b32 v41, v0
.LBB164_10:                             ;   in Loop: Header=BB164_4 Depth=2
	s_or_b32 exec_lo, exec_lo, s18
	v_lshrrev_b32_e32 v0, s30, v18
	v_lshrrev_b32_e32 v1, s26, v19
	; wave barrier
	s_delay_alu instid0(VALU_DEP_1) | instskip(NEXT) | instid1(VALU_DEP_1)
	v_and_b32_e32 v1, s28, v1
	v_dual_cndmask_b32 v1, 0, v1 :: v_dual_and_b32 v0, s31, v0
	s_delay_alu instid0(VALU_DEP_1) | instskip(NEXT) | instid1(VALU_DEP_1)
	v_lshlrev_b32_e32 v0, s29, v0
	v_cndmask_b32_e64 v0, 0, v0, s17
	s_delay_alu instid0(VALU_DEP_1) | instskip(NEXT) | instid1(VALU_DEP_1)
	v_or_b32_e32 v0, v1, v0
	v_and_b32_e32 v2, 1, v0
	v_lshlrev_b32_e32 v3, 30, v0
	v_lshlrev_b32_e32 v4, 29, v0
	;; [unrolled: 1-line block ×4, first 2 shown]
	v_add_co_u32 v2, s17, v2, -1
	s_delay_alu instid0(VALU_DEP_1)
	v_cndmask_b32_e64 v6, 0, 1, s17
	v_not_b32_e32 v44, v3
	v_cmp_gt_i32_e64 s17, 0, v3
	v_not_b32_e32 v3, v4
	v_lshlrev_b32_e32 v42, 26, v0
	v_cmp_ne_u32_e32 vcc_lo, 0, v6
	v_ashrrev_i32_e32 v6, 31, v44
	v_lshlrev_b32_e32 v43, 25, v0
	v_ashrrev_i32_e32 v3, 31, v3
	v_mul_lo_u32 v1, v0, 6
	v_xor_b32_e32 v2, vcc_lo, v2
	v_cmp_gt_i32_e32 vcc_lo, 0, v4
	v_not_b32_e32 v4, v5
	v_xor_b32_e32 v6, s17, v6
	v_cmp_gt_i32_e64 s17, 0, v5
	v_and_b32_e32 v2, exec_lo, v2
	v_not_b32_e32 v5, v7
	v_ashrrev_i32_e32 v4, 31, v4
	v_xor_b32_e32 v3, vcc_lo, v3
	v_cmp_gt_i32_e32 vcc_lo, 0, v7
	v_and_b32_e32 v2, v2, v6
	v_not_b32_e32 v6, v42
	v_ashrrev_i32_e32 v5, 31, v5
	v_xor_b32_e32 v4, s17, v4
	v_lshlrev_b32_e32 v0, 24, v0
	v_and_b32_e32 v2, v2, v3
	v_cmp_gt_i32_e64 s17, 0, v42
	v_not_b32_e32 v3, v43
	v_ashrrev_i32_e32 v6, 31, v6
	v_xor_b32_e32 v5, vcc_lo, v5
	v_and_b32_e32 v2, v2, v4
	v_cmp_gt_i32_e32 vcc_lo, 0, v43
	v_not_b32_e32 v4, v0
	v_ashrrev_i32_e32 v3, 31, v3
	v_xor_b32_e32 v6, s17, v6
	v_and_b32_e32 v2, v2, v5
	v_cmp_gt_i32_e64 s17, 0, v0
	v_ashrrev_i32_e32 v0, 31, v4
	v_xor_b32_e32 v3, vcc_lo, v3
	v_add_lshl_u32 v1, v1, v9, 2
	v_and_b32_e32 v2, v2, v6
	s_delay_alu instid0(VALU_DEP_4) | instskip(SKIP_3) | instid1(VALU_DEP_2)
	v_xor_b32_e32 v0, s17, v0
	ds_load_b32 v42, v1 offset:24
	v_and_b32_e32 v2, v2, v3
	v_add_nc_u32_e32 v44, 24, v1
	; wave barrier
	v_and_b32_e32 v0, v2, v0
	s_delay_alu instid0(VALU_DEP_1) | instskip(SKIP_1) | instid1(VALU_DEP_2)
	v_mbcnt_lo_u32_b32 v43, v0, 0
	v_cmp_ne_u32_e64 s17, 0, v0
	v_cmp_eq_u32_e32 vcc_lo, 0, v43
	s_delay_alu instid0(VALU_DEP_2) | instskip(NEXT) | instid1(SALU_CYCLE_1)
	s_and_b32 s18, vcc_lo, s17
	s_and_saveexec_b32 s17, s18
	s_cbranch_execz .LBB164_12
; %bb.11:                               ;   in Loop: Header=BB164_4 Depth=2
	s_waitcnt lgkmcnt(0)
	v_bcnt_u32_b32 v0, v0, v42
	ds_store_b32 v44, v0
.LBB164_12:                             ;   in Loop: Header=BB164_4 Depth=2
	s_or_b32 exec_lo, exec_lo, s17
	; wave barrier
	s_waitcnt lgkmcnt(0)
	s_barrier
	buffer_gl0_inv
	ds_load_2addr_b64 v[4:7], v24 offset0:3 offset1:4
	ds_load_2addr_b64 v[0:3], v27 offset0:2 offset1:3
	s_waitcnt lgkmcnt(1)
	v_add_nc_u32_e32 v45, v5, v4
	s_delay_alu instid0(VALU_DEP_1) | instskip(SKIP_1) | instid1(VALU_DEP_1)
	v_add3_u32 v45, v45, v6, v7
	s_waitcnt lgkmcnt(0)
	v_add3_u32 v45, v45, v0, v1
	s_delay_alu instid0(VALU_DEP_1) | instskip(NEXT) | instid1(VALU_DEP_1)
	v_add3_u32 v3, v45, v2, v3
	v_mov_b32_dpp v45, v3 row_shr:1 row_mask:0xf bank_mask:0xf
	s_delay_alu instid0(VALU_DEP_1) | instskip(NEXT) | instid1(VALU_DEP_1)
	v_cndmask_b32_e64 v45, v45, 0, s4
	v_add_nc_u32_e32 v3, v45, v3
	s_delay_alu instid0(VALU_DEP_1) | instskip(NEXT) | instid1(VALU_DEP_1)
	v_mov_b32_dpp v45, v3 row_shr:2 row_mask:0xf bank_mask:0xf
	v_cndmask_b32_e64 v45, 0, v45, s5
	s_delay_alu instid0(VALU_DEP_1) | instskip(NEXT) | instid1(VALU_DEP_1)
	v_add_nc_u32_e32 v3, v3, v45
	v_mov_b32_dpp v45, v3 row_shr:4 row_mask:0xf bank_mask:0xf
	s_delay_alu instid0(VALU_DEP_1) | instskip(NEXT) | instid1(VALU_DEP_1)
	v_cndmask_b32_e64 v45, 0, v45, s6
	v_add_nc_u32_e32 v3, v3, v45
	s_delay_alu instid0(VALU_DEP_1) | instskip(NEXT) | instid1(VALU_DEP_1)
	v_mov_b32_dpp v45, v3 row_shr:8 row_mask:0xf bank_mask:0xf
	v_cndmask_b32_e64 v45, 0, v45, s7
	s_delay_alu instid0(VALU_DEP_1) | instskip(SKIP_3) | instid1(VALU_DEP_1)
	v_add_nc_u32_e32 v3, v3, v45
	ds_swizzle_b32 v45, v3 offset:swizzle(BROADCAST,32,15)
	s_waitcnt lgkmcnt(0)
	v_cndmask_b32_e64 v45, v45, 0, s8
	v_add_nc_u32_e32 v3, v3, v45
	s_and_saveexec_b32 s17, s9
	s_cbranch_execz .LBB164_14
; %bb.13:                               ;   in Loop: Header=BB164_4 Depth=2
	ds_store_b32 v29, v3
.LBB164_14:                             ;   in Loop: Header=BB164_4 Depth=2
	s_or_b32 exec_lo, exec_lo, s17
	s_waitcnt lgkmcnt(0)
	s_barrier
	buffer_gl0_inv
	s_and_saveexec_b32 s17, s10
	s_cbranch_execz .LBB164_16
; %bb.15:                               ;   in Loop: Header=BB164_4 Depth=2
	ds_load_b32 v45, v30
	s_waitcnt lgkmcnt(0)
	v_mov_b32_dpp v46, v45 row_shr:1 row_mask:0xf bank_mask:0xf
	s_delay_alu instid0(VALU_DEP_1) | instskip(NEXT) | instid1(VALU_DEP_1)
	v_cndmask_b32_e64 v46, v46, 0, s14
	v_add_nc_u32_e32 v45, v46, v45
	s_delay_alu instid0(VALU_DEP_1) | instskip(NEXT) | instid1(VALU_DEP_1)
	v_mov_b32_dpp v46, v45 row_shr:2 row_mask:0xf bank_mask:0xf
	v_cndmask_b32_e64 v46, 0, v46, s15
	s_delay_alu instid0(VALU_DEP_1) | instskip(NEXT) | instid1(VALU_DEP_1)
	v_add_nc_u32_e32 v45, v45, v46
	v_mov_b32_dpp v46, v45 row_shr:4 row_mask:0xf bank_mask:0xf
	s_delay_alu instid0(VALU_DEP_1) | instskip(NEXT) | instid1(VALU_DEP_1)
	v_cndmask_b32_e64 v46, 0, v46, s16
	v_add_nc_u32_e32 v45, v45, v46
	ds_store_b32 v30, v45
.LBB164_16:                             ;   in Loop: Header=BB164_4 Depth=2
	s_or_b32 exec_lo, exec_lo, s17
	v_mov_b32_e32 v45, 0
	s_waitcnt lgkmcnt(0)
	s_barrier
	buffer_gl0_inv
	s_and_saveexec_b32 s17, s11
	s_cbranch_execz .LBB164_18
; %bb.17:                               ;   in Loop: Header=BB164_4 Depth=2
	ds_load_b32 v45, v31
.LBB164_18:                             ;   in Loop: Header=BB164_4 Depth=2
	s_or_b32 exec_lo, exec_lo, s17
	s_waitcnt lgkmcnt(0)
	v_add_nc_u32_e32 v3, v45, v3
	s_cmp_gt_u32 s26, 55
	ds_bpermute_b32 v3, v28, v3
	s_waitcnt lgkmcnt(0)
	v_cndmask_b32_e64 v3, v3, v45, s12
	s_delay_alu instid0(VALU_DEP_1) | instskip(NEXT) | instid1(VALU_DEP_1)
	v_cndmask_b32_e64 v3, v3, 0, s13
	v_add_nc_u32_e32 v4, v3, v4
	s_delay_alu instid0(VALU_DEP_1) | instskip(NEXT) | instid1(VALU_DEP_1)
	v_add_nc_u32_e32 v5, v4, v5
	v_add_nc_u32_e32 v6, v5, v6
	s_delay_alu instid0(VALU_DEP_1) | instskip(SKIP_1) | instid1(VALU_DEP_2)
	v_add_nc_u32_e32 v45, v6, v7
	v_lshlrev_b32_e32 v7, 3, v40
	v_add_nc_u32_e32 v46, v45, v0
	s_delay_alu instid0(VALU_DEP_1) | instskip(NEXT) | instid1(VALU_DEP_1)
	v_add_nc_u32_e32 v0, v46, v1
	v_add_nc_u32_e32 v1, v0, v2
	ds_store_2addr_b64 v24, v[3:4], v[5:6] offset0:3 offset1:4
	ds_store_2addr_b64 v27, v[45:46], v[0:1] offset0:2 offset1:3
	s_waitcnt lgkmcnt(0)
	s_barrier
	buffer_gl0_inv
	ds_load_b32 v0, v38
	ds_load_b32 v1, v41
	;; [unrolled: 1-line block ×4, first 2 shown]
	v_lshlrev_b32_e32 v4, 3, v34
	v_lshlrev_b32_e32 v5, 3, v37
	;; [unrolled: 1-line block ×6, first 2 shown]
	s_waitcnt lgkmcnt(0)
	v_lshlrev_b32_e32 v0, 3, v0
	v_lshlrev_b32_e32 v1, 3, v1
	v_lshlrev_b32_e32 v2, 3, v2
	v_lshl_add_u32 v34, v3, 3, v4
	s_delay_alu instid0(VALU_DEP_4) | instskip(NEXT) | instid1(VALU_DEP_4)
	v_add3_u32 v35, v5, v6, v0
	v_add3_u32 v36, v7, v36, v1
	s_delay_alu instid0(VALU_DEP_4)
	v_add3_u32 v37, v37, v38, v2
	s_cbranch_scc0 .LBB164_3
; %bb.19:                               ;   in Loop: Header=BB164_2 Depth=1
                                        ; implicit-def: $sgpr26
                                        ; implicit-def: $vgpr0_vgpr1
                                        ; implicit-def: $vgpr4_vgpr5
                                        ; implicit-def: $sgpr21
                                        ; implicit-def: $sgpr20
	s_branch .LBB164_1
.LBB164_20:
	v_lshlrev_b32_e32 v0, 3, v8
	s_add_u32 s0, s22, s24
	s_addc_u32 s1, s23, s25
	s_delay_alu instid0(VALU_DEP_1) | instskip(NEXT) | instid1(VALU_DEP_1)
	v_add_co_u32 v7, s2, s0, v0
	v_add_co_ci_u32_e64 v8, null, s1, 0, s2
	s_delay_alu instid0(VALU_DEP_2) | instskip(NEXT) | instid1(VALU_DEP_2)
	v_add_co_u32 v7, vcc_lo, 0x1000, v7
	v_add_co_ci_u32_e32 v8, vcc_lo, 0, v8, vcc_lo
	s_clause 0x3
	global_store_b64 v0, v[5:6], s[0:1]
	global_store_b64 v0, v[14:15], s[0:1] offset:1536
	global_store_b64 v0, v[3:4], s[0:1] offset:3072
	global_store_b64 v[7:8], v[1:2], off offset:512
	s_nop 0
	s_sendmsg sendmsg(MSG_DEALLOC_VGPRS)
	s_endpgm
	.section	.rodata,"a",@progbits
	.p2align	6, 0x0
	.amdhsa_kernel _Z16sort_keys_kernelI22helper_blocked_blockedN15benchmark_utils11custom_typeIiiEELj192ELj4ELj10EEvPKT0_PS4_
		.amdhsa_group_segment_fixed_size 6176
		.amdhsa_private_segment_fixed_size 0
		.amdhsa_kernarg_size 272
		.amdhsa_user_sgpr_count 15
		.amdhsa_user_sgpr_dispatch_ptr 0
		.amdhsa_user_sgpr_queue_ptr 0
		.amdhsa_user_sgpr_kernarg_segment_ptr 1
		.amdhsa_user_sgpr_dispatch_id 0
		.amdhsa_user_sgpr_private_segment_size 0
		.amdhsa_wavefront_size32 1
		.amdhsa_uses_dynamic_stack 0
		.amdhsa_enable_private_segment 0
		.amdhsa_system_sgpr_workgroup_id_x 1
		.amdhsa_system_sgpr_workgroup_id_y 0
		.amdhsa_system_sgpr_workgroup_id_z 0
		.amdhsa_system_sgpr_workgroup_info 0
		.amdhsa_system_vgpr_workitem_id 2
		.amdhsa_next_free_vgpr 47
		.amdhsa_next_free_sgpr 32
		.amdhsa_reserve_vcc 1
		.amdhsa_float_round_mode_32 0
		.amdhsa_float_round_mode_16_64 0
		.amdhsa_float_denorm_mode_32 3
		.amdhsa_float_denorm_mode_16_64 3
		.amdhsa_dx10_clamp 1
		.amdhsa_ieee_mode 1
		.amdhsa_fp16_overflow 0
		.amdhsa_workgroup_processor_mode 1
		.amdhsa_memory_ordered 1
		.amdhsa_forward_progress 0
		.amdhsa_shared_vgpr_count 0
		.amdhsa_exception_fp_ieee_invalid_op 0
		.amdhsa_exception_fp_denorm_src 0
		.amdhsa_exception_fp_ieee_div_zero 0
		.amdhsa_exception_fp_ieee_overflow 0
		.amdhsa_exception_fp_ieee_underflow 0
		.amdhsa_exception_fp_ieee_inexact 0
		.amdhsa_exception_int_div_zero 0
	.end_amdhsa_kernel
	.section	.text._Z16sort_keys_kernelI22helper_blocked_blockedN15benchmark_utils11custom_typeIiiEELj192ELj4ELj10EEvPKT0_PS4_,"axG",@progbits,_Z16sort_keys_kernelI22helper_blocked_blockedN15benchmark_utils11custom_typeIiiEELj192ELj4ELj10EEvPKT0_PS4_,comdat
.Lfunc_end164:
	.size	_Z16sort_keys_kernelI22helper_blocked_blockedN15benchmark_utils11custom_typeIiiEELj192ELj4ELj10EEvPKT0_PS4_, .Lfunc_end164-_Z16sort_keys_kernelI22helper_blocked_blockedN15benchmark_utils11custom_typeIiiEELj192ELj4ELj10EEvPKT0_PS4_
                                        ; -- End function
	.section	.AMDGPU.csdata,"",@progbits
; Kernel info:
; codeLenInByte = 3864
; NumSgprs: 34
; NumVgprs: 47
; ScratchSize: 0
; MemoryBound: 0
; FloatMode: 240
; IeeeMode: 1
; LDSByteSize: 6176 bytes/workgroup (compile time only)
; SGPRBlocks: 4
; VGPRBlocks: 5
; NumSGPRsForWavesPerEU: 34
; NumVGPRsForWavesPerEU: 47
; Occupancy: 15
; WaveLimiterHint : 1
; COMPUTE_PGM_RSRC2:SCRATCH_EN: 0
; COMPUTE_PGM_RSRC2:USER_SGPR: 15
; COMPUTE_PGM_RSRC2:TRAP_HANDLER: 0
; COMPUTE_PGM_RSRC2:TGID_X_EN: 1
; COMPUTE_PGM_RSRC2:TGID_Y_EN: 0
; COMPUTE_PGM_RSRC2:TGID_Z_EN: 0
; COMPUTE_PGM_RSRC2:TIDIG_COMP_CNT: 2
	.section	.text._Z17sort_pairs_kernelI22helper_blocked_blockedN15benchmark_utils11custom_typeIiiEELj192ELj4ELj10EEvPKT0_PS4_,"axG",@progbits,_Z17sort_pairs_kernelI22helper_blocked_blockedN15benchmark_utils11custom_typeIiiEELj192ELj4ELj10EEvPKT0_PS4_,comdat
	.protected	_Z17sort_pairs_kernelI22helper_blocked_blockedN15benchmark_utils11custom_typeIiiEELj192ELj4ELj10EEvPKT0_PS4_ ; -- Begin function _Z17sort_pairs_kernelI22helper_blocked_blockedN15benchmark_utils11custom_typeIiiEELj192ELj4ELj10EEvPKT0_PS4_
	.globl	_Z17sort_pairs_kernelI22helper_blocked_blockedN15benchmark_utils11custom_typeIiiEELj192ELj4ELj10EEvPKT0_PS4_
	.p2align	8
	.type	_Z17sort_pairs_kernelI22helper_blocked_blockedN15benchmark_utils11custom_typeIiiEELj192ELj4ELj10EEvPKT0_PS4_,@function
_Z17sort_pairs_kernelI22helper_blocked_blockedN15benchmark_utils11custom_typeIiiEELj192ELj4ELj10EEvPKT0_PS4_: ; @_Z17sort_pairs_kernelI22helper_blocked_blockedN15benchmark_utils11custom_typeIiiEELj192ELj4ELj10EEvPKT0_PS4_
; %bb.0:
	s_clause 0x1
	s_load_b128 s[20:23], s[0:1], 0x0
	s_load_b32 s16, s[0:1], 0x1c
	v_and_b32_e32 v18, 0x3ff, v0
	v_mbcnt_lo_u32_b32 v9, -1, 0
	s_mov_b32 s27, 0
	s_mul_i32 s26, s15, 0x300
	v_bfe_u32 v8, v0, 10, 10
	s_lshl_b64 s[24:25], s[26:27], 3
	v_add_nc_u32_e32 v14, -1, v9
	v_lshlrev_b32_e32 v5, 3, v18
	v_and_b32_e32 v10, 15, v9
	v_and_b32_e32 v7, 3, v9
	v_bfe_u32 v0, v0, 20, 10
	v_and_b32_e32 v11, 16, v9
	v_and_b32_e32 v15, 7, v9
	v_cmp_eq_u32_e64 s5, 0, v10
	v_cmp_lt_u32_e64 s6, 1, v10
	v_cmp_lt_u32_e64 s7, 3, v10
	;; [unrolled: 1-line block ×3, first 2 shown]
	v_cmp_eq_u32_e64 s3, 2, v7
	s_waitcnt lgkmcnt(0)
	s_add_u32 s0, s20, s24
	s_addc_u32 s1, s21, s25
	v_add_co_u32 v3, s2, s0, v5
	s_delay_alu instid0(VALU_DEP_1) | instskip(SKIP_1) | instid1(VALU_DEP_3)
	v_add_co_ci_u32_e64 v4, null, s1, 0, s2
	v_cmp_eq_u32_e64 s2, 1, v7
	v_add_co_u32 v3, vcc_lo, 0x1000, v3
	s_delay_alu instid0(VALU_DEP_3)
	v_add_co_ci_u32_e32 v4, vcc_lo, 0, v4, vcc_lo
	v_cmp_gt_i32_e32 vcc_lo, 0, v14
	v_cmp_eq_u32_e64 s4, 3, v7
	s_lshr_b32 s17, s16, 16
	v_lshlrev_b32_e32 v38, 5, v18
	v_mad_u32_u24 v0, v0, s17, v8
	v_cndmask_b32_e32 v10, v14, v9, vcc_lo
	s_clause 0x3
	global_load_b64 v[1:2], v5, s[0:1]
	global_load_b64 v[12:13], v5, s[0:1] offset:1536
	global_load_b64 v[5:6], v5, s[0:1] offset:3072
	global_load_b64 v[3:4], v[3:4], off offset:512
	v_cmp_eq_u32_e64 s1, 0, v7
	v_and_b32_e32 v7, 0xe0, v18
	v_cmp_eq_u32_e64 s9, 0, v11
	v_lshrrev_b32_e32 v11, 3, v18
	v_cmp_eq_u32_e64 s13, 0, v15
	v_cmp_lt_u32_e64 s14, 1, v15
	v_cmp_lt_u32_e64 s15, 3, v15
	v_lshlrev_b32_e32 v14, 2, v18
	v_min_u32_e32 v15, 0xa0, v7
	s_and_b32 s16, s16, 0xffff
	v_and_b32_e32 v34, 28, v9
	v_mad_u64_u32 v[7:8], null, v0, s16, v[18:19]
	v_mul_u32_u24_e32 v20, 28, v18
	v_and_b32_e32 v40, 28, v11
	v_and_or_b32 v0, 0x380, v14, v9
	v_or_b32_e32 v8, 31, v15
	v_mad_i32_i24 v42, 0xffffffe4, v18, v38
	v_cmp_eq_u32_e64 s0, 0, v9
	v_or_b32_e32 v35, 32, v34
	v_or_b32_e32 v36, 64, v34
	;; [unrolled: 1-line block ×3, first 2 shown]
	v_cmp_gt_u32_e64 s10, 6, v18
	v_cmp_lt_u32_e64 s11, 31, v18
	v_cmp_eq_u32_e64 s12, 0, v18
	v_or_b32_e32 v39, 24, v38
	v_lshlrev_b32_e32 v41, 2, v10
	v_add_nc_u32_e32 v43, -4, v40
	v_lshlrev_b32_e32 v44, 3, v0
	v_cmp_eq_u32_e64 s16, v8, v18
	v_lshrrev_b32_e32 v19, 5, v7
	v_add_nc_u32_e32 v45, v42, v20
	s_mov_b32 s26, s27
	s_mov_b32 s20, s27
	;; [unrolled: 1-line block ×4, first 2 shown]
	s_waitcnt vmcnt(2)
	v_add_nc_u32_e32 v17, 1, v13
	v_add_nc_u32_e32 v15, 1, v2
	;; [unrolled: 1-line block ×4, first 2 shown]
	s_waitcnt vmcnt(1)
	v_add_nc_u32_e32 v9, 1, v6
	v_add_nc_u32_e32 v8, 1, v5
	s_waitcnt vmcnt(0)
	v_add_nc_u32_e32 v11, 1, v4
	v_add_nc_u32_e32 v10, 1, v3
	s_branch .LBB165_2
.LBB165_1:                              ;   in Loop: Header=BB165_2 Depth=1
	s_barrier
	buffer_gl0_inv
	ds_store_b64 v46, v[16:17]
	ds_store_b64 v47, v[32:33]
	;; [unrolled: 1-line block ×4, first 2 shown]
	s_waitcnt lgkmcnt(0)
	s_barrier
	buffer_gl0_inv
	ds_load_2addr_b64 v[1:4], v45 offset1:1
	ds_load_2addr_b64 v[28:31], v45 offset0:2 offset1:3
	s_waitcnt lgkmcnt(0)
	s_barrier
	buffer_gl0_inv
	ds_store_b64 v46, v[24:25]
	ds_store_b64 v47, v[22:23]
	;; [unrolled: 1-line block ×4, first 2 shown]
	s_waitcnt lgkmcnt(0)
	s_barrier
	buffer_gl0_inv
	ds_load_2addr_b64 v[14:17], v45 offset1:1
	ds_load_2addr_b64 v[8:11], v45 offset0:2 offset1:3
	s_add_i32 s28, s28, 1
	s_delay_alu instid0(SALU_CYCLE_1)
	s_cmp_lg_u32 s28, 10
	v_xor_b32_e32 v1, 0x80000000, v1
	v_xor_b32_e32 v2, 0x80000000, v2
	;; [unrolled: 1-line block ×8, first 2 shown]
	s_cbranch_scc0 .LBB165_20
.LBB165_2:                              ; =>This Loop Header: Depth=1
                                        ;     Child Loop BB165_4 Depth 2
	v_xor_b32_e32 v0, 0x80000000, v2
	v_xor_b32_e32 v2, 0x80000000, v1
	;; [unrolled: 1-line block ×5, first 2 shown]
	ds_bpermute_b32 v1, v34, v0
	ds_bpermute_b32 v3, v34, v2
	v_xor_b32_e32 v5, 0x80000000, v5
	ds_bpermute_b32 v20, v34, v12
	v_xor_b32_e32 v6, 0x80000000, v6
	ds_bpermute_b32 v21, v34, v7
	ds_bpermute_b32 v23, v35, v0
	v_xor_b32_e32 v4, 0x80000000, v4
	ds_bpermute_b32 v22, v34, v5
	ds_bpermute_b32 v24, v34, v6
	;; [unrolled: 1-line block ×12, first 2 shown]
	s_waitcnt lgkmcnt(16)
	v_cndmask_b32_e64 v1, 0, v1, s1
	ds_bpermute_b32 v48, v36, v12
	s_waitcnt lgkmcnt(16)
	v_cndmask_b32_e64 v3, 0, v3, s1
	ds_bpermute_b32 v46, v35, v13
	ds_bpermute_b32 v47, v35, v4
	s_waitcnt lgkmcnt(17)
	v_cndmask_b32_e64 v1, v1, v20, s2
	ds_bpermute_b32 v20, v36, v5
	ds_bpermute_b32 v50, v36, v6
	s_waitcnt lgkmcnt(17)
	v_cndmask_b32_e64 v23, 0, v23, s1
	v_cndmask_b32_e64 v3, v3, v21, s2
	s_waitcnt lgkmcnt(15)
	v_cndmask_b32_e64 v1, v1, v24, s3
	s_waitcnt lgkmcnt(14)
	v_cndmask_b32_e64 v21, 0, v26, s1
	ds_bpermute_b32 v24, v37, v0
	s_waitcnt lgkmcnt(14)
	v_cndmask_b32_e64 v0, v23, v28, s2
	v_cndmask_b32_e64 v3, v3, v22, s3
	s_waitcnt lgkmcnt(13)
	v_cndmask_b32_e64 v23, 0, v33, s1
	s_waitcnt lgkmcnt(11)
	;; [unrolled: 2-line block ×4, first 2 shown]
	v_cndmask_b32_e64 v22, 0, v32, s1
	ds_bpermute_b32 v26, v37, v2
	v_cndmask_b32_e64 v2, v0, v31, s3
	s_waitcnt lgkmcnt(8)
	v_cndmask_b32_e64 v23, v23, v49, s2
	v_cndmask_b32_e64 v0, v3, v25, s4
	ds_bpermute_b32 v12, v37, v12
	ds_bpermute_b32 v25, v34, v15
	;; [unrolled: 1-line block ×3, first 2 shown]
	s_waitcnt lgkmcnt(10)
	v_cndmask_b32_e64 v21, v21, v30, s3
	s_waitcnt lgkmcnt(9)
	v_cndmask_b32_e64 v22, v22, v48, s2
	;; [unrolled: 2-line block ×3, first 2 shown]
	ds_bpermute_b32 v23, v36, v4
	ds_bpermute_b32 v7, v37, v7
	;; [unrolled: 1-line block ×4, first 2 shown]
	v_cndmask_b32_e64 v3, v2, v47, s4
	v_cndmask_b32_e64 v2, v21, v46, s4
	s_waitcnt lgkmcnt(9)
	v_cndmask_b32_e64 v21, v22, v50, s3
	ds_bpermute_b32 v22, v36, v13
	ds_bpermute_b32 v6, v37, v6
	;; [unrolled: 1-line block ×7, first 2 shown]
	s_waitcnt lgkmcnt(15)
	v_cndmask_b32_e64 v24, 0, v24, s1
	ds_bpermute_b32 v31, v37, v4
	ds_bpermute_b32 v13, v37, v13
	;; [unrolled: 1-line block ×6, first 2 shown]
	s_waitcnt lgkmcnt(20)
	v_cndmask_b32_e64 v26, 0, v26, s1
	s_waitcnt lgkmcnt(19)
	v_cndmask_b32_e64 v4, v24, v12, s2
	s_waitcnt lgkmcnt(18)
	v_cndmask_b32_e64 v12, 0, v25, s1
	s_waitcnt lgkmcnt(17)
	v_cndmask_b32_e64 v24, 0, v27, s1
	s_waitcnt lgkmcnt(16)
	v_cndmask_b32_e64 v5, v21, v23, s4
	s_waitcnt lgkmcnt(15)
	v_cndmask_b32_e64 v7, v26, v7, s2
	ds_bpermute_b32 v26, v36, v17
	s_waitcnt lgkmcnt(15)
	v_cndmask_b32_e64 v12, v12, v28, s2
	s_waitcnt lgkmcnt(14)
	v_cndmask_b32_e64 v21, v24, v29, s2
	;; [unrolled: 2-line block ×3, first 2 shown]
	v_cndmask_b32_e64 v4, v20, v22, s4
	s_waitcnt lgkmcnt(11)
	v_cndmask_b32_e64 v20, v7, v30, s3
	s_waitcnt lgkmcnt(10)
	;; [unrolled: 2-line block ×11, first 2 shown]
	v_cndmask_b32_e64 v21, v23, v51, s2
	ds_bpermute_b32 v22, v35, v9
	ds_bpermute_b32 v23, v36, v15
	;; [unrolled: 1-line block ×19, first 2 shown]
	s_mov_b32 s29, 8
	s_waitcnt lgkmcnt(18)
	v_cndmask_b32_e64 v20, v20, v22, s3
	s_waitcnt lgkmcnt(17)
	v_cndmask_b32_e64 v22, 0, v23, s1
	;; [unrolled: 2-line block ×5, first 2 shown]
	s_mov_b32 s30, 32
	v_cndmask_b32_e64 v22, v22, v26, s2
	s_waitcnt lgkmcnt(13)
	v_cndmask_b32_e64 v23, v23, v27, s2
	s_waitcnt lgkmcnt(12)
	;; [unrolled: 2-line block ×14, first 2 shown]
	v_cndmask_b32_e64 v10, v22, v10, s4
	s_mov_b32 s31, 0
	s_barrier
	s_branch .LBB165_4
.LBB165_3:                              ;   in Loop: Header=BB165_4 Depth=2
	s_barrier
	buffer_gl0_inv
	ds_store_b64 v46, v[16:17]
	ds_store_b64 v47, v[32:33]
	;; [unrolled: 1-line block ×4, first 2 shown]
	s_waitcnt lgkmcnt(0)
	s_barrier
	buffer_gl0_inv
	ds_load_2addr_b64 v[0:3], v44 offset1:32
	ds_load_2addr_b64 v[4:7], v44 offset0:64 offset1:96
	s_waitcnt lgkmcnt(0)
	s_barrier
	buffer_gl0_inv
	ds_store_b64 v46, v[24:25]
	ds_store_b64 v47, v[22:23]
	;; [unrolled: 1-line block ×4, first 2 shown]
	s_waitcnt lgkmcnt(0)
	s_barrier
	buffer_gl0_inv
	ds_load_2addr_b64 v[12:15], v44 offset1:32
	ds_load_2addr_b64 v[8:11], v44 offset0:64 offset1:96
	s_add_i32 s30, s30, -8
	s_add_i32 s29, s29, 8
	s_add_i32 s31, s31, 8
	s_waitcnt lgkmcnt(0)
	s_barrier
	s_cbranch_execz .LBB165_1
.LBB165_4:                              ;   Parent Loop BB165_2 Depth=1
                                        ; =>  This Inner Loop Header: Depth=2
	s_min_i32 s18, s29, 32
	s_cmp_lt_u32 s31, 32
	v_dual_mov_b32 v17, v1 :: v_dual_mov_b32 v16, v0
	s_cselect_b32 vcc_lo, -1, 0
	s_cmp_gt_u32 s31, 24
	buffer_gl0_inv
	s_cselect_b32 s17, -1, 0
	s_sub_i32 s18, s18, 32
	v_lshrrev_b32_e32 v1, s31, v17
	s_add_i32 s19, s18, s30
	v_mov_b32_e32 v33, v3
	s_lshl_b32 s19, -1, s19
	v_mov_b32_e32 v32, v2
	s_not_b32 s19, s19
	s_cmp_lg_u32 s18, s31
	v_mov_b32_e32 v31, v5
	s_cselect_b32 s33, s19, -1
	s_max_i32 s34, s30, 0
	s_max_i32 s18, s31, 32
	v_and_b32_e32 v1, s33, v1
	s_sub_i32 s19, s18, s34
	s_sub_i32 s35, s18, 32
	;; [unrolled: 1-line block ×3, first 2 shown]
	v_lshrrev_b32_e32 v0, s35, v16
	s_min_i32 s18, s19, 32
	v_cndmask_b32_e32 v1, 0, v1, vcc_lo
	s_sub_i32 s18, s18, s35
	v_mov_b32_e32 v30, v4
	s_lshl_b32 s19, -1, s18
	v_mov_b32_e32 v29, v7
	s_not_b32 s19, s19
	s_cmp_lg_u32 s18, 32
	v_mov_b32_e32 v28, v6
	s_cselect_b32 s36, s19, -1
	s_delay_alu instid0(SALU_CYCLE_1) | instskip(SKIP_1) | instid1(VALU_DEP_2)
	v_dual_mov_b32 v3, s20 :: v_dual_and_b32 v0, s36, v0
	v_mov_b32_e32 v4, s21
	v_lshlrev_b32_e32 v0, s34, v0
	s_delay_alu instid0(VALU_DEP_1) | instskip(NEXT) | instid1(VALU_DEP_1)
	v_cndmask_b32_e64 v0, 0, v0, s17
	v_or_b32_e32 v46, v1, v0
	s_delay_alu instid0(VALU_DEP_1)
	v_and_b32_e32 v0, 1, v46
	v_lshlrev_b32_e32 v1, 30, v46
	v_lshlrev_b32_e32 v20, 29, v46
	v_lshlrev_b32_e32 v21, 28, v46
	v_lshlrev_b32_e32 v23, 27, v46
	v_add_co_u32 v0, s18, v0, -1
	s_delay_alu instid0(VALU_DEP_1)
	v_cndmask_b32_e64 v22, 0, 1, s18
	v_not_b32_e32 v26, v1
	v_cmp_gt_i32_e64 s19, 0, v1
	v_not_b32_e32 v1, v20
	v_lshlrev_b32_e32 v24, 26, v46
	v_cmp_ne_u32_e64 s18, 0, v22
	v_ashrrev_i32_e32 v26, 31, v26
	v_lshlrev_b32_e32 v22, 24, v46
	v_ashrrev_i32_e32 v1, 31, v1
	v_lshlrev_b32_e32 v25, 25, v46
	v_xor_b32_e32 v0, s18, v0
	v_cmp_gt_i32_e64 s18, 0, v20
	v_not_b32_e32 v20, v21
	v_xor_b32_e32 v26, s19, v26
	v_cmp_gt_i32_e64 s19, 0, v21
	v_and_b32_e32 v0, exec_lo, v0
	v_not_b32_e32 v21, v23
	v_ashrrev_i32_e32 v20, 31, v20
	v_xor_b32_e32 v1, s18, v1
	v_cmp_gt_i32_e64 s18, 0, v23
	v_and_b32_e32 v0, v0, v26
	v_ashrrev_i32_e32 v21, 31, v21
	v_xor_b32_e32 v20, s19, v20
	s_delay_alu instid0(VALU_DEP_3) | instskip(NEXT) | instid1(VALU_DEP_3)
	v_and_b32_e32 v0, v0, v1
	v_xor_b32_e32 v21, s18, v21
	v_not_b32_e32 v1, v25
	v_cmp_gt_i32_e64 s18, 0, v25
	s_delay_alu instid0(VALU_DEP_4) | instskip(SKIP_1) | instid1(VALU_DEP_4)
	v_and_b32_e32 v0, v0, v20
	v_not_b32_e32 v20, v22
	v_ashrrev_i32_e32 v1, 31, v1
	s_delay_alu instid0(VALU_DEP_3) | instskip(NEXT) | instid1(VALU_DEP_3)
	v_and_b32_e32 v0, v0, v21
	v_ashrrev_i32_e32 v26, 31, v20
	v_mov_b32_e32 v21, v9
	v_not_b32_e32 v23, v24
	v_cmp_gt_i32_e64 s19, 0, v24
	v_xor_b32_e32 v1, s18, v1
	v_dual_mov_b32 v20, v8 :: v_dual_mov_b32 v25, v13
	s_delay_alu instid0(VALU_DEP_4) | instskip(SKIP_1) | instid1(VALU_DEP_3)
	v_ashrrev_i32_e32 v23, 31, v23
	v_mov_b32_e32 v24, v12
	v_mad_u64_u32 v[5:6], null, v46, 6, v[19:20]
	s_delay_alu instid0(VALU_DEP_3) | instskip(SKIP_1) | instid1(VALU_DEP_2)
	v_xor_b32_e32 v23, s19, v23
	v_cmp_gt_i32_e64 s19, 0, v22
	v_and_b32_e32 v0, v0, v23
	s_delay_alu instid0(VALU_DEP_2) | instskip(SKIP_2) | instid1(VALU_DEP_4)
	v_xor_b32_e32 v8, s19, v26
	v_mov_b32_e32 v23, v15
	v_dual_mov_b32 v27, v11 :: v_dual_mov_b32 v22, v14
	v_dual_mov_b32 v1, s26 :: v_dual_and_b32 v0, v0, v1
	v_mov_b32_e32 v26, v10
	v_mov_b32_e32 v2, s27
	v_lshl_add_u32 v9, v5, 2, 24
	s_delay_alu instid0(VALU_DEP_4)
	v_and_b32_e32 v0, v0, v8
	ds_store_2addr_b64 v38, v[1:2], v[3:4] offset0:3 offset1:4
	ds_store_2addr_b64 v39, v[1:2], v[3:4] offset0:2 offset1:3
	s_waitcnt lgkmcnt(0)
	v_mbcnt_lo_u32_b32 v8, v0, 0
	v_cmp_ne_u32_e64 s19, 0, v0
	s_barrier
	buffer_gl0_inv
	v_cmp_eq_u32_e64 s18, 0, v8
	; wave barrier
	s_delay_alu instid0(VALU_DEP_1) | instskip(NEXT) | instid1(SALU_CYCLE_1)
	s_and_b32 s19, s18, s19
	s_and_saveexec_b32 s18, s19
	s_cbranch_execz .LBB165_6
; %bb.5:                                ;   in Loop: Header=BB165_4 Depth=2
	v_bcnt_u32_b32 v0, v0, 0
	ds_store_b32 v9, v0
.LBB165_6:                              ;   in Loop: Header=BB165_4 Depth=2
	s_or_b32 exec_lo, exec_lo, s18
	v_lshrrev_b32_e32 v0, s35, v32
	v_lshrrev_b32_e32 v1, s31, v33
	; wave barrier
	s_delay_alu instid0(VALU_DEP_1) | instskip(NEXT) | instid1(VALU_DEP_1)
	v_and_b32_e32 v1, s33, v1
	v_dual_cndmask_b32 v1, 0, v1 :: v_dual_and_b32 v0, s36, v0
	s_delay_alu instid0(VALU_DEP_1) | instskip(NEXT) | instid1(VALU_DEP_1)
	v_lshlrev_b32_e32 v0, s34, v0
	v_cndmask_b32_e64 v0, 0, v0, s17
	s_delay_alu instid0(VALU_DEP_1) | instskip(NEXT) | instid1(VALU_DEP_1)
	v_or_b32_e32 v0, v1, v0
	v_and_b32_e32 v2, 1, v0
	v_lshlrev_b32_e32 v3, 30, v0
	v_lshlrev_b32_e32 v4, 29, v0
	;; [unrolled: 1-line block ×4, first 2 shown]
	v_add_co_u32 v2, s18, v2, -1
	s_delay_alu instid0(VALU_DEP_1)
	v_cndmask_b32_e64 v6, 0, 1, s18
	v_not_b32_e32 v12, v3
	v_cmp_gt_i32_e64 s19, 0, v3
	v_not_b32_e32 v3, v4
	v_lshlrev_b32_e32 v10, 26, v0
	v_cmp_ne_u32_e64 s18, 0, v6
	v_ashrrev_i32_e32 v6, 31, v12
	v_lshlrev_b32_e32 v11, 25, v0
	v_ashrrev_i32_e32 v3, 31, v3
	v_mul_lo_u32 v1, v0, 6
	v_xor_b32_e32 v2, s18, v2
	v_cmp_gt_i32_e64 s18, 0, v4
	v_not_b32_e32 v4, v5
	v_xor_b32_e32 v6, s19, v6
	v_cmp_gt_i32_e64 s19, 0, v5
	v_and_b32_e32 v2, exec_lo, v2
	v_not_b32_e32 v5, v7
	v_ashrrev_i32_e32 v4, 31, v4
	v_xor_b32_e32 v3, s18, v3
	v_cmp_gt_i32_e64 s18, 0, v7
	v_and_b32_e32 v2, v2, v6
	v_not_b32_e32 v6, v10
	v_ashrrev_i32_e32 v5, 31, v5
	v_xor_b32_e32 v4, s19, v4
	v_lshlrev_b32_e32 v0, 24, v0
	v_and_b32_e32 v2, v2, v3
	v_cmp_gt_i32_e64 s19, 0, v10
	v_not_b32_e32 v3, v11
	v_ashrrev_i32_e32 v6, 31, v6
	v_xor_b32_e32 v5, s18, v5
	v_and_b32_e32 v2, v2, v4
	v_cmp_gt_i32_e64 s18, 0, v11
	v_not_b32_e32 v4, v0
	v_ashrrev_i32_e32 v3, 31, v3
	v_xor_b32_e32 v6, s19, v6
	v_and_b32_e32 v2, v2, v5
	v_cmp_gt_i32_e64 s19, 0, v0
	v_ashrrev_i32_e32 v0, 31, v4
	v_xor_b32_e32 v3, s18, v3
	v_add_lshl_u32 v1, v1, v19, 2
	v_and_b32_e32 v2, v2, v6
	s_delay_alu instid0(VALU_DEP_4) | instskip(SKIP_3) | instid1(VALU_DEP_2)
	v_xor_b32_e32 v0, s19, v0
	ds_load_b32 v10, v1 offset:24
	v_and_b32_e32 v2, v2, v3
	v_add_nc_u32_e32 v12, 24, v1
	; wave barrier
	v_and_b32_e32 v0, v2, v0
	s_delay_alu instid0(VALU_DEP_1) | instskip(SKIP_1) | instid1(VALU_DEP_2)
	v_mbcnt_lo_u32_b32 v11, v0, 0
	v_cmp_ne_u32_e64 s19, 0, v0
	v_cmp_eq_u32_e64 s18, 0, v11
	s_delay_alu instid0(VALU_DEP_1) | instskip(NEXT) | instid1(SALU_CYCLE_1)
	s_and_b32 s19, s18, s19
	s_and_saveexec_b32 s18, s19
	s_cbranch_execz .LBB165_8
; %bb.7:                                ;   in Loop: Header=BB165_4 Depth=2
	s_waitcnt lgkmcnt(0)
	v_bcnt_u32_b32 v0, v0, v10
	ds_store_b32 v12, v0
.LBB165_8:                              ;   in Loop: Header=BB165_4 Depth=2
	s_or_b32 exec_lo, exec_lo, s18
	v_lshrrev_b32_e32 v0, s35, v30
	v_lshrrev_b32_e32 v1, s31, v31
	; wave barrier
	s_delay_alu instid0(VALU_DEP_1) | instskip(NEXT) | instid1(VALU_DEP_1)
	v_and_b32_e32 v1, s33, v1
	v_dual_cndmask_b32 v1, 0, v1 :: v_dual_and_b32 v0, s36, v0
	s_delay_alu instid0(VALU_DEP_1) | instskip(NEXT) | instid1(VALU_DEP_1)
	v_lshlrev_b32_e32 v0, s34, v0
	v_cndmask_b32_e64 v0, 0, v0, s17
	s_delay_alu instid0(VALU_DEP_1) | instskip(NEXT) | instid1(VALU_DEP_1)
	v_or_b32_e32 v0, v1, v0
	v_and_b32_e32 v2, 1, v0
	v_lshlrev_b32_e32 v3, 30, v0
	v_lshlrev_b32_e32 v4, 29, v0
	;; [unrolled: 1-line block ×4, first 2 shown]
	v_add_co_u32 v2, s18, v2, -1
	s_delay_alu instid0(VALU_DEP_1)
	v_cndmask_b32_e64 v6, 0, 1, s18
	v_not_b32_e32 v15, v3
	v_cmp_gt_i32_e64 s19, 0, v3
	v_not_b32_e32 v3, v4
	v_lshlrev_b32_e32 v13, 26, v0
	v_cmp_ne_u32_e64 s18, 0, v6
	v_ashrrev_i32_e32 v6, 31, v15
	v_lshlrev_b32_e32 v14, 25, v0
	v_ashrrev_i32_e32 v3, 31, v3
	v_mul_lo_u32 v1, v0, 6
	v_xor_b32_e32 v2, s18, v2
	v_cmp_gt_i32_e64 s18, 0, v4
	v_not_b32_e32 v4, v5
	v_xor_b32_e32 v6, s19, v6
	v_cmp_gt_i32_e64 s19, 0, v5
	v_and_b32_e32 v2, exec_lo, v2
	v_not_b32_e32 v5, v7
	v_ashrrev_i32_e32 v4, 31, v4
	v_xor_b32_e32 v3, s18, v3
	v_cmp_gt_i32_e64 s18, 0, v7
	v_and_b32_e32 v2, v2, v6
	v_not_b32_e32 v6, v13
	v_ashrrev_i32_e32 v5, 31, v5
	v_xor_b32_e32 v4, s19, v4
	v_lshlrev_b32_e32 v0, 24, v0
	v_and_b32_e32 v2, v2, v3
	v_cmp_gt_i32_e64 s19, 0, v13
	v_not_b32_e32 v3, v14
	v_ashrrev_i32_e32 v6, 31, v6
	v_xor_b32_e32 v5, s18, v5
	v_and_b32_e32 v2, v2, v4
	v_cmp_gt_i32_e64 s18, 0, v14
	v_not_b32_e32 v4, v0
	v_ashrrev_i32_e32 v3, 31, v3
	v_xor_b32_e32 v6, s19, v6
	v_and_b32_e32 v2, v2, v5
	v_cmp_gt_i32_e64 s19, 0, v0
	v_ashrrev_i32_e32 v0, 31, v4
	v_xor_b32_e32 v3, s18, v3
	v_add_lshl_u32 v1, v1, v19, 2
	v_and_b32_e32 v2, v2, v6
	s_delay_alu instid0(VALU_DEP_4) | instskip(SKIP_3) | instid1(VALU_DEP_2)
	v_xor_b32_e32 v0, s19, v0
	ds_load_b32 v13, v1 offset:24
	v_and_b32_e32 v2, v2, v3
	v_add_nc_u32_e32 v15, 24, v1
	; wave barrier
	v_and_b32_e32 v0, v2, v0
	s_delay_alu instid0(VALU_DEP_1) | instskip(SKIP_1) | instid1(VALU_DEP_2)
	v_mbcnt_lo_u32_b32 v14, v0, 0
	v_cmp_ne_u32_e64 s19, 0, v0
	v_cmp_eq_u32_e64 s18, 0, v14
	s_delay_alu instid0(VALU_DEP_1) | instskip(NEXT) | instid1(SALU_CYCLE_1)
	s_and_b32 s19, s18, s19
	s_and_saveexec_b32 s18, s19
	s_cbranch_execz .LBB165_10
; %bb.9:                                ;   in Loop: Header=BB165_4 Depth=2
	s_waitcnt lgkmcnt(0)
	v_bcnt_u32_b32 v0, v0, v13
	ds_store_b32 v15, v0
.LBB165_10:                             ;   in Loop: Header=BB165_4 Depth=2
	s_or_b32 exec_lo, exec_lo, s18
	v_lshrrev_b32_e32 v0, s35, v28
	v_lshrrev_b32_e32 v1, s31, v29
	; wave barrier
	s_delay_alu instid0(VALU_DEP_1) | instskip(NEXT) | instid1(VALU_DEP_1)
	v_and_b32_e32 v1, s33, v1
	v_dual_cndmask_b32 v1, 0, v1 :: v_dual_and_b32 v0, s36, v0
	s_delay_alu instid0(VALU_DEP_1) | instskip(NEXT) | instid1(VALU_DEP_1)
	v_lshlrev_b32_e32 v0, s34, v0
	v_cndmask_b32_e64 v0, 0, v0, s17
	s_delay_alu instid0(VALU_DEP_1) | instskip(NEXT) | instid1(VALU_DEP_1)
	v_or_b32_e32 v0, v1, v0
	v_and_b32_e32 v2, 1, v0
	v_lshlrev_b32_e32 v3, 30, v0
	v_lshlrev_b32_e32 v4, 29, v0
	;; [unrolled: 1-line block ×4, first 2 shown]
	v_add_co_u32 v2, s17, v2, -1
	s_delay_alu instid0(VALU_DEP_1)
	v_cndmask_b32_e64 v6, 0, 1, s17
	v_not_b32_e32 v48, v3
	v_cmp_gt_i32_e64 s17, 0, v3
	v_not_b32_e32 v3, v4
	v_lshlrev_b32_e32 v46, 26, v0
	v_cmp_ne_u32_e32 vcc_lo, 0, v6
	v_ashrrev_i32_e32 v6, 31, v48
	v_lshlrev_b32_e32 v47, 25, v0
	v_ashrrev_i32_e32 v3, 31, v3
	v_mul_lo_u32 v1, v0, 6
	v_xor_b32_e32 v2, vcc_lo, v2
	v_cmp_gt_i32_e32 vcc_lo, 0, v4
	v_not_b32_e32 v4, v5
	v_xor_b32_e32 v6, s17, v6
	v_cmp_gt_i32_e64 s17, 0, v5
	v_and_b32_e32 v2, exec_lo, v2
	v_not_b32_e32 v5, v7
	v_ashrrev_i32_e32 v4, 31, v4
	v_xor_b32_e32 v3, vcc_lo, v3
	v_cmp_gt_i32_e32 vcc_lo, 0, v7
	v_and_b32_e32 v2, v2, v6
	v_not_b32_e32 v6, v46
	v_ashrrev_i32_e32 v5, 31, v5
	v_xor_b32_e32 v4, s17, v4
	v_lshlrev_b32_e32 v0, 24, v0
	v_and_b32_e32 v2, v2, v3
	v_cmp_gt_i32_e64 s17, 0, v46
	v_not_b32_e32 v3, v47
	v_ashrrev_i32_e32 v6, 31, v6
	v_xor_b32_e32 v5, vcc_lo, v5
	v_and_b32_e32 v2, v2, v4
	v_cmp_gt_i32_e32 vcc_lo, 0, v47
	v_not_b32_e32 v4, v0
	v_ashrrev_i32_e32 v3, 31, v3
	v_xor_b32_e32 v6, s17, v6
	v_and_b32_e32 v2, v2, v5
	v_cmp_gt_i32_e64 s17, 0, v0
	v_ashrrev_i32_e32 v0, 31, v4
	v_xor_b32_e32 v3, vcc_lo, v3
	v_add_lshl_u32 v1, v1, v19, 2
	v_and_b32_e32 v2, v2, v6
	s_delay_alu instid0(VALU_DEP_4) | instskip(SKIP_3) | instid1(VALU_DEP_2)
	v_xor_b32_e32 v0, s17, v0
	ds_load_b32 v46, v1 offset:24
	v_and_b32_e32 v2, v2, v3
	v_add_nc_u32_e32 v48, 24, v1
	; wave barrier
	v_and_b32_e32 v0, v2, v0
	s_delay_alu instid0(VALU_DEP_1) | instskip(SKIP_1) | instid1(VALU_DEP_2)
	v_mbcnt_lo_u32_b32 v47, v0, 0
	v_cmp_ne_u32_e64 s17, 0, v0
	v_cmp_eq_u32_e32 vcc_lo, 0, v47
	s_delay_alu instid0(VALU_DEP_2) | instskip(NEXT) | instid1(SALU_CYCLE_1)
	s_and_b32 s18, vcc_lo, s17
	s_and_saveexec_b32 s17, s18
	s_cbranch_execz .LBB165_12
; %bb.11:                               ;   in Loop: Header=BB165_4 Depth=2
	s_waitcnt lgkmcnt(0)
	v_bcnt_u32_b32 v0, v0, v46
	ds_store_b32 v48, v0
.LBB165_12:                             ;   in Loop: Header=BB165_4 Depth=2
	s_or_b32 exec_lo, exec_lo, s17
	; wave barrier
	s_waitcnt lgkmcnt(0)
	s_barrier
	buffer_gl0_inv
	ds_load_2addr_b64 v[4:7], v38 offset0:3 offset1:4
	ds_load_2addr_b64 v[0:3], v39 offset0:2 offset1:3
	s_waitcnt lgkmcnt(1)
	v_add_nc_u32_e32 v49, v5, v4
	s_delay_alu instid0(VALU_DEP_1) | instskip(SKIP_1) | instid1(VALU_DEP_1)
	v_add3_u32 v49, v49, v6, v7
	s_waitcnt lgkmcnt(0)
	v_add3_u32 v49, v49, v0, v1
	s_delay_alu instid0(VALU_DEP_1) | instskip(NEXT) | instid1(VALU_DEP_1)
	v_add3_u32 v3, v49, v2, v3
	v_mov_b32_dpp v49, v3 row_shr:1 row_mask:0xf bank_mask:0xf
	s_delay_alu instid0(VALU_DEP_1) | instskip(NEXT) | instid1(VALU_DEP_1)
	v_cndmask_b32_e64 v49, v49, 0, s5
	v_add_nc_u32_e32 v3, v49, v3
	s_delay_alu instid0(VALU_DEP_1) | instskip(NEXT) | instid1(VALU_DEP_1)
	v_mov_b32_dpp v49, v3 row_shr:2 row_mask:0xf bank_mask:0xf
	v_cndmask_b32_e64 v49, 0, v49, s6
	s_delay_alu instid0(VALU_DEP_1) | instskip(NEXT) | instid1(VALU_DEP_1)
	v_add_nc_u32_e32 v3, v3, v49
	v_mov_b32_dpp v49, v3 row_shr:4 row_mask:0xf bank_mask:0xf
	s_delay_alu instid0(VALU_DEP_1) | instskip(NEXT) | instid1(VALU_DEP_1)
	v_cndmask_b32_e64 v49, 0, v49, s7
	v_add_nc_u32_e32 v3, v3, v49
	s_delay_alu instid0(VALU_DEP_1) | instskip(NEXT) | instid1(VALU_DEP_1)
	v_mov_b32_dpp v49, v3 row_shr:8 row_mask:0xf bank_mask:0xf
	v_cndmask_b32_e64 v49, 0, v49, s8
	s_delay_alu instid0(VALU_DEP_1) | instskip(SKIP_3) | instid1(VALU_DEP_1)
	v_add_nc_u32_e32 v3, v3, v49
	ds_swizzle_b32 v49, v3 offset:swizzle(BROADCAST,32,15)
	s_waitcnt lgkmcnt(0)
	v_cndmask_b32_e64 v49, v49, 0, s9
	v_add_nc_u32_e32 v3, v3, v49
	s_and_saveexec_b32 s17, s16
	s_cbranch_execz .LBB165_14
; %bb.13:                               ;   in Loop: Header=BB165_4 Depth=2
	ds_store_b32 v40, v3
.LBB165_14:                             ;   in Loop: Header=BB165_4 Depth=2
	s_or_b32 exec_lo, exec_lo, s17
	s_waitcnt lgkmcnt(0)
	s_barrier
	buffer_gl0_inv
	s_and_saveexec_b32 s17, s10
	s_cbranch_execz .LBB165_16
; %bb.15:                               ;   in Loop: Header=BB165_4 Depth=2
	ds_load_b32 v49, v42
	s_waitcnt lgkmcnt(0)
	v_mov_b32_dpp v50, v49 row_shr:1 row_mask:0xf bank_mask:0xf
	s_delay_alu instid0(VALU_DEP_1) | instskip(NEXT) | instid1(VALU_DEP_1)
	v_cndmask_b32_e64 v50, v50, 0, s13
	v_add_nc_u32_e32 v49, v50, v49
	s_delay_alu instid0(VALU_DEP_1) | instskip(NEXT) | instid1(VALU_DEP_1)
	v_mov_b32_dpp v50, v49 row_shr:2 row_mask:0xf bank_mask:0xf
	v_cndmask_b32_e64 v50, 0, v50, s14
	s_delay_alu instid0(VALU_DEP_1) | instskip(NEXT) | instid1(VALU_DEP_1)
	v_add_nc_u32_e32 v49, v49, v50
	v_mov_b32_dpp v50, v49 row_shr:4 row_mask:0xf bank_mask:0xf
	s_delay_alu instid0(VALU_DEP_1) | instskip(NEXT) | instid1(VALU_DEP_1)
	v_cndmask_b32_e64 v50, 0, v50, s15
	v_add_nc_u32_e32 v49, v49, v50
	ds_store_b32 v42, v49
.LBB165_16:                             ;   in Loop: Header=BB165_4 Depth=2
	s_or_b32 exec_lo, exec_lo, s17
	v_mov_b32_e32 v49, 0
	s_waitcnt lgkmcnt(0)
	s_barrier
	buffer_gl0_inv
	s_and_saveexec_b32 s17, s11
	s_cbranch_execz .LBB165_18
; %bb.17:                               ;   in Loop: Header=BB165_4 Depth=2
	ds_load_b32 v49, v43
.LBB165_18:                             ;   in Loop: Header=BB165_4 Depth=2
	s_or_b32 exec_lo, exec_lo, s17
	s_waitcnt lgkmcnt(0)
	v_add_nc_u32_e32 v3, v49, v3
	s_cmp_gt_u32 s31, 55
	ds_bpermute_b32 v3, v41, v3
	s_waitcnt lgkmcnt(0)
	v_cndmask_b32_e64 v3, v3, v49, s0
	s_delay_alu instid0(VALU_DEP_1) | instskip(NEXT) | instid1(VALU_DEP_1)
	v_cndmask_b32_e64 v3, v3, 0, s12
	v_add_nc_u32_e32 v4, v3, v4
	s_delay_alu instid0(VALU_DEP_1) | instskip(NEXT) | instid1(VALU_DEP_1)
	v_add_nc_u32_e32 v5, v4, v5
	v_add_nc_u32_e32 v6, v5, v6
	s_delay_alu instid0(VALU_DEP_1) | instskip(SKIP_1) | instid1(VALU_DEP_2)
	v_add_nc_u32_e32 v49, v6, v7
	v_lshlrev_b32_e32 v7, 3, v14
	v_add_nc_u32_e32 v50, v49, v0
	s_delay_alu instid0(VALU_DEP_1) | instskip(NEXT) | instid1(VALU_DEP_1)
	v_add_nc_u32_e32 v0, v50, v1
	v_add_nc_u32_e32 v1, v0, v2
	ds_store_2addr_b64 v38, v[3:4], v[5:6] offset0:3 offset1:4
	ds_store_2addr_b64 v39, v[49:50], v[0:1] offset0:2 offset1:3
	s_waitcnt lgkmcnt(0)
	s_barrier
	buffer_gl0_inv
	ds_load_b32 v0, v12
	ds_load_b32 v1, v15
	;; [unrolled: 1-line block ×4, first 2 shown]
	v_lshlrev_b32_e32 v4, 3, v8
	v_lshlrev_b32_e32 v5, 3, v11
	;; [unrolled: 1-line block ×6, first 2 shown]
	s_waitcnt lgkmcnt(0)
	v_lshlrev_b32_e32 v0, 3, v0
	v_lshlrev_b32_e32 v1, 3, v1
	;; [unrolled: 1-line block ×3, first 2 shown]
	v_lshl_add_u32 v46, v3, 3, v4
	s_delay_alu instid0(VALU_DEP_4) | instskip(NEXT) | instid1(VALU_DEP_4)
	v_add3_u32 v47, v5, v6, v0
	v_add3_u32 v48, v7, v8, v1
	s_delay_alu instid0(VALU_DEP_4)
	v_add3_u32 v49, v9, v10, v2
	s_cbranch_scc0 .LBB165_3
; %bb.19:                               ;   in Loop: Header=BB165_2 Depth=1
                                        ; implicit-def: $sgpr31
                                        ; implicit-def: $vgpr12_vgpr13
                                        ; implicit-def: $vgpr8_vgpr9
                                        ; implicit-def: $vgpr0_vgpr1
                                        ; implicit-def: $vgpr4_vgpr5
                                        ; implicit-def: $sgpr30
                                        ; implicit-def: $sgpr29
	s_branch .LBB165_1
.LBB165_20:
	s_waitcnt lgkmcnt(0)
	v_add_nc_u32_e32 v6, v6, v9
	v_lshlrev_b32_e32 v9, 3, v18
	s_add_u32 s0, s22, s24
	s_addc_u32 s1, s23, s25
	v_add_nc_u32_e32 v5, v5, v8
	v_add_nc_u32_e32 v0, v1, v14
	v_add_co_u32 v7, s2, s0, v9
	s_delay_alu instid0(VALU_DEP_1)
	v_add_co_ci_u32_e64 v8, null, s1, 0, s2
	v_add_nc_u32_e32 v1, v2, v15
	v_add_nc_u32_e32 v12, v12, v16
	;; [unrolled: 1-line block ×3, first 2 shown]
	v_add_co_u32 v7, vcc_lo, 0x1000, v7
	v_add_nc_u32_e32 v2, v3, v10
	v_add_nc_u32_e32 v3, v4, v11
	v_add_co_ci_u32_e32 v8, vcc_lo, 0, v8, vcc_lo
	s_clause 0x3
	global_store_b64 v9, v[0:1], s[0:1]
	global_store_b64 v9, v[12:13], s[0:1] offset:1536
	global_store_b64 v9, v[5:6], s[0:1] offset:3072
	global_store_b64 v[7:8], v[2:3], off offset:512
	s_nop 0
	s_sendmsg sendmsg(MSG_DEALLOC_VGPRS)
	s_endpgm
	.section	.rodata,"a",@progbits
	.p2align	6, 0x0
	.amdhsa_kernel _Z17sort_pairs_kernelI22helper_blocked_blockedN15benchmark_utils11custom_typeIiiEELj192ELj4ELj10EEvPKT0_PS4_
		.amdhsa_group_segment_fixed_size 6176
		.amdhsa_private_segment_fixed_size 0
		.amdhsa_kernarg_size 272
		.amdhsa_user_sgpr_count 15
		.amdhsa_user_sgpr_dispatch_ptr 0
		.amdhsa_user_sgpr_queue_ptr 0
		.amdhsa_user_sgpr_kernarg_segment_ptr 1
		.amdhsa_user_sgpr_dispatch_id 0
		.amdhsa_user_sgpr_private_segment_size 0
		.amdhsa_wavefront_size32 1
		.amdhsa_uses_dynamic_stack 0
		.amdhsa_enable_private_segment 0
		.amdhsa_system_sgpr_workgroup_id_x 1
		.amdhsa_system_sgpr_workgroup_id_y 0
		.amdhsa_system_sgpr_workgroup_id_z 0
		.amdhsa_system_sgpr_workgroup_info 0
		.amdhsa_system_vgpr_workitem_id 2
		.amdhsa_next_free_vgpr 52
		.amdhsa_next_free_sgpr 37
		.amdhsa_reserve_vcc 1
		.amdhsa_float_round_mode_32 0
		.amdhsa_float_round_mode_16_64 0
		.amdhsa_float_denorm_mode_32 3
		.amdhsa_float_denorm_mode_16_64 3
		.amdhsa_dx10_clamp 1
		.amdhsa_ieee_mode 1
		.amdhsa_fp16_overflow 0
		.amdhsa_workgroup_processor_mode 1
		.amdhsa_memory_ordered 1
		.amdhsa_forward_progress 0
		.amdhsa_shared_vgpr_count 0
		.amdhsa_exception_fp_ieee_invalid_op 0
		.amdhsa_exception_fp_denorm_src 0
		.amdhsa_exception_fp_ieee_div_zero 0
		.amdhsa_exception_fp_ieee_overflow 0
		.amdhsa_exception_fp_ieee_underflow 0
		.amdhsa_exception_fp_ieee_inexact 0
		.amdhsa_exception_int_div_zero 0
	.end_amdhsa_kernel
	.section	.text._Z17sort_pairs_kernelI22helper_blocked_blockedN15benchmark_utils11custom_typeIiiEELj192ELj4ELj10EEvPKT0_PS4_,"axG",@progbits,_Z17sort_pairs_kernelI22helper_blocked_blockedN15benchmark_utils11custom_typeIiiEELj192ELj4ELj10EEvPKT0_PS4_,comdat
.Lfunc_end165:
	.size	_Z17sort_pairs_kernelI22helper_blocked_blockedN15benchmark_utils11custom_typeIiiEELj192ELj4ELj10EEvPKT0_PS4_, .Lfunc_end165-_Z17sort_pairs_kernelI22helper_blocked_blockedN15benchmark_utils11custom_typeIiiEELj192ELj4ELj10EEvPKT0_PS4_
                                        ; -- End function
	.section	.AMDGPU.csdata,"",@progbits
; Kernel info:
; codeLenInByte = 4760
; NumSgprs: 39
; NumVgprs: 52
; ScratchSize: 0
; MemoryBound: 0
; FloatMode: 240
; IeeeMode: 1
; LDSByteSize: 6176 bytes/workgroup (compile time only)
; SGPRBlocks: 4
; VGPRBlocks: 6
; NumSGPRsForWavesPerEU: 39
; NumVGPRsForWavesPerEU: 52
; Occupancy: 15
; WaveLimiterHint : 1
; COMPUTE_PGM_RSRC2:SCRATCH_EN: 0
; COMPUTE_PGM_RSRC2:USER_SGPR: 15
; COMPUTE_PGM_RSRC2:TRAP_HANDLER: 0
; COMPUTE_PGM_RSRC2:TGID_X_EN: 1
; COMPUTE_PGM_RSRC2:TGID_Y_EN: 0
; COMPUTE_PGM_RSRC2:TGID_Z_EN: 0
; COMPUTE_PGM_RSRC2:TIDIG_COMP_CNT: 2
	.section	.text._Z16sort_keys_kernelI22helper_blocked_blockedN15benchmark_utils11custom_typeIiiEELj192ELj8ELj10EEvPKT0_PS4_,"axG",@progbits,_Z16sort_keys_kernelI22helper_blocked_blockedN15benchmark_utils11custom_typeIiiEELj192ELj8ELj10EEvPKT0_PS4_,comdat
	.protected	_Z16sort_keys_kernelI22helper_blocked_blockedN15benchmark_utils11custom_typeIiiEELj192ELj8ELj10EEvPKT0_PS4_ ; -- Begin function _Z16sort_keys_kernelI22helper_blocked_blockedN15benchmark_utils11custom_typeIiiEELj192ELj8ELj10EEvPKT0_PS4_
	.globl	_Z16sort_keys_kernelI22helper_blocked_blockedN15benchmark_utils11custom_typeIiiEELj192ELj8ELj10EEvPKT0_PS4_
	.p2align	8
	.type	_Z16sort_keys_kernelI22helper_blocked_blockedN15benchmark_utils11custom_typeIiiEELj192ELj8ELj10EEvPKT0_PS4_,@function
_Z16sort_keys_kernelI22helper_blocked_blockedN15benchmark_utils11custom_typeIiiEELj192ELj8ELj10EEvPKT0_PS4_: ; @_Z16sort_keys_kernelI22helper_blocked_blockedN15benchmark_utils11custom_typeIiiEELj192ELj8ELj10EEvPKT0_PS4_
; %bb.0:
	s_clause 0x1
	s_load_b128 s[16:19], s[0:1], 0x0
	s_load_b32 s2, s[0:1], 0x1c
	v_and_b32_e32 v8, 0x3ff, v0
	s_mov_b32 s23, 0
	s_mul_i32 s22, s15, 0x600
	v_mbcnt_lo_u32_b32 v22, -1, 0
	s_lshl_b64 s[20:21], s[22:23], 3
	v_lshlrev_b32_e32 v7, 3, v8
	v_and_b32_e32 v23, 0xe0, v8
	v_lshlrev_b32_e32 v40, 5, v8
	v_cmp_gt_u32_e64 s6, 6, v8
	v_cmp_lt_u32_e64 s7, 31, v8
	v_and_b32_e32 v21, 0x700, v7
	v_or_b32_e32 v9, v22, v23
	v_or_b32_e32 v44, 24, v40
	v_cmp_eq_u32_e64 s8, 0, v22
	v_cmp_eq_u32_e64 s9, 0, v8
	v_or_b32_e32 v24, v22, v21
	v_lshlrev_b32_e32 v20, 1, v9
	v_or_b32_e32 v25, 0x60, v21
	s_waitcnt lgkmcnt(0)
	s_add_u32 s0, s16, s20
	s_addc_u32 s1, s17, s21
	v_add_co_u32 v1, s3, s0, v7
	s_delay_alu instid0(VALU_DEP_1) | instskip(SKIP_1) | instid1(VALU_DEP_3)
	v_add_co_ci_u32_e64 v2, null, s1, 0, s3
	v_and_b32_e32 v20, 0x1f8, v20
	v_add_co_u32 v14, vcc_lo, 0x1000, v1
	s_delay_alu instid0(VALU_DEP_3)
	v_add_co_ci_u32_e32 v15, vcc_lo, 0, v2, vcc_lo
	v_add_co_u32 v18, vcc_lo, 0x2000, v1
	v_add_co_ci_u32_e32 v19, vcc_lo, 0, v2, vcc_lo
	s_clause 0x7
	global_load_b64 v[1:2], v7, s[0:1]
	global_load_b64 v[3:4], v7, s[0:1] offset:1536
	global_load_b64 v[5:6], v7, s[0:1] offset:3072
	global_load_b64 v[10:11], v[14:15], off offset:512
	global_load_b64 v[12:13], v[14:15], off offset:2048
	;; [unrolled: 1-line block ×5, first 2 shown]
	v_lshl_add_u32 v34, v9, 6, v20
	v_or_b32_e32 v9, 32, v21
	v_or_b32_e32 v27, 0x80, v21
	v_or_b32_e32 v20, 64, v21
	v_lshrrev_b32_e32 v25, 5, v25
	s_lshr_b32 s0, s2, 16
	v_lshrrev_b32_e32 v9, 5, v9
	v_lshrrev_b32_e32 v26, 5, v21
	;; [unrolled: 1-line block ×3, first 2 shown]
	v_add_lshl_u32 v38, v25, v24, 3
	v_bfe_u32 v25, v0, 10, 10
	v_add_lshl_u32 v36, v9, v24, 3
	v_lshrrev_b32_e32 v9, 5, v27
	v_bfe_u32 v0, v0, 20, 10
	v_add_lshl_u32 v37, v20, v24, 3
	v_or_b32_e32 v20, 0xa0, v21
	v_add_lshl_u32 v35, v26, v24, 3
	v_add_lshl_u32 v39, v9, v24, 3
	v_or_b32_e32 v9, 0xc0, v21
	v_mad_u32_u24 v0, v0, s0, v25
	v_or_b32_e32 v25, 0xe0, v21
	s_and_b32 s0, s2, 0xffff
	v_lshrrev_b32_e32 v26, 5, v20
	v_lshrrev_b32_e32 v9, 5, v9
	s_mov_b32 s22, s23
	s_mov_b32 s16, s23
	s_mov_b32 s17, s23
	v_add_lshl_u32 v41, v26, v24, 3
	v_mad_u64_u32 v[20:21], null, v0, s0, v[8:9]
	v_lshrrev_b32_e32 v0, 5, v25
	v_add_lshl_u32 v42, v9, v24, 3
	v_and_b32_e32 v21, 15, v22
	s_mov_b32 s24, s23
	s_delay_alu instid0(VALU_DEP_3)
	v_add_lshl_u32 v43, v0, v24, 3
	v_min_u32_e32 v0, 0xa0, v23
	v_add_nc_u32_e32 v23, -1, v22
	v_lshrrev_b32_e32 v9, 5, v20
	v_and_b32_e32 v20, 16, v22
	v_cmp_eq_u32_e64 s0, 0, v21
	v_or_b32_e32 v0, 31, v0
	v_cmp_gt_i32_e32 vcc_lo, 0, v23
	v_cmp_lt_u32_e64 s1, 1, v21
	v_cmp_eq_u32_e64 s4, 0, v20
	v_cmp_lt_u32_e64 s2, 3, v21
	v_cmp_eq_u32_e64 s5, v0, v8
	v_cndmask_b32_e32 v20, v23, v22, vcc_lo
	v_lshrrev_b32_e32 v0, 3, v8
	v_cmp_lt_u32_e64 s3, 7, v21
	v_lshrrev_b32_e32 v21, 2, v8
	s_delay_alu instid0(VALU_DEP_4) | instskip(SKIP_4) | instid1(VALU_DEP_4)
	v_lshlrev_b32_e32 v45, 2, v20
	v_and_b32_e32 v20, 7, v22
	v_and_b32_e32 v46, 28, v0
	v_mul_i32_i24_e32 v0, 0xffffffe4, v8
	v_add_lshl_u32 v48, v21, v7, 3
	v_cmp_eq_u32_e64 s10, 0, v20
	v_cmp_lt_u32_e64 s11, 1, v20
	v_cmp_lt_u32_e64 s12, 3, v20
	v_add_nc_u32_e32 v47, -4, v46
	v_add_nc_u32_e32 v49, v40, v0
	s_branch .LBB166_2
.LBB166_1:                              ;   in Loop: Header=BB166_2 Depth=1
	s_barrier
	buffer_gl0_inv
	ds_store_b64 v50, v[10:11]
	ds_store_b64 v51, v[16:17]
	;; [unrolled: 1-line block ×8, first 2 shown]
	s_waitcnt lgkmcnt(0)
	s_barrier
	buffer_gl0_inv
	ds_load_2addr_b64 v[1:4], v48 offset1:1
	ds_load_2addr_b64 v[10:13], v48 offset0:2 offset1:3
	ds_load_2addr_b64 v[14:17], v48 offset0:4 offset1:5
	;; [unrolled: 1-line block ×3, first 2 shown]
	s_add_i32 s24, s24, 1
	s_delay_alu instid0(SALU_CYCLE_1)
	s_cmp_eq_u32 s24, 10
	s_waitcnt lgkmcnt(3)
	v_xor_b32_e32 v1, 0x80000000, v1
	v_xor_b32_e32 v2, 0x80000000, v2
	v_xor_b32_e32 v3, 0x80000000, v3
	v_xor_b32_e32 v4, 0x80000000, v4
	s_waitcnt lgkmcnt(2)
	v_xor_b32_e32 v5, 0x80000000, v10
	v_xor_b32_e32 v6, 0x80000000, v11
	v_xor_b32_e32 v10, 0x80000000, v12
	v_xor_b32_e32 v11, 0x80000000, v13
	;; [unrolled: 5-line block ×4, first 2 shown]
	s_cbranch_scc1 .LBB166_28
.LBB166_2:                              ; =>This Loop Header: Depth=1
                                        ;     Child Loop BB166_4 Depth 2
	s_waitcnt vmcnt(7)
	v_xor_b32_e32 v2, 0x80000000, v2
	v_xor_b32_e32 v1, 0x80000000, v1
	s_waitcnt vmcnt(6)
	v_xor_b32_e32 v4, 0x80000000, v4
	v_xor_b32_e32 v3, 0x80000000, v3
	;; [unrolled: 3-line block ×8, first 2 shown]
	ds_store_2addr_b64 v34, v[1:2], v[3:4] offset1:1
	ds_store_2addr_b64 v34, v[5:6], v[10:11] offset0:2 offset1:3
	ds_store_2addr_b64 v34, v[12:13], v[14:15] offset0:4 offset1:5
	;; [unrolled: 1-line block ×3, first 2 shown]
	; wave barrier
	ds_load_b64 v[32:33], v35
	ds_load_b64 v[0:1], v36 offset:256
	ds_load_b64 v[2:3], v37 offset:512
	;; [unrolled: 1-line block ×7, first 2 shown]
	s_mov_b32 s25, 8
	s_mov_b32 s26, 32
	;; [unrolled: 1-line block ×3, first 2 shown]
	s_waitcnt lgkmcnt(0)
	s_barrier
	buffer_gl0_inv
	; wave barrier
	s_barrier
	s_branch .LBB166_4
.LBB166_3:                              ;   in Loop: Header=BB166_4 Depth=2
	s_barrier
	buffer_gl0_inv
	ds_store_b64 v50, v[10:11]
	ds_store_b64 v51, v[16:17]
	;; [unrolled: 1-line block ×8, first 2 shown]
	s_waitcnt lgkmcnt(0)
	s_barrier
	buffer_gl0_inv
	ds_load_b64 v[32:33], v35
	ds_load_b64 v[0:1], v36 offset:256
	ds_load_b64 v[2:3], v37 offset:512
	ds_load_b64 v[6:7], v38 offset:768
	ds_load_b64 v[4:5], v39 offset:1024
	ds_load_b64 v[26:27], v41 offset:1280
	ds_load_b64 v[28:29], v42 offset:1536
	ds_load_b64 v[30:31], v43 offset:1792
	s_add_i32 s26, s26, -8
	s_add_i32 s25, s25, 8
	s_add_i32 s27, s27, 8
	s_waitcnt lgkmcnt(0)
	s_barrier
	s_cbranch_execz .LBB166_1
.LBB166_4:                              ;   Parent Loop BB166_2 Depth=1
                                        ; =>  This Inner Loop Header: Depth=2
	s_min_i32 s14, s25, 32
	s_cmp_lt_u32 s27, 32
	v_dual_mov_b32 v10, v32 :: v_dual_mov_b32 v11, v33
	s_cselect_b32 vcc_lo, -1, 0
	s_cmp_gt_u32 s27, 24
	buffer_gl0_inv
	s_cselect_b32 s13, -1, 0
	s_sub_i32 s14, s14, 32
	v_lshrrev_b32_e32 v13, s27, v11
	s_add_i32 s15, s14, s26
	v_mov_b32_e32 v25, v5
	s_lshl_b32 s15, -1, s15
	v_mov_b32_e32 v22, v26
	s_not_b32 s15, s15
	s_cmp_lg_u32 s14, s27
	v_mov_b32_e32 v24, v4
	s_cselect_b32 s28, s15, -1
	s_max_i32 s29, s26, 0
	s_max_i32 s14, s27, 32
	v_and_b32_e32 v13, s28, v13
	s_sub_i32 s15, s14, s29
	s_sub_i32 s30, s14, 32
	;; [unrolled: 1-line block ×3, first 2 shown]
	v_lshrrev_b32_e32 v12, s30, v10
	s_min_i32 s14, s15, 32
	v_cndmask_b32_e32 v13, 0, v13, vcc_lo
	s_sub_i32 s14, s14, s30
	v_mov_b32_e32 v23, v27
	s_lshl_b32 s15, -1, s14
	s_delay_alu instid0(SALU_CYCLE_1) | instskip(SKIP_2) | instid1(SALU_CYCLE_1)
	s_not_b32 s15, s15
	s_cmp_lg_u32 s14, 32
	s_cselect_b32 s31, s15, -1
	v_and_b32_e32 v12, s31, v12
	s_delay_alu instid0(VALU_DEP_1) | instskip(NEXT) | instid1(VALU_DEP_1)
	v_lshlrev_b32_e32 v12, s29, v12
	v_cndmask_b32_e64 v12, 0, v12, s13
	s_delay_alu instid0(VALU_DEP_1) | instskip(NEXT) | instid1(VALU_DEP_1)
	v_or_b32_e32 v32, v13, v12
	v_and_b32_e32 v12, 1, v32
	v_lshlrev_b32_e32 v13, 30, v32
	v_lshlrev_b32_e32 v14, 29, v32
	;; [unrolled: 1-line block ×4, first 2 shown]
	v_add_co_u32 v12, s14, v12, -1
	s_delay_alu instid0(VALU_DEP_1)
	v_cndmask_b32_e64 v16, 0, 1, s14
	v_not_b32_e32 v20, v13
	v_cmp_gt_i32_e64 s15, 0, v13
	v_not_b32_e32 v13, v14
	v_lshlrev_b32_e32 v18, 26, v32
	v_cmp_ne_u32_e64 s14, 0, v16
	v_ashrrev_i32_e32 v20, 31, v20
	v_lshlrev_b32_e32 v19, 25, v32
	v_ashrrev_i32_e32 v13, 31, v13
	v_lshlrev_b32_e32 v16, 24, v32
	v_xor_b32_e32 v12, s14, v12
	v_cmp_gt_i32_e64 s14, 0, v14
	v_not_b32_e32 v14, v15
	v_xor_b32_e32 v20, s15, v20
	v_cmp_gt_i32_e64 s15, 0, v15
	v_and_b32_e32 v12, exec_lo, v12
	v_not_b32_e32 v15, v17
	v_ashrrev_i32_e32 v14, 31, v14
	v_xor_b32_e32 v13, s14, v13
	v_cmp_gt_i32_e64 s14, 0, v17
	v_and_b32_e32 v12, v12, v20
	v_not_b32_e32 v17, v18
	v_ashrrev_i32_e32 v15, 31, v15
	v_xor_b32_e32 v14, s15, v14
	v_cmp_gt_i32_e64 s15, 0, v18
	v_and_b32_e32 v12, v12, v13
	v_not_b32_e32 v13, v19
	v_ashrrev_i32_e32 v17, 31, v17
	v_xor_b32_e32 v15, s14, v15
	v_cmp_gt_i32_e64 s14, 0, v19
	v_and_b32_e32 v12, v12, v14
	v_not_b32_e32 v14, v16
	v_ashrrev_i32_e32 v13, 31, v13
	v_xor_b32_e32 v17, s15, v17
	v_cmp_gt_i32_e64 s15, 0, v16
	v_and_b32_e32 v12, v12, v15
	v_ashrrev_i32_e32 v18, 31, v14
	v_xor_b32_e32 v19, s14, v13
	v_dual_mov_b32 v15, v3 :: v_dual_mov_b32 v14, v2
	s_delay_alu instid0(VALU_DEP_4) | instskip(SKIP_3) | instid1(VALU_DEP_4)
	v_dual_mov_b32 v3, s16 :: v_dual_and_b32 v20, v12, v17
	v_dual_mov_b32 v17, v1 :: v_dual_mov_b32 v16, v0
	v_xor_b32_e32 v0, s15, v18
	v_mov_b32_e32 v13, v7
	v_dual_mov_b32 v18, v30 :: v_dual_and_b32 v1, v20, v19
	v_mov_b32_e32 v12, v6
	v_mad_u64_u32 v[5:6], null, v32, 6, v[9:10]
	s_delay_alu instid0(VALU_DEP_3) | instskip(SKIP_3) | instid1(VALU_DEP_4)
	v_and_b32_e32 v0, v1, v0
	v_dual_mov_b32 v20, v28 :: v_dual_mov_b32 v1, s22
	v_mov_b32_e32 v21, v29
	v_mov_b32_e32 v19, v31
	v_mbcnt_lo_u32_b32 v26, v0, 0
	v_cmp_ne_u32_e64 s15, 0, v0
	v_mov_b32_e32 v2, s23
	v_mov_b32_e32 v4, s17
	v_lshl_add_u32 v27, v5, 2, 24
	v_cmp_eq_u32_e64 s14, 0, v26
	ds_store_2addr_b64 v40, v[1:2], v[3:4] offset0:3 offset1:4
	ds_store_2addr_b64 v44, v[1:2], v[3:4] offset0:2 offset1:3
	s_waitcnt lgkmcnt(0)
	s_and_b32 s15, s14, s15
	s_barrier
	buffer_gl0_inv
	; wave barrier
	s_and_saveexec_b32 s14, s15
	s_cbranch_execz .LBB166_6
; %bb.5:                                ;   in Loop: Header=BB166_4 Depth=2
	v_bcnt_u32_b32 v0, v0, 0
	ds_store_b32 v27, v0
.LBB166_6:                              ;   in Loop: Header=BB166_4 Depth=2
	s_or_b32 exec_lo, exec_lo, s14
	v_lshrrev_b32_e32 v0, s30, v16
	v_lshrrev_b32_e32 v1, s27, v17
	; wave barrier
	s_delay_alu instid0(VALU_DEP_1) | instskip(NEXT) | instid1(VALU_DEP_1)
	v_and_b32_e32 v1, s28, v1
	v_dual_cndmask_b32 v1, 0, v1 :: v_dual_and_b32 v0, s31, v0
	s_delay_alu instid0(VALU_DEP_1) | instskip(NEXT) | instid1(VALU_DEP_1)
	v_lshlrev_b32_e32 v0, s29, v0
	v_cndmask_b32_e64 v0, 0, v0, s13
	s_delay_alu instid0(VALU_DEP_1) | instskip(NEXT) | instid1(VALU_DEP_1)
	v_or_b32_e32 v0, v1, v0
	v_and_b32_e32 v2, 1, v0
	v_lshlrev_b32_e32 v3, 30, v0
	v_lshlrev_b32_e32 v4, 29, v0
	;; [unrolled: 1-line block ×4, first 2 shown]
	v_add_co_u32 v2, s14, v2, -1
	s_delay_alu instid0(VALU_DEP_1)
	v_cndmask_b32_e64 v6, 0, 1, s14
	v_not_b32_e32 v30, v3
	v_cmp_gt_i32_e64 s15, 0, v3
	v_not_b32_e32 v3, v4
	v_lshlrev_b32_e32 v28, 26, v0
	v_cmp_ne_u32_e64 s14, 0, v6
	v_ashrrev_i32_e32 v6, 31, v30
	v_lshlrev_b32_e32 v29, 25, v0
	v_ashrrev_i32_e32 v3, 31, v3
	v_mul_lo_u32 v1, v0, 6
	v_xor_b32_e32 v2, s14, v2
	v_cmp_gt_i32_e64 s14, 0, v4
	v_not_b32_e32 v4, v5
	v_xor_b32_e32 v6, s15, v6
	v_cmp_gt_i32_e64 s15, 0, v5
	v_and_b32_e32 v2, exec_lo, v2
	v_not_b32_e32 v5, v7
	v_ashrrev_i32_e32 v4, 31, v4
	v_xor_b32_e32 v3, s14, v3
	v_cmp_gt_i32_e64 s14, 0, v7
	v_and_b32_e32 v2, v2, v6
	v_not_b32_e32 v6, v28
	v_ashrrev_i32_e32 v5, 31, v5
	v_xor_b32_e32 v4, s15, v4
	v_lshlrev_b32_e32 v0, 24, v0
	v_and_b32_e32 v2, v2, v3
	v_cmp_gt_i32_e64 s15, 0, v28
	v_not_b32_e32 v3, v29
	v_ashrrev_i32_e32 v6, 31, v6
	v_xor_b32_e32 v5, s14, v5
	v_and_b32_e32 v2, v2, v4
	v_cmp_gt_i32_e64 s14, 0, v29
	v_not_b32_e32 v4, v0
	v_ashrrev_i32_e32 v3, 31, v3
	v_xor_b32_e32 v6, s15, v6
	v_and_b32_e32 v2, v2, v5
	v_cmp_gt_i32_e64 s15, 0, v0
	v_ashrrev_i32_e32 v0, 31, v4
	v_xor_b32_e32 v3, s14, v3
	v_add_lshl_u32 v1, v1, v9, 2
	v_and_b32_e32 v2, v2, v6
	s_delay_alu instid0(VALU_DEP_4) | instskip(SKIP_3) | instid1(VALU_DEP_2)
	v_xor_b32_e32 v0, s15, v0
	ds_load_b32 v28, v1 offset:24
	v_and_b32_e32 v2, v2, v3
	v_add_nc_u32_e32 v30, 24, v1
	; wave barrier
	v_and_b32_e32 v0, v2, v0
	s_delay_alu instid0(VALU_DEP_1) | instskip(SKIP_1) | instid1(VALU_DEP_2)
	v_mbcnt_lo_u32_b32 v29, v0, 0
	v_cmp_ne_u32_e64 s15, 0, v0
	v_cmp_eq_u32_e64 s14, 0, v29
	s_delay_alu instid0(VALU_DEP_1) | instskip(NEXT) | instid1(SALU_CYCLE_1)
	s_and_b32 s15, s14, s15
	s_and_saveexec_b32 s14, s15
	s_cbranch_execz .LBB166_8
; %bb.7:                                ;   in Loop: Header=BB166_4 Depth=2
	s_waitcnt lgkmcnt(0)
	v_bcnt_u32_b32 v0, v0, v28
	ds_store_b32 v30, v0
.LBB166_8:                              ;   in Loop: Header=BB166_4 Depth=2
	s_or_b32 exec_lo, exec_lo, s14
	v_lshrrev_b32_e32 v0, s30, v14
	v_lshrrev_b32_e32 v1, s27, v15
	; wave barrier
	s_delay_alu instid0(VALU_DEP_1) | instskip(NEXT) | instid1(VALU_DEP_1)
	v_and_b32_e32 v1, s28, v1
	v_dual_cndmask_b32 v1, 0, v1 :: v_dual_and_b32 v0, s31, v0
	s_delay_alu instid0(VALU_DEP_1) | instskip(NEXT) | instid1(VALU_DEP_1)
	v_lshlrev_b32_e32 v0, s29, v0
	v_cndmask_b32_e64 v0, 0, v0, s13
	s_delay_alu instid0(VALU_DEP_1) | instskip(NEXT) | instid1(VALU_DEP_1)
	v_or_b32_e32 v0, v1, v0
	v_and_b32_e32 v2, 1, v0
	v_lshlrev_b32_e32 v3, 30, v0
	v_lshlrev_b32_e32 v4, 29, v0
	;; [unrolled: 1-line block ×4, first 2 shown]
	v_add_co_u32 v2, s14, v2, -1
	s_delay_alu instid0(VALU_DEP_1)
	v_cndmask_b32_e64 v6, 0, 1, s14
	v_not_b32_e32 v33, v3
	v_cmp_gt_i32_e64 s15, 0, v3
	v_not_b32_e32 v3, v4
	v_lshlrev_b32_e32 v31, 26, v0
	v_cmp_ne_u32_e64 s14, 0, v6
	v_ashrrev_i32_e32 v6, 31, v33
	v_lshlrev_b32_e32 v32, 25, v0
	v_ashrrev_i32_e32 v3, 31, v3
	v_mul_lo_u32 v1, v0, 6
	v_xor_b32_e32 v2, s14, v2
	v_cmp_gt_i32_e64 s14, 0, v4
	v_not_b32_e32 v4, v5
	v_xor_b32_e32 v6, s15, v6
	v_cmp_gt_i32_e64 s15, 0, v5
	v_and_b32_e32 v2, exec_lo, v2
	v_not_b32_e32 v5, v7
	v_ashrrev_i32_e32 v4, 31, v4
	v_xor_b32_e32 v3, s14, v3
	v_cmp_gt_i32_e64 s14, 0, v7
	v_and_b32_e32 v2, v2, v6
	v_not_b32_e32 v6, v31
	v_ashrrev_i32_e32 v5, 31, v5
	v_xor_b32_e32 v4, s15, v4
	v_lshlrev_b32_e32 v0, 24, v0
	v_and_b32_e32 v2, v2, v3
	v_cmp_gt_i32_e64 s15, 0, v31
	v_not_b32_e32 v3, v32
	v_ashrrev_i32_e32 v6, 31, v6
	v_xor_b32_e32 v5, s14, v5
	v_and_b32_e32 v2, v2, v4
	v_cmp_gt_i32_e64 s14, 0, v32
	v_not_b32_e32 v4, v0
	v_ashrrev_i32_e32 v3, 31, v3
	v_xor_b32_e32 v6, s15, v6
	v_and_b32_e32 v2, v2, v5
	v_cmp_gt_i32_e64 s15, 0, v0
	v_ashrrev_i32_e32 v0, 31, v4
	v_xor_b32_e32 v3, s14, v3
	v_add_lshl_u32 v1, v1, v9, 2
	v_and_b32_e32 v2, v2, v6
	s_delay_alu instid0(VALU_DEP_4) | instskip(SKIP_3) | instid1(VALU_DEP_2)
	v_xor_b32_e32 v0, s15, v0
	ds_load_b32 v31, v1 offset:24
	v_and_b32_e32 v2, v2, v3
	v_add_nc_u32_e32 v33, 24, v1
	; wave barrier
	v_and_b32_e32 v0, v2, v0
	s_delay_alu instid0(VALU_DEP_1) | instskip(SKIP_1) | instid1(VALU_DEP_2)
	v_mbcnt_lo_u32_b32 v32, v0, 0
	v_cmp_ne_u32_e64 s15, 0, v0
	v_cmp_eq_u32_e64 s14, 0, v32
	s_delay_alu instid0(VALU_DEP_1) | instskip(NEXT) | instid1(SALU_CYCLE_1)
	s_and_b32 s15, s14, s15
	s_and_saveexec_b32 s14, s15
	s_cbranch_execz .LBB166_10
; %bb.9:                                ;   in Loop: Header=BB166_4 Depth=2
	s_waitcnt lgkmcnt(0)
	v_bcnt_u32_b32 v0, v0, v31
	ds_store_b32 v33, v0
.LBB166_10:                             ;   in Loop: Header=BB166_4 Depth=2
	s_or_b32 exec_lo, exec_lo, s14
	v_lshrrev_b32_e32 v0, s30, v12
	v_lshrrev_b32_e32 v1, s27, v13
	; wave barrier
	s_delay_alu instid0(VALU_DEP_1) | instskip(NEXT) | instid1(VALU_DEP_1)
	v_and_b32_e32 v1, s28, v1
	v_dual_cndmask_b32 v1, 0, v1 :: v_dual_and_b32 v0, s31, v0
	s_delay_alu instid0(VALU_DEP_1) | instskip(NEXT) | instid1(VALU_DEP_1)
	v_lshlrev_b32_e32 v0, s29, v0
	v_cndmask_b32_e64 v0, 0, v0, s13
	s_delay_alu instid0(VALU_DEP_1) | instskip(NEXT) | instid1(VALU_DEP_1)
	v_or_b32_e32 v0, v1, v0
	v_and_b32_e32 v2, 1, v0
	v_lshlrev_b32_e32 v3, 30, v0
	v_lshlrev_b32_e32 v4, 29, v0
	;; [unrolled: 1-line block ×4, first 2 shown]
	v_add_co_u32 v2, s14, v2, -1
	s_delay_alu instid0(VALU_DEP_1)
	v_cndmask_b32_e64 v6, 0, 1, s14
	v_not_b32_e32 v52, v3
	v_cmp_gt_i32_e64 s15, 0, v3
	v_not_b32_e32 v3, v4
	v_lshlrev_b32_e32 v50, 26, v0
	v_cmp_ne_u32_e64 s14, 0, v6
	v_ashrrev_i32_e32 v6, 31, v52
	v_lshlrev_b32_e32 v51, 25, v0
	v_ashrrev_i32_e32 v3, 31, v3
	v_mul_lo_u32 v1, v0, 6
	v_xor_b32_e32 v2, s14, v2
	v_cmp_gt_i32_e64 s14, 0, v4
	v_not_b32_e32 v4, v5
	v_xor_b32_e32 v6, s15, v6
	v_cmp_gt_i32_e64 s15, 0, v5
	v_and_b32_e32 v2, exec_lo, v2
	v_not_b32_e32 v5, v7
	v_ashrrev_i32_e32 v4, 31, v4
	v_xor_b32_e32 v3, s14, v3
	v_cmp_gt_i32_e64 s14, 0, v7
	v_and_b32_e32 v2, v2, v6
	v_not_b32_e32 v6, v50
	v_ashrrev_i32_e32 v5, 31, v5
	v_xor_b32_e32 v4, s15, v4
	v_lshlrev_b32_e32 v0, 24, v0
	v_and_b32_e32 v2, v2, v3
	v_cmp_gt_i32_e64 s15, 0, v50
	v_not_b32_e32 v3, v51
	v_ashrrev_i32_e32 v6, 31, v6
	v_xor_b32_e32 v5, s14, v5
	v_and_b32_e32 v2, v2, v4
	v_cmp_gt_i32_e64 s14, 0, v51
	v_not_b32_e32 v4, v0
	v_ashrrev_i32_e32 v3, 31, v3
	v_xor_b32_e32 v6, s15, v6
	v_and_b32_e32 v2, v2, v5
	v_cmp_gt_i32_e64 s15, 0, v0
	v_ashrrev_i32_e32 v0, 31, v4
	v_xor_b32_e32 v3, s14, v3
	v_add_lshl_u32 v1, v1, v9, 2
	v_and_b32_e32 v2, v2, v6
	s_delay_alu instid0(VALU_DEP_4) | instskip(SKIP_3) | instid1(VALU_DEP_2)
	v_xor_b32_e32 v0, s15, v0
	ds_load_b32 v50, v1 offset:24
	v_and_b32_e32 v2, v2, v3
	v_add_nc_u32_e32 v52, 24, v1
	; wave barrier
	v_and_b32_e32 v0, v2, v0
	s_delay_alu instid0(VALU_DEP_1) | instskip(SKIP_1) | instid1(VALU_DEP_2)
	v_mbcnt_lo_u32_b32 v51, v0, 0
	v_cmp_ne_u32_e64 s15, 0, v0
	v_cmp_eq_u32_e64 s14, 0, v51
	s_delay_alu instid0(VALU_DEP_1) | instskip(NEXT) | instid1(SALU_CYCLE_1)
	s_and_b32 s15, s14, s15
	s_and_saveexec_b32 s14, s15
	s_cbranch_execz .LBB166_12
; %bb.11:                               ;   in Loop: Header=BB166_4 Depth=2
	s_waitcnt lgkmcnt(0)
	v_bcnt_u32_b32 v0, v0, v50
	ds_store_b32 v52, v0
.LBB166_12:                             ;   in Loop: Header=BB166_4 Depth=2
	s_or_b32 exec_lo, exec_lo, s14
	v_lshrrev_b32_e32 v0, s30, v24
	v_lshrrev_b32_e32 v1, s27, v25
	; wave barrier
	s_delay_alu instid0(VALU_DEP_1) | instskip(NEXT) | instid1(VALU_DEP_1)
	v_and_b32_e32 v1, s28, v1
	v_dual_cndmask_b32 v1, 0, v1 :: v_dual_and_b32 v0, s31, v0
	s_delay_alu instid0(VALU_DEP_1) | instskip(NEXT) | instid1(VALU_DEP_1)
	v_lshlrev_b32_e32 v0, s29, v0
	v_cndmask_b32_e64 v0, 0, v0, s13
	s_delay_alu instid0(VALU_DEP_1) | instskip(NEXT) | instid1(VALU_DEP_1)
	v_or_b32_e32 v0, v1, v0
	v_and_b32_e32 v2, 1, v0
	v_lshlrev_b32_e32 v3, 30, v0
	v_lshlrev_b32_e32 v4, 29, v0
	;; [unrolled: 1-line block ×4, first 2 shown]
	v_add_co_u32 v2, s14, v2, -1
	s_delay_alu instid0(VALU_DEP_1)
	v_cndmask_b32_e64 v6, 0, 1, s14
	v_not_b32_e32 v55, v3
	v_cmp_gt_i32_e64 s15, 0, v3
	v_not_b32_e32 v3, v4
	v_lshlrev_b32_e32 v53, 26, v0
	v_cmp_ne_u32_e64 s14, 0, v6
	v_ashrrev_i32_e32 v6, 31, v55
	v_lshlrev_b32_e32 v54, 25, v0
	v_ashrrev_i32_e32 v3, 31, v3
	v_mul_lo_u32 v1, v0, 6
	v_xor_b32_e32 v2, s14, v2
	v_cmp_gt_i32_e64 s14, 0, v4
	v_not_b32_e32 v4, v5
	v_xor_b32_e32 v6, s15, v6
	v_cmp_gt_i32_e64 s15, 0, v5
	v_and_b32_e32 v2, exec_lo, v2
	v_not_b32_e32 v5, v7
	v_ashrrev_i32_e32 v4, 31, v4
	v_xor_b32_e32 v3, s14, v3
	v_cmp_gt_i32_e64 s14, 0, v7
	v_and_b32_e32 v2, v2, v6
	v_not_b32_e32 v6, v53
	v_ashrrev_i32_e32 v5, 31, v5
	v_xor_b32_e32 v4, s15, v4
	v_lshlrev_b32_e32 v0, 24, v0
	v_and_b32_e32 v2, v2, v3
	v_cmp_gt_i32_e64 s15, 0, v53
	v_not_b32_e32 v3, v54
	v_ashrrev_i32_e32 v6, 31, v6
	v_xor_b32_e32 v5, s14, v5
	v_and_b32_e32 v2, v2, v4
	v_cmp_gt_i32_e64 s14, 0, v54
	v_not_b32_e32 v4, v0
	v_ashrrev_i32_e32 v3, 31, v3
	v_xor_b32_e32 v6, s15, v6
	v_and_b32_e32 v2, v2, v5
	v_cmp_gt_i32_e64 s15, 0, v0
	v_ashrrev_i32_e32 v0, 31, v4
	v_xor_b32_e32 v3, s14, v3
	v_add_lshl_u32 v1, v1, v9, 2
	v_and_b32_e32 v2, v2, v6
	s_delay_alu instid0(VALU_DEP_4) | instskip(SKIP_3) | instid1(VALU_DEP_2)
	v_xor_b32_e32 v0, s15, v0
	ds_load_b32 v53, v1 offset:24
	v_and_b32_e32 v2, v2, v3
	v_add_nc_u32_e32 v55, 24, v1
	; wave barrier
	v_and_b32_e32 v0, v2, v0
	s_delay_alu instid0(VALU_DEP_1) | instskip(SKIP_1) | instid1(VALU_DEP_2)
	v_mbcnt_lo_u32_b32 v54, v0, 0
	v_cmp_ne_u32_e64 s15, 0, v0
	v_cmp_eq_u32_e64 s14, 0, v54
	s_delay_alu instid0(VALU_DEP_1) | instskip(NEXT) | instid1(SALU_CYCLE_1)
	s_and_b32 s15, s14, s15
	s_and_saveexec_b32 s14, s15
	s_cbranch_execz .LBB166_14
; %bb.13:                               ;   in Loop: Header=BB166_4 Depth=2
	s_waitcnt lgkmcnt(0)
	v_bcnt_u32_b32 v0, v0, v53
	ds_store_b32 v55, v0
.LBB166_14:                             ;   in Loop: Header=BB166_4 Depth=2
	s_or_b32 exec_lo, exec_lo, s14
	v_lshrrev_b32_e32 v0, s30, v22
	v_lshrrev_b32_e32 v1, s27, v23
	; wave barrier
	s_delay_alu instid0(VALU_DEP_1) | instskip(NEXT) | instid1(VALU_DEP_1)
	v_and_b32_e32 v1, s28, v1
	v_dual_cndmask_b32 v1, 0, v1 :: v_dual_and_b32 v0, s31, v0
	s_delay_alu instid0(VALU_DEP_1) | instskip(NEXT) | instid1(VALU_DEP_1)
	v_lshlrev_b32_e32 v0, s29, v0
	v_cndmask_b32_e64 v0, 0, v0, s13
	s_delay_alu instid0(VALU_DEP_1) | instskip(NEXT) | instid1(VALU_DEP_1)
	v_or_b32_e32 v0, v1, v0
	v_and_b32_e32 v2, 1, v0
	v_lshlrev_b32_e32 v3, 30, v0
	v_lshlrev_b32_e32 v4, 29, v0
	;; [unrolled: 1-line block ×4, first 2 shown]
	v_add_co_u32 v2, s14, v2, -1
	s_delay_alu instid0(VALU_DEP_1)
	v_cndmask_b32_e64 v6, 0, 1, s14
	v_not_b32_e32 v58, v3
	v_cmp_gt_i32_e64 s15, 0, v3
	v_not_b32_e32 v3, v4
	v_lshlrev_b32_e32 v56, 26, v0
	v_cmp_ne_u32_e64 s14, 0, v6
	v_ashrrev_i32_e32 v6, 31, v58
	v_lshlrev_b32_e32 v57, 25, v0
	v_ashrrev_i32_e32 v3, 31, v3
	v_mul_lo_u32 v1, v0, 6
	v_xor_b32_e32 v2, s14, v2
	v_cmp_gt_i32_e64 s14, 0, v4
	v_not_b32_e32 v4, v5
	v_xor_b32_e32 v6, s15, v6
	v_cmp_gt_i32_e64 s15, 0, v5
	v_and_b32_e32 v2, exec_lo, v2
	v_not_b32_e32 v5, v7
	v_ashrrev_i32_e32 v4, 31, v4
	v_xor_b32_e32 v3, s14, v3
	v_cmp_gt_i32_e64 s14, 0, v7
	v_and_b32_e32 v2, v2, v6
	v_not_b32_e32 v6, v56
	v_ashrrev_i32_e32 v5, 31, v5
	v_xor_b32_e32 v4, s15, v4
	v_lshlrev_b32_e32 v0, 24, v0
	v_and_b32_e32 v2, v2, v3
	v_cmp_gt_i32_e64 s15, 0, v56
	v_not_b32_e32 v3, v57
	v_ashrrev_i32_e32 v6, 31, v6
	v_xor_b32_e32 v5, s14, v5
	v_and_b32_e32 v2, v2, v4
	v_cmp_gt_i32_e64 s14, 0, v57
	v_not_b32_e32 v4, v0
	v_ashrrev_i32_e32 v3, 31, v3
	v_xor_b32_e32 v6, s15, v6
	v_and_b32_e32 v2, v2, v5
	v_cmp_gt_i32_e64 s15, 0, v0
	v_ashrrev_i32_e32 v0, 31, v4
	v_xor_b32_e32 v3, s14, v3
	v_add_lshl_u32 v1, v1, v9, 2
	v_and_b32_e32 v2, v2, v6
	s_delay_alu instid0(VALU_DEP_4) | instskip(SKIP_3) | instid1(VALU_DEP_2)
	v_xor_b32_e32 v0, s15, v0
	ds_load_b32 v56, v1 offset:24
	v_and_b32_e32 v2, v2, v3
	v_add_nc_u32_e32 v58, 24, v1
	; wave barrier
	v_and_b32_e32 v0, v2, v0
	s_delay_alu instid0(VALU_DEP_1) | instskip(SKIP_1) | instid1(VALU_DEP_2)
	v_mbcnt_lo_u32_b32 v57, v0, 0
	v_cmp_ne_u32_e64 s15, 0, v0
	v_cmp_eq_u32_e64 s14, 0, v57
	s_delay_alu instid0(VALU_DEP_1) | instskip(NEXT) | instid1(SALU_CYCLE_1)
	s_and_b32 s15, s14, s15
	s_and_saveexec_b32 s14, s15
	s_cbranch_execz .LBB166_16
; %bb.15:                               ;   in Loop: Header=BB166_4 Depth=2
	s_waitcnt lgkmcnt(0)
	v_bcnt_u32_b32 v0, v0, v56
	ds_store_b32 v58, v0
.LBB166_16:                             ;   in Loop: Header=BB166_4 Depth=2
	s_or_b32 exec_lo, exec_lo, s14
	v_lshrrev_b32_e32 v0, s30, v20
	v_lshrrev_b32_e32 v1, s27, v21
	; wave barrier
	s_delay_alu instid0(VALU_DEP_1) | instskip(NEXT) | instid1(VALU_DEP_1)
	v_and_b32_e32 v1, s28, v1
	v_dual_cndmask_b32 v1, 0, v1 :: v_dual_and_b32 v0, s31, v0
	s_delay_alu instid0(VALU_DEP_1) | instskip(NEXT) | instid1(VALU_DEP_1)
	v_lshlrev_b32_e32 v0, s29, v0
	v_cndmask_b32_e64 v0, 0, v0, s13
	s_delay_alu instid0(VALU_DEP_1) | instskip(NEXT) | instid1(VALU_DEP_1)
	v_or_b32_e32 v0, v1, v0
	v_and_b32_e32 v2, 1, v0
	v_lshlrev_b32_e32 v3, 30, v0
	v_lshlrev_b32_e32 v4, 29, v0
	;; [unrolled: 1-line block ×4, first 2 shown]
	v_add_co_u32 v2, s14, v2, -1
	s_delay_alu instid0(VALU_DEP_1)
	v_cndmask_b32_e64 v6, 0, 1, s14
	v_not_b32_e32 v61, v3
	v_cmp_gt_i32_e64 s15, 0, v3
	v_not_b32_e32 v3, v4
	v_lshlrev_b32_e32 v59, 26, v0
	v_cmp_ne_u32_e64 s14, 0, v6
	v_ashrrev_i32_e32 v6, 31, v61
	v_lshlrev_b32_e32 v60, 25, v0
	v_ashrrev_i32_e32 v3, 31, v3
	v_mul_lo_u32 v1, v0, 6
	v_xor_b32_e32 v2, s14, v2
	v_cmp_gt_i32_e64 s14, 0, v4
	v_not_b32_e32 v4, v5
	v_xor_b32_e32 v6, s15, v6
	v_cmp_gt_i32_e64 s15, 0, v5
	v_and_b32_e32 v2, exec_lo, v2
	v_not_b32_e32 v5, v7
	v_ashrrev_i32_e32 v4, 31, v4
	v_xor_b32_e32 v3, s14, v3
	v_cmp_gt_i32_e64 s14, 0, v7
	v_and_b32_e32 v2, v2, v6
	v_not_b32_e32 v6, v59
	v_ashrrev_i32_e32 v5, 31, v5
	v_xor_b32_e32 v4, s15, v4
	v_lshlrev_b32_e32 v0, 24, v0
	v_and_b32_e32 v2, v2, v3
	v_cmp_gt_i32_e64 s15, 0, v59
	v_not_b32_e32 v3, v60
	v_ashrrev_i32_e32 v6, 31, v6
	v_xor_b32_e32 v5, s14, v5
	v_and_b32_e32 v2, v2, v4
	v_cmp_gt_i32_e64 s14, 0, v60
	v_not_b32_e32 v4, v0
	v_ashrrev_i32_e32 v3, 31, v3
	v_xor_b32_e32 v6, s15, v6
	v_and_b32_e32 v2, v2, v5
	v_cmp_gt_i32_e64 s15, 0, v0
	v_ashrrev_i32_e32 v0, 31, v4
	v_xor_b32_e32 v3, s14, v3
	v_add_lshl_u32 v1, v1, v9, 2
	v_and_b32_e32 v2, v2, v6
	s_delay_alu instid0(VALU_DEP_4) | instskip(SKIP_3) | instid1(VALU_DEP_2)
	v_xor_b32_e32 v0, s15, v0
	ds_load_b32 v59, v1 offset:24
	v_and_b32_e32 v2, v2, v3
	v_add_nc_u32_e32 v61, 24, v1
	; wave barrier
	v_and_b32_e32 v0, v2, v0
	s_delay_alu instid0(VALU_DEP_1) | instskip(SKIP_1) | instid1(VALU_DEP_2)
	v_mbcnt_lo_u32_b32 v60, v0, 0
	v_cmp_ne_u32_e64 s15, 0, v0
	v_cmp_eq_u32_e64 s14, 0, v60
	s_delay_alu instid0(VALU_DEP_1) | instskip(NEXT) | instid1(SALU_CYCLE_1)
	s_and_b32 s15, s14, s15
	s_and_saveexec_b32 s14, s15
	s_cbranch_execz .LBB166_18
; %bb.17:                               ;   in Loop: Header=BB166_4 Depth=2
	s_waitcnt lgkmcnt(0)
	v_bcnt_u32_b32 v0, v0, v59
	ds_store_b32 v61, v0
.LBB166_18:                             ;   in Loop: Header=BB166_4 Depth=2
	s_or_b32 exec_lo, exec_lo, s14
	v_lshrrev_b32_e32 v0, s30, v18
	v_lshrrev_b32_e32 v1, s27, v19
	; wave barrier
	s_delay_alu instid0(VALU_DEP_1) | instskip(NEXT) | instid1(VALU_DEP_1)
	v_and_b32_e32 v1, s28, v1
	v_dual_cndmask_b32 v1, 0, v1 :: v_dual_and_b32 v0, s31, v0
	s_delay_alu instid0(VALU_DEP_1) | instskip(NEXT) | instid1(VALU_DEP_1)
	v_lshlrev_b32_e32 v0, s29, v0
	v_cndmask_b32_e64 v0, 0, v0, s13
	s_delay_alu instid0(VALU_DEP_1) | instskip(NEXT) | instid1(VALU_DEP_1)
	v_or_b32_e32 v0, v1, v0
	v_and_b32_e32 v2, 1, v0
	v_lshlrev_b32_e32 v3, 30, v0
	v_lshlrev_b32_e32 v4, 29, v0
	;; [unrolled: 1-line block ×4, first 2 shown]
	v_add_co_u32 v2, s13, v2, -1
	s_delay_alu instid0(VALU_DEP_1)
	v_cndmask_b32_e64 v6, 0, 1, s13
	v_not_b32_e32 v64, v3
	v_cmp_gt_i32_e64 s13, 0, v3
	v_not_b32_e32 v3, v4
	v_lshlrev_b32_e32 v62, 26, v0
	v_cmp_ne_u32_e32 vcc_lo, 0, v6
	v_ashrrev_i32_e32 v6, 31, v64
	v_lshlrev_b32_e32 v63, 25, v0
	v_ashrrev_i32_e32 v3, 31, v3
	v_mul_lo_u32 v1, v0, 6
	v_xor_b32_e32 v2, vcc_lo, v2
	v_cmp_gt_i32_e32 vcc_lo, 0, v4
	v_not_b32_e32 v4, v5
	v_xor_b32_e32 v6, s13, v6
	v_cmp_gt_i32_e64 s13, 0, v5
	v_and_b32_e32 v2, exec_lo, v2
	v_not_b32_e32 v5, v7
	v_ashrrev_i32_e32 v4, 31, v4
	v_xor_b32_e32 v3, vcc_lo, v3
	v_cmp_gt_i32_e32 vcc_lo, 0, v7
	v_and_b32_e32 v2, v2, v6
	v_not_b32_e32 v6, v62
	v_ashrrev_i32_e32 v5, 31, v5
	v_xor_b32_e32 v4, s13, v4
	v_lshlrev_b32_e32 v0, 24, v0
	v_and_b32_e32 v2, v2, v3
	v_cmp_gt_i32_e64 s13, 0, v62
	v_not_b32_e32 v3, v63
	v_ashrrev_i32_e32 v6, 31, v6
	v_xor_b32_e32 v5, vcc_lo, v5
	v_and_b32_e32 v2, v2, v4
	v_cmp_gt_i32_e32 vcc_lo, 0, v63
	v_not_b32_e32 v4, v0
	v_ashrrev_i32_e32 v3, 31, v3
	v_xor_b32_e32 v6, s13, v6
	v_and_b32_e32 v2, v2, v5
	v_cmp_gt_i32_e64 s13, 0, v0
	v_ashrrev_i32_e32 v0, 31, v4
	v_xor_b32_e32 v3, vcc_lo, v3
	v_add_lshl_u32 v1, v1, v9, 2
	v_and_b32_e32 v2, v2, v6
	s_delay_alu instid0(VALU_DEP_4) | instskip(SKIP_3) | instid1(VALU_DEP_2)
	v_xor_b32_e32 v0, s13, v0
	ds_load_b32 v62, v1 offset:24
	v_and_b32_e32 v2, v2, v3
	v_add_nc_u32_e32 v64, 24, v1
	; wave barrier
	v_and_b32_e32 v0, v2, v0
	s_delay_alu instid0(VALU_DEP_1) | instskip(SKIP_1) | instid1(VALU_DEP_2)
	v_mbcnt_lo_u32_b32 v63, v0, 0
	v_cmp_ne_u32_e64 s13, 0, v0
	v_cmp_eq_u32_e32 vcc_lo, 0, v63
	s_delay_alu instid0(VALU_DEP_2) | instskip(NEXT) | instid1(SALU_CYCLE_1)
	s_and_b32 s14, vcc_lo, s13
	s_and_saveexec_b32 s13, s14
	s_cbranch_execz .LBB166_20
; %bb.19:                               ;   in Loop: Header=BB166_4 Depth=2
	s_waitcnt lgkmcnt(0)
	v_bcnt_u32_b32 v0, v0, v62
	ds_store_b32 v64, v0
.LBB166_20:                             ;   in Loop: Header=BB166_4 Depth=2
	s_or_b32 exec_lo, exec_lo, s13
	; wave barrier
	s_waitcnt lgkmcnt(0)
	s_barrier
	buffer_gl0_inv
	ds_load_2addr_b64 v[4:7], v40 offset0:3 offset1:4
	ds_load_2addr_b64 v[0:3], v44 offset0:2 offset1:3
	s_waitcnt lgkmcnt(1)
	v_add_nc_u32_e32 v65, v5, v4
	s_delay_alu instid0(VALU_DEP_1) | instskip(SKIP_1) | instid1(VALU_DEP_1)
	v_add3_u32 v65, v65, v6, v7
	s_waitcnt lgkmcnt(0)
	v_add3_u32 v65, v65, v0, v1
	s_delay_alu instid0(VALU_DEP_1) | instskip(NEXT) | instid1(VALU_DEP_1)
	v_add3_u32 v3, v65, v2, v3
	v_mov_b32_dpp v65, v3 row_shr:1 row_mask:0xf bank_mask:0xf
	s_delay_alu instid0(VALU_DEP_1) | instskip(NEXT) | instid1(VALU_DEP_1)
	v_cndmask_b32_e64 v65, v65, 0, s0
	v_add_nc_u32_e32 v3, v65, v3
	s_delay_alu instid0(VALU_DEP_1) | instskip(NEXT) | instid1(VALU_DEP_1)
	v_mov_b32_dpp v65, v3 row_shr:2 row_mask:0xf bank_mask:0xf
	v_cndmask_b32_e64 v65, 0, v65, s1
	s_delay_alu instid0(VALU_DEP_1) | instskip(NEXT) | instid1(VALU_DEP_1)
	v_add_nc_u32_e32 v3, v3, v65
	v_mov_b32_dpp v65, v3 row_shr:4 row_mask:0xf bank_mask:0xf
	s_delay_alu instid0(VALU_DEP_1) | instskip(NEXT) | instid1(VALU_DEP_1)
	v_cndmask_b32_e64 v65, 0, v65, s2
	v_add_nc_u32_e32 v3, v3, v65
	s_delay_alu instid0(VALU_DEP_1) | instskip(NEXT) | instid1(VALU_DEP_1)
	v_mov_b32_dpp v65, v3 row_shr:8 row_mask:0xf bank_mask:0xf
	v_cndmask_b32_e64 v65, 0, v65, s3
	s_delay_alu instid0(VALU_DEP_1) | instskip(SKIP_3) | instid1(VALU_DEP_1)
	v_add_nc_u32_e32 v3, v3, v65
	ds_swizzle_b32 v65, v3 offset:swizzle(BROADCAST,32,15)
	s_waitcnt lgkmcnt(0)
	v_cndmask_b32_e64 v65, v65, 0, s4
	v_add_nc_u32_e32 v3, v3, v65
	s_and_saveexec_b32 s13, s5
	s_cbranch_execz .LBB166_22
; %bb.21:                               ;   in Loop: Header=BB166_4 Depth=2
	ds_store_b32 v46, v3
.LBB166_22:                             ;   in Loop: Header=BB166_4 Depth=2
	s_or_b32 exec_lo, exec_lo, s13
	s_waitcnt lgkmcnt(0)
	s_barrier
	buffer_gl0_inv
	s_and_saveexec_b32 s13, s6
	s_cbranch_execz .LBB166_24
; %bb.23:                               ;   in Loop: Header=BB166_4 Depth=2
	ds_load_b32 v65, v49
	s_waitcnt lgkmcnt(0)
	v_mov_b32_dpp v66, v65 row_shr:1 row_mask:0xf bank_mask:0xf
	s_delay_alu instid0(VALU_DEP_1) | instskip(NEXT) | instid1(VALU_DEP_1)
	v_cndmask_b32_e64 v66, v66, 0, s10
	v_add_nc_u32_e32 v65, v66, v65
	s_delay_alu instid0(VALU_DEP_1) | instskip(NEXT) | instid1(VALU_DEP_1)
	v_mov_b32_dpp v66, v65 row_shr:2 row_mask:0xf bank_mask:0xf
	v_cndmask_b32_e64 v66, 0, v66, s11
	s_delay_alu instid0(VALU_DEP_1) | instskip(NEXT) | instid1(VALU_DEP_1)
	v_add_nc_u32_e32 v65, v65, v66
	v_mov_b32_dpp v66, v65 row_shr:4 row_mask:0xf bank_mask:0xf
	s_delay_alu instid0(VALU_DEP_1) | instskip(NEXT) | instid1(VALU_DEP_1)
	v_cndmask_b32_e64 v66, 0, v66, s12
	v_add_nc_u32_e32 v65, v65, v66
	ds_store_b32 v49, v65
.LBB166_24:                             ;   in Loop: Header=BB166_4 Depth=2
	s_or_b32 exec_lo, exec_lo, s13
	v_mov_b32_e32 v65, 0
	s_waitcnt lgkmcnt(0)
	s_barrier
	buffer_gl0_inv
	s_and_saveexec_b32 s13, s7
	s_cbranch_execz .LBB166_26
; %bb.25:                               ;   in Loop: Header=BB166_4 Depth=2
	ds_load_b32 v65, v47
.LBB166_26:                             ;   in Loop: Header=BB166_4 Depth=2
	s_or_b32 exec_lo, exec_lo, s13
	s_waitcnt lgkmcnt(0)
	v_add_nc_u32_e32 v3, v65, v3
	s_cmp_gt_u32 s27, 55
	ds_bpermute_b32 v3, v45, v3
	s_waitcnt lgkmcnt(0)
	v_cndmask_b32_e64 v3, v3, v65, s8
	s_delay_alu instid0(VALU_DEP_1) | instskip(NEXT) | instid1(VALU_DEP_1)
	v_cndmask_b32_e64 v3, v3, 0, s9
	v_add_nc_u32_e32 v4, v3, v4
	s_delay_alu instid0(VALU_DEP_1) | instskip(NEXT) | instid1(VALU_DEP_1)
	v_add_nc_u32_e32 v5, v4, v5
	v_add_nc_u32_e32 v6, v5, v6
	s_delay_alu instid0(VALU_DEP_1) | instskip(NEXT) | instid1(VALU_DEP_1)
	v_add_nc_u32_e32 v65, v6, v7
	v_add_nc_u32_e32 v66, v65, v0
	s_delay_alu instid0(VALU_DEP_1) | instskip(NEXT) | instid1(VALU_DEP_1)
	v_add_nc_u32_e32 v0, v66, v1
	v_add_nc_u32_e32 v1, v0, v2
	ds_store_2addr_b64 v40, v[3:4], v[5:6] offset0:3 offset1:4
	ds_store_2addr_b64 v44, v[65:66], v[0:1] offset0:2 offset1:3
	s_waitcnt lgkmcnt(0)
	s_barrier
	buffer_gl0_inv
	ds_load_b32 v0, v27
	ds_load_b32 v1, v30
	;; [unrolled: 1-line block ×8, first 2 shown]
	s_waitcnt lgkmcnt(0)
	v_add_nc_u32_e32 v0, v0, v26
	v_add3_u32 v1, v29, v28, v1
	v_add3_u32 v2, v32, v31, v2
	;; [unrolled: 1-line block ×7, first 2 shown]
	v_lshrrev_b32_e32 v26, 2, v0
	v_lshrrev_b32_e32 v27, 2, v1
	;; [unrolled: 1-line block ×8, first 2 shown]
	v_and_b32_e32 v26, 0x3ffffff8, v26
	v_and_b32_e32 v27, 0x3ffffff8, v27
	;; [unrolled: 1-line block ×8, first 2 shown]
	v_lshl_add_u32 v50, v0, 3, v26
	v_lshl_add_u32 v51, v1, 3, v27
	;; [unrolled: 1-line block ×8, first 2 shown]
	s_cbranch_scc0 .LBB166_3
; %bb.27:                               ;   in Loop: Header=BB166_2 Depth=1
                                        ; implicit-def: $sgpr27
                                        ; implicit-def: $vgpr32_vgpr33
                                        ; implicit-def: $vgpr0_vgpr1
                                        ; implicit-def: $vgpr2_vgpr3
                                        ; implicit-def: $vgpr6_vgpr7
                                        ; implicit-def: $vgpr4_vgpr5
                                        ; implicit-def: $vgpr26_vgpr27
                                        ; implicit-def: $vgpr28_vgpr29
                                        ; implicit-def: $vgpr30_vgpr31
                                        ; implicit-def: $sgpr26
                                        ; implicit-def: $sgpr25
	s_branch .LBB166_1
.LBB166_28:
	v_lshlrev_b32_e32 v0, 3, v8
	s_add_u32 s0, s18, s20
	s_addc_u32 s1, s19, s21
	s_delay_alu instid0(VALU_DEP_1) | instskip(NEXT) | instid1(VALU_DEP_1)
	v_add_co_u32 v9, s2, s0, v0
	v_add_co_ci_u32_e64 v21, null, s1, 0, s2
	s_delay_alu instid0(VALU_DEP_2) | instskip(NEXT) | instid1(VALU_DEP_2)
	v_add_co_u32 v7, vcc_lo, 0x1000, v9
	v_add_co_ci_u32_e32 v8, vcc_lo, 0, v21, vcc_lo
	v_add_co_u32 v20, vcc_lo, 0x2000, v9
	v_add_co_ci_u32_e32 v21, vcc_lo, 0, v21, vcc_lo
	s_clause 0x7
	global_store_b64 v0, v[1:2], s[0:1]
	global_store_b64 v0, v[3:4], s[0:1] offset:1536
	global_store_b64 v0, v[5:6], s[0:1] offset:3072
	global_store_b64 v[7:8], v[10:11], off offset:512
	global_store_b64 v[7:8], v[12:13], off offset:2048
	;; [unrolled: 1-line block ×5, first 2 shown]
	s_nop 0
	s_sendmsg sendmsg(MSG_DEALLOC_VGPRS)
	s_endpgm
	.section	.rodata,"a",@progbits
	.p2align	6, 0x0
	.amdhsa_kernel _Z16sort_keys_kernelI22helper_blocked_blockedN15benchmark_utils11custom_typeIiiEELj192ELj8ELj10EEvPKT0_PS4_
		.amdhsa_group_segment_fixed_size 12672
		.amdhsa_private_segment_fixed_size 0
		.amdhsa_kernarg_size 272
		.amdhsa_user_sgpr_count 15
		.amdhsa_user_sgpr_dispatch_ptr 0
		.amdhsa_user_sgpr_queue_ptr 0
		.amdhsa_user_sgpr_kernarg_segment_ptr 1
		.amdhsa_user_sgpr_dispatch_id 0
		.amdhsa_user_sgpr_private_segment_size 0
		.amdhsa_wavefront_size32 1
		.amdhsa_uses_dynamic_stack 0
		.amdhsa_enable_private_segment 0
		.amdhsa_system_sgpr_workgroup_id_x 1
		.amdhsa_system_sgpr_workgroup_id_y 0
		.amdhsa_system_sgpr_workgroup_id_z 0
		.amdhsa_system_sgpr_workgroup_info 0
		.amdhsa_system_vgpr_workitem_id 2
		.amdhsa_next_free_vgpr 67
		.amdhsa_next_free_sgpr 32
		.amdhsa_reserve_vcc 1
		.amdhsa_float_round_mode_32 0
		.amdhsa_float_round_mode_16_64 0
		.amdhsa_float_denorm_mode_32 3
		.amdhsa_float_denorm_mode_16_64 3
		.amdhsa_dx10_clamp 1
		.amdhsa_ieee_mode 1
		.amdhsa_fp16_overflow 0
		.amdhsa_workgroup_processor_mode 1
		.amdhsa_memory_ordered 1
		.amdhsa_forward_progress 0
		.amdhsa_shared_vgpr_count 0
		.amdhsa_exception_fp_ieee_invalid_op 0
		.amdhsa_exception_fp_denorm_src 0
		.amdhsa_exception_fp_ieee_div_zero 0
		.amdhsa_exception_fp_ieee_overflow 0
		.amdhsa_exception_fp_ieee_underflow 0
		.amdhsa_exception_fp_ieee_inexact 0
		.amdhsa_exception_int_div_zero 0
	.end_amdhsa_kernel
	.section	.text._Z16sort_keys_kernelI22helper_blocked_blockedN15benchmark_utils11custom_typeIiiEELj192ELj8ELj10EEvPKT0_PS4_,"axG",@progbits,_Z16sort_keys_kernelI22helper_blocked_blockedN15benchmark_utils11custom_typeIiiEELj192ELj8ELj10EEvPKT0_PS4_,comdat
.Lfunc_end166:
	.size	_Z16sort_keys_kernelI22helper_blocked_blockedN15benchmark_utils11custom_typeIiiEELj192ELj8ELj10EEvPKT0_PS4_, .Lfunc_end166-_Z16sort_keys_kernelI22helper_blocked_blockedN15benchmark_utils11custom_typeIiiEELj192ELj8ELj10EEvPKT0_PS4_
                                        ; -- End function
	.section	.AMDGPU.csdata,"",@progbits
; Kernel info:
; codeLenInByte = 5588
; NumSgprs: 34
; NumVgprs: 67
; ScratchSize: 0
; MemoryBound: 0
; FloatMode: 240
; IeeeMode: 1
; LDSByteSize: 12672 bytes/workgroup (compile time only)
; SGPRBlocks: 4
; VGPRBlocks: 8
; NumSGPRsForWavesPerEU: 34
; NumVGPRsForWavesPerEU: 67
; Occupancy: 15
; WaveLimiterHint : 1
; COMPUTE_PGM_RSRC2:SCRATCH_EN: 0
; COMPUTE_PGM_RSRC2:USER_SGPR: 15
; COMPUTE_PGM_RSRC2:TRAP_HANDLER: 0
; COMPUTE_PGM_RSRC2:TGID_X_EN: 1
; COMPUTE_PGM_RSRC2:TGID_Y_EN: 0
; COMPUTE_PGM_RSRC2:TGID_Z_EN: 0
; COMPUTE_PGM_RSRC2:TIDIG_COMP_CNT: 2
	.section	.text._Z17sort_pairs_kernelI22helper_blocked_blockedN15benchmark_utils11custom_typeIiiEELj192ELj8ELj10EEvPKT0_PS4_,"axG",@progbits,_Z17sort_pairs_kernelI22helper_blocked_blockedN15benchmark_utils11custom_typeIiiEELj192ELj8ELj10EEvPKT0_PS4_,comdat
	.protected	_Z17sort_pairs_kernelI22helper_blocked_blockedN15benchmark_utils11custom_typeIiiEELj192ELj8ELj10EEvPKT0_PS4_ ; -- Begin function _Z17sort_pairs_kernelI22helper_blocked_blockedN15benchmark_utils11custom_typeIiiEELj192ELj8ELj10EEvPKT0_PS4_
	.globl	_Z17sort_pairs_kernelI22helper_blocked_blockedN15benchmark_utils11custom_typeIiiEELj192ELj8ELj10EEvPKT0_PS4_
	.p2align	8
	.type	_Z17sort_pairs_kernelI22helper_blocked_blockedN15benchmark_utils11custom_typeIiiEELj192ELj8ELj10EEvPKT0_PS4_,@function
_Z17sort_pairs_kernelI22helper_blocked_blockedN15benchmark_utils11custom_typeIiiEELj192ELj8ELj10EEvPKT0_PS4_: ; @_Z17sort_pairs_kernelI22helper_blocked_blockedN15benchmark_utils11custom_typeIiiEELj192ELj8ELj10EEvPKT0_PS4_
; %bb.0:
	s_clause 0x1
	s_load_b128 s[16:19], s[0:1], 0x0
	s_load_b32 s12, s[0:1], 0x1c
	v_and_b32_e32 v16, 0x3ff, v0
	s_mov_b32 s23, 0
	s_mul_i32 s22, s15, 0x600
	s_mov_b32 s24, s23
	s_lshl_b64 s[20:21], s[22:23], 3
	v_lshlrev_b32_e32 v5, 3, v16
	s_mov_b32 s22, s23
	s_delay_alu instid0(VALU_DEP_1) | instskip(NEXT) | instid1(VALU_DEP_1)
	v_and_b32_e32 v9, 0x700, v5
	v_or_b32_e32 v10, 0x60, v9
	v_or_b32_e32 v11, 0x80, v9
	;; [unrolled: 1-line block ×3, first 2 shown]
	s_waitcnt lgkmcnt(0)
	s_add_u32 s0, s16, s20
	s_addc_u32 s1, s17, s21
	v_add_co_u32 v3, s2, s0, v5
	s_delay_alu instid0(VALU_DEP_1) | instskip(SKIP_1) | instid1(VALU_DEP_2)
	v_add_co_ci_u32_e64 v4, null, s1, 0, s2
	s_lshr_b32 s13, s12, 16
	v_add_co_u32 v1, vcc_lo, 0x1000, v3
	s_delay_alu instid0(VALU_DEP_2)
	v_add_co_ci_u32_e32 v2, vcc_lo, 0, v4, vcc_lo
	v_add_co_u32 v3, vcc_lo, 0x2000, v3
	v_add_co_ci_u32_e32 v4, vcc_lo, 0, v4, vcc_lo
	s_clause 0x7
	global_load_b64 v[18:19], v5, s[0:1]
	global_load_b64 v[20:21], v5, s[0:1] offset:1536
	global_load_b64 v[22:23], v5, s[0:1] offset:3072
	global_load_b64 v[24:25], v[1:2], off offset:512
	global_load_b64 v[28:29], v[1:2], off offset:2048
	;; [unrolled: 1-line block ×5, first 2 shown]
	v_mbcnt_lo_u32_b32 v1, -1, 0
	v_bfe_u32 v2, v0, 10, 10
	v_bfe_u32 v0, v0, 20, 10
	v_or_b32_e32 v13, 0xc0, v9
	s_and_b32 s14, s12, 0xffff
	v_add_nc_u32_e32 v6, -1, v1
	v_and_b32_e32 v3, 15, v1
	v_and_b32_e32 v4, 16, v1
	;; [unrolled: 1-line block ×3, first 2 shown]
	v_cmp_eq_u32_e64 s0, 0, v1
	v_cmp_gt_i32_e32 vcc_lo, 0, v6
	v_cmp_eq_u32_e64 s1, 0, v3
	v_cmp_lt_u32_e64 s2, 1, v3
	v_cmp_lt_u32_e64 s3, 3, v3
	;; [unrolled: 1-line block ×3, first 2 shown]
	v_dual_cndmask_b32 v3, v6, v1 :: v_dual_and_b32 v8, 0xe0, v16
	v_cmp_eq_u32_e64 s5, 0, v4
	v_lshrrev_b32_e32 v4, 3, v16
	v_cmp_eq_u32_e64 s9, 0, v7
	v_cmp_lt_u32_e64 s10, 1, v7
	v_cmp_lt_u32_e64 s11, 3, v7
	v_lshrrev_b32_e32 v6, 2, v16
	v_or_b32_e32 v7, v1, v8
	v_and_b32_e32 v69, 28, v4
	v_or_b32_e32 v4, v1, v9
	v_lshrrev_b32_e32 v1, 5, v9
	v_mad_u32_u24 v2, v0, s13, v2
	v_min_u32_e32 v8, 0xa0, v8
	v_lshlrev_b32_e32 v68, 2, v3
	v_add_lshl_u32 v70, v6, v5, 3
	v_lshlrev_b32_e32 v3, 1, v7
	v_or_b32_e32 v5, 32, v9
	v_or_b32_e32 v6, 64, v9
	;; [unrolled: 1-line block ×3, first 2 shown]
	v_add_lshl_u32 v72, v1, v4, 3
	v_mad_u64_u32 v[0:1], null, v2, s14, v[16:17]
	v_lshlrev_b32_e32 v66, 5, v16
	v_mul_i32_i24_e32 v34, 0xffffffe4, v16
	v_or_b32_e32 v8, 31, v8
	v_and_b32_e32 v3, 0x1f8, v3
	v_lshrrev_b32_e32 v5, 5, v5
	v_lshrrev_b32_e32 v6, 5, v6
	;; [unrolled: 1-line block ×7, first 2 shown]
	v_cmp_gt_u32_e64 s6, 6, v16
	v_cmp_lt_u32_e64 s7, 31, v16
	v_cmp_eq_u32_e64 s8, 0, v16
	v_or_b32_e32 v67, 24, v66
	v_add_nc_u32_e32 v71, -4, v69
	v_cmp_eq_u32_e64 s12, v8, v16
	v_lshl_add_u32 v73, v7, 6, v3
	v_add_lshl_u32 v74, v5, v4, 3
	v_add_lshl_u32 v75, v6, v4, 3
	;; [unrolled: 1-line block ×7, first 2 shown]
	v_lshrrev_b32_e32 v17, 5, v0
	v_add_nc_u32_e32 v81, v66, v34
	s_mov_b32 s16, s23
	s_mov_b32 s17, s23
	s_waitcnt vmcnt(7)
	v_add_nc_u32_e32 v13, 1, v19
	v_add_nc_u32_e32 v12, 1, v18
	s_waitcnt vmcnt(6)
	v_add_nc_u32_e32 v15, 1, v21
	v_add_nc_u32_e32 v14, 1, v20
	s_waitcnt vmcnt(5)
	v_add_nc_u32_e32 v9, 1, v23
	v_add_nc_u32_e32 v8, 1, v22
	s_waitcnt vmcnt(4)
	v_add_nc_u32_e32 v11, 1, v25
	v_add_nc_u32_e32 v10, 1, v24
	s_waitcnt vmcnt(3)
	v_add_nc_u32_e32 v5, 1, v29
	v_add_nc_u32_e32 v4, 1, v28
	s_waitcnt vmcnt(2)
	v_add_nc_u32_e32 v7, 1, v31
	v_add_nc_u32_e32 v6, 1, v30
	s_waitcnt vmcnt(1)
	v_add_nc_u32_e32 v1, 1, v33
	v_add_nc_u32_e32 v0, 1, v32
	s_waitcnt vmcnt(0)
	v_add_nc_u32_e32 v3, 1, v27
	v_add_nc_u32_e32 v2, 1, v26
	s_branch .LBB167_2
.LBB167_1:                              ;   in Loop: Header=BB167_2 Depth=1
	s_barrier
	buffer_gl0_inv
	ds_store_b64 v82, v[8:9]
	ds_store_b64 v83, v[32:33]
	;; [unrolled: 1-line block ×8, first 2 shown]
	s_waitcnt lgkmcnt(0)
	s_barrier
	buffer_gl0_inv
	ds_load_2addr_b64 v[28:31], v70 offset1:1
	ds_load_2addr_b64 v[32:35], v70 offset0:2 offset1:3
	ds_load_2addr_b64 v[36:39], v70 offset0:4 offset1:5
	;; [unrolled: 1-line block ×3, first 2 shown]
	s_waitcnt lgkmcnt(0)
	s_barrier
	buffer_gl0_inv
	ds_store_b64 v82, v[14:15]
	ds_store_b64 v83, v[12:13]
	;; [unrolled: 1-line block ×8, first 2 shown]
	s_waitcnt lgkmcnt(0)
	s_barrier
	buffer_gl0_inv
	ds_load_2addr_b64 v[12:15], v70 offset1:1
	ds_load_2addr_b64 v[8:11], v70 offset0:2 offset1:3
	ds_load_2addr_b64 v[4:7], v70 offset0:4 offset1:5
	;; [unrolled: 1-line block ×3, first 2 shown]
	s_add_i32 s24, s24, 1
	s_delay_alu instid0(SALU_CYCLE_1)
	s_cmp_lg_u32 s24, 10
	v_xor_b32_e32 v18, 0x80000000, v28
	v_xor_b32_e32 v19, 0x80000000, v29
	;; [unrolled: 1-line block ×16, first 2 shown]
	s_cbranch_scc0 .LBB167_28
.LBB167_2:                              ; =>This Loop Header: Depth=1
                                        ;     Child Loop BB167_4 Depth 2
	v_xor_b32_e32 v19, 0x80000000, v19
	v_xor_b32_e32 v18, 0x80000000, v18
	v_xor_b32_e32 v21, 0x80000000, v21
	v_xor_b32_e32 v20, 0x80000000, v20
	v_xor_b32_e32 v23, 0x80000000, v23
	v_xor_b32_e32 v22, 0x80000000, v22
	v_xor_b32_e32 v25, 0x80000000, v25
	v_xor_b32_e32 v24, 0x80000000, v24
	v_xor_b32_e32 v29, 0x80000000, v29
	v_xor_b32_e32 v28, 0x80000000, v28
	v_xor_b32_e32 v31, 0x80000000, v31
	v_xor_b32_e32 v30, 0x80000000, v30
	v_xor_b32_e32 v33, 0x80000000, v33
	v_xor_b32_e32 v32, 0x80000000, v32
	v_xor_b32_e32 v27, 0x80000000, v27
	v_xor_b32_e32 v26, 0x80000000, v26
	ds_store_2addr_b64 v73, v[18:19], v[20:21] offset1:1
	ds_store_2addr_b64 v73, v[22:23], v[24:25] offset0:2 offset1:3
	ds_store_2addr_b64 v73, v[28:29], v[30:31] offset0:4 offset1:5
	;; [unrolled: 1-line block ×3, first 2 shown]
	; wave barrier
	ds_load_b64 v[56:57], v72
	ds_load_b64 v[42:43], v74 offset:256
	ds_load_b64 v[44:45], v75 offset:512
	;; [unrolled: 1-line block ×7, first 2 shown]
	; wave barrier
	s_waitcnt lgkmcnt(15)
	ds_store_2addr_b64 v73, v[12:13], v[14:15] offset1:1
	s_waitcnt lgkmcnt(15)
	ds_store_2addr_b64 v73, v[8:9], v[10:11] offset0:2 offset1:3
	s_waitcnt lgkmcnt(15)
	ds_store_2addr_b64 v73, v[4:5], v[6:7] offset0:4 offset1:5
	;; [unrolled: 2-line block ×3, first 2 shown]
	; wave barrier
	ds_load_b64 v[2:3], v72
	ds_load_b64 v[4:5], v74 offset:256
	ds_load_b64 v[6:7], v75 offset:512
	;; [unrolled: 1-line block ×7, first 2 shown]
	s_mov_b32 s25, 8
	s_mov_b32 s26, 32
	;; [unrolled: 1-line block ×3, first 2 shown]
	s_waitcnt lgkmcnt(0)
	s_barrier
	s_branch .LBB167_4
.LBB167_3:                              ;   in Loop: Header=BB167_4 Depth=2
	s_barrier
	buffer_gl0_inv
	ds_store_b64 v82, v[8:9]
	ds_store_b64 v83, v[32:33]
	;; [unrolled: 1-line block ×8, first 2 shown]
	s_waitcnt lgkmcnt(0)
	s_barrier
	buffer_gl0_inv
	ds_load_b64 v[56:57], v72
	ds_load_b64 v[42:43], v74 offset:256
	ds_load_b64 v[44:45], v75 offset:512
	;; [unrolled: 1-line block ×7, first 2 shown]
	s_waitcnt lgkmcnt(0)
	s_barrier
	buffer_gl0_inv
	ds_store_b64 v82, v[14:15]
	ds_store_b64 v83, v[12:13]
	;; [unrolled: 1-line block ×8, first 2 shown]
	s_waitcnt lgkmcnt(0)
	s_barrier
	buffer_gl0_inv
	ds_load_b64 v[2:3], v72
	ds_load_b64 v[4:5], v74 offset:256
	ds_load_b64 v[6:7], v75 offset:512
	;; [unrolled: 1-line block ×7, first 2 shown]
	s_add_i32 s26, s26, -8
	s_add_i32 s25, s25, 8
	s_add_i32 s27, s27, 8
	s_waitcnt lgkmcnt(0)
	s_barrier
	s_cbranch_execz .LBB167_1
.LBB167_4:                              ;   Parent Loop BB167_2 Depth=1
                                        ; =>  This Inner Loop Header: Depth=2
	s_min_i32 s14, s25, 32
	s_cmp_lt_u32 s27, 32
	v_dual_mov_b32 v8, v56 :: v_dual_mov_b32 v9, v57
	s_cselect_b32 vcc_lo, -1, 0
	s_cmp_gt_u32 s27, 24
	v_mov_b32_e32 v32, v42
	s_cselect_b32 s13, -1, 0
	s_sub_i32 s14, s14, 32
	v_lshrrev_b32_e32 v11, s27, v9
	s_add_i32 s15, s14, s26
	v_mov_b32_e32 v30, v44
	s_lshl_b32 s15, -1, s15
	v_mov_b32_e32 v38, v50
	s_not_b32 s15, s15
	s_cmp_lg_u32 s14, s27
	v_mov_b32_e32 v36, v52
	s_cselect_b32 s28, s15, -1
	s_max_i32 s29, s26, 0
	s_max_i32 s14, s27, 32
	v_and_b32_e32 v11, s28, v11
	s_sub_i32 s15, s14, s29
	s_sub_i32 s30, s14, 32
	;; [unrolled: 1-line block ×3, first 2 shown]
	v_lshrrev_b32_e32 v10, s30, v8
	s_min_i32 s14, s15, 32
	v_mov_b32_e32 v40, v46
	s_sub_i32 s14, s14, s30
	v_mov_b32_e32 v34, v54
	s_lshl_b32 s15, -1, s14
	v_mov_b32_e32 v24, v58
	s_not_b32 s15, s15
	s_cmp_lg_u32 s14, 32
	v_mov_b32_e32 v15, v3
	s_cselect_b32 s31, s15, -1
	v_mov_b32_e32 v14, v2
	v_and_b32_e32 v10, s31, v10
	v_dual_cndmask_b32 v18, 0, v11 :: v_dual_mov_b32 v13, v5
	v_dual_mov_b32 v12, v4 :: v_dual_mov_b32 v25, v59
	s_delay_alu instid0(VALU_DEP_3)
	v_lshlrev_b32_e32 v10, s29, v10
	v_dual_mov_b32 v22, v60 :: v_dual_mov_b32 v23, v61
	buffer_gl0_inv
	v_mov_b32_e32 v33, v43
	v_cndmask_b32_e64 v19, 0, v10, s13
	v_dual_mov_b32 v11, v7 :: v_dual_mov_b32 v10, v6
	v_mov_b32_e32 v31, v45
	v_mov_b32_e32 v41, v47
	s_delay_alu instid0(VALU_DEP_4) | instskip(SKIP_3) | instid1(VALU_DEP_4)
	v_or_b32_e32 v7, v18, v19
	v_mov_b32_e32 v20, v62
	v_dual_mov_b32 v18, v64 :: v_dual_mov_b32 v21, v63
	v_mov_b32_e32 v19, v65
	v_lshlrev_b32_e32 v5, 28, v7
	v_and_b32_e32 v2, 1, v7
	v_lshlrev_b32_e32 v3, 30, v7
	v_lshlrev_b32_e32 v4, 29, v7
	;; [unrolled: 1-line block ×4, first 2 shown]
	v_add_co_u32 v2, s14, v2, -1
	s_delay_alu instid0(VALU_DEP_1)
	v_cndmask_b32_e64 v6, 0, 1, s14
	v_not_b32_e32 v29, v3
	v_cmp_gt_i32_e64 s15, 0, v3
	v_not_b32_e32 v3, v4
	v_lshlrev_b32_e32 v28, 25, v7
	v_cmp_ne_u32_e64 s14, 0, v6
	v_ashrrev_i32_e32 v29, 31, v29
	v_lshlrev_b32_e32 v6, 24, v7
	v_ashrrev_i32_e32 v3, 31, v3
	v_mov_b32_e32 v39, v51
	v_xor_b32_e32 v2, s14, v2
	v_cmp_gt_i32_e64 s14, 0, v4
	v_not_b32_e32 v4, v5
	v_xor_b32_e32 v29, s15, v29
	v_cmp_gt_i32_e64 s15, 0, v5
	v_and_b32_e32 v2, exec_lo, v2
	v_not_b32_e32 v5, v26
	v_ashrrev_i32_e32 v4, 31, v4
	v_xor_b32_e32 v3, s14, v3
	v_cmp_gt_i32_e64 s14, 0, v26
	v_dual_mov_b32 v37, v53 :: v_dual_and_b32 v2, v2, v29
	v_not_b32_e32 v26, v27
	v_ashrrev_i32_e32 v5, 31, v5
	v_xor_b32_e32 v4, s15, v4
	s_delay_alu instid0(VALU_DEP_4)
	v_dual_mov_b32 v35, v55 :: v_dual_and_b32 v2, v2, v3
	v_not_b32_e32 v3, v28
	v_cmp_gt_i32_e64 s15, 0, v27
	v_ashrrev_i32_e32 v26, 31, v26
	v_xor_b32_e32 v5, s14, v5
	v_and_b32_e32 v2, v2, v4
	v_cmp_gt_i32_e64 s14, 0, v28
	v_not_b32_e32 v4, v6
	v_ashrrev_i32_e32 v3, 31, v3
	v_xor_b32_e32 v28, s15, v26
	v_dual_mov_b32 v27, v1 :: v_dual_mov_b32 v26, v0
	s_delay_alu instid0(VALU_DEP_4) | instskip(NEXT) | instid1(VALU_DEP_4)
	v_ashrrev_i32_e32 v0, 31, v4
	v_xor_b32_e32 v1, s14, v3
	v_dual_mov_b32 v3, s16 :: v_dual_and_b32 v2, v2, v5
	v_cmp_gt_i32_e64 s15, 0, v6
	v_mad_u64_u32 v[5:6], null, v7, 6, v[17:18]
	v_mov_b32_e32 v4, s17
	s_delay_alu instid0(VALU_DEP_4) | instskip(NEXT) | instid1(VALU_DEP_4)
	v_and_b32_e32 v2, v2, v28
	v_xor_b32_e32 v0, s15, v0
	v_dual_mov_b32 v28, v48 :: v_dual_mov_b32 v29, v49
	s_delay_alu instid0(VALU_DEP_3) | instskip(SKIP_1) | instid1(VALU_DEP_2)
	v_and_b32_e32 v1, v2, v1
	v_lshl_add_u32 v43, v5, 2, 24
	v_dual_mov_b32 v1, s22 :: v_dual_and_b32 v0, v1, v0
	v_mov_b32_e32 v2, s23
	ds_store_2addr_b64 v66, v[1:2], v[3:4] offset0:3 offset1:4
	ds_store_2addr_b64 v67, v[1:2], v[3:4] offset0:2 offset1:3
	v_mbcnt_lo_u32_b32 v42, v0, 0
	v_cmp_ne_u32_e64 s15, 0, v0
	s_waitcnt lgkmcnt(0)
	s_barrier
	buffer_gl0_inv
	v_cmp_eq_u32_e64 s14, 0, v42
	; wave barrier
	s_delay_alu instid0(VALU_DEP_1) | instskip(NEXT) | instid1(SALU_CYCLE_1)
	s_and_b32 s15, s14, s15
	s_and_saveexec_b32 s14, s15
	s_cbranch_execz .LBB167_6
; %bb.5:                                ;   in Loop: Header=BB167_4 Depth=2
	v_bcnt_u32_b32 v0, v0, 0
	ds_store_b32 v43, v0
.LBB167_6:                              ;   in Loop: Header=BB167_4 Depth=2
	s_or_b32 exec_lo, exec_lo, s14
	v_lshrrev_b32_e32 v0, s30, v32
	v_lshrrev_b32_e32 v1, s27, v33
	; wave barrier
	s_delay_alu instid0(VALU_DEP_1) | instskip(NEXT) | instid1(VALU_DEP_1)
	v_and_b32_e32 v1, s28, v1
	v_dual_cndmask_b32 v1, 0, v1 :: v_dual_and_b32 v0, s31, v0
	s_delay_alu instid0(VALU_DEP_1) | instskip(NEXT) | instid1(VALU_DEP_1)
	v_lshlrev_b32_e32 v0, s29, v0
	v_cndmask_b32_e64 v0, 0, v0, s13
	s_delay_alu instid0(VALU_DEP_1) | instskip(NEXT) | instid1(VALU_DEP_1)
	v_or_b32_e32 v0, v1, v0
	v_and_b32_e32 v2, 1, v0
	v_lshlrev_b32_e32 v3, 30, v0
	v_lshlrev_b32_e32 v4, 29, v0
	;; [unrolled: 1-line block ×4, first 2 shown]
	v_add_co_u32 v2, s14, v2, -1
	s_delay_alu instid0(VALU_DEP_1)
	v_cndmask_b32_e64 v6, 0, 1, s14
	v_not_b32_e32 v46, v3
	v_cmp_gt_i32_e64 s15, 0, v3
	v_not_b32_e32 v3, v4
	v_lshlrev_b32_e32 v44, 26, v0
	v_cmp_ne_u32_e64 s14, 0, v6
	v_ashrrev_i32_e32 v6, 31, v46
	v_lshlrev_b32_e32 v45, 25, v0
	v_ashrrev_i32_e32 v3, 31, v3
	v_mul_lo_u32 v1, v0, 6
	v_xor_b32_e32 v2, s14, v2
	v_cmp_gt_i32_e64 s14, 0, v4
	v_not_b32_e32 v4, v5
	v_xor_b32_e32 v6, s15, v6
	v_cmp_gt_i32_e64 s15, 0, v5
	v_and_b32_e32 v2, exec_lo, v2
	v_not_b32_e32 v5, v7
	v_ashrrev_i32_e32 v4, 31, v4
	v_xor_b32_e32 v3, s14, v3
	v_cmp_gt_i32_e64 s14, 0, v7
	v_and_b32_e32 v2, v2, v6
	v_not_b32_e32 v6, v44
	v_ashrrev_i32_e32 v5, 31, v5
	v_xor_b32_e32 v4, s15, v4
	v_lshlrev_b32_e32 v0, 24, v0
	v_and_b32_e32 v2, v2, v3
	v_cmp_gt_i32_e64 s15, 0, v44
	v_not_b32_e32 v3, v45
	v_ashrrev_i32_e32 v6, 31, v6
	v_xor_b32_e32 v5, s14, v5
	v_and_b32_e32 v2, v2, v4
	v_cmp_gt_i32_e64 s14, 0, v45
	v_not_b32_e32 v4, v0
	v_ashrrev_i32_e32 v3, 31, v3
	v_xor_b32_e32 v6, s15, v6
	v_and_b32_e32 v2, v2, v5
	v_cmp_gt_i32_e64 s15, 0, v0
	v_ashrrev_i32_e32 v0, 31, v4
	v_xor_b32_e32 v3, s14, v3
	v_add_lshl_u32 v1, v1, v17, 2
	v_and_b32_e32 v2, v2, v6
	s_delay_alu instid0(VALU_DEP_4) | instskip(SKIP_3) | instid1(VALU_DEP_2)
	v_xor_b32_e32 v0, s15, v0
	ds_load_b32 v44, v1 offset:24
	v_and_b32_e32 v2, v2, v3
	v_add_nc_u32_e32 v46, 24, v1
	; wave barrier
	v_and_b32_e32 v0, v2, v0
	s_delay_alu instid0(VALU_DEP_1) | instskip(SKIP_1) | instid1(VALU_DEP_2)
	v_mbcnt_lo_u32_b32 v45, v0, 0
	v_cmp_ne_u32_e64 s15, 0, v0
	v_cmp_eq_u32_e64 s14, 0, v45
	s_delay_alu instid0(VALU_DEP_1) | instskip(NEXT) | instid1(SALU_CYCLE_1)
	s_and_b32 s15, s14, s15
	s_and_saveexec_b32 s14, s15
	s_cbranch_execz .LBB167_8
; %bb.7:                                ;   in Loop: Header=BB167_4 Depth=2
	s_waitcnt lgkmcnt(0)
	v_bcnt_u32_b32 v0, v0, v44
	ds_store_b32 v46, v0
.LBB167_8:                              ;   in Loop: Header=BB167_4 Depth=2
	s_or_b32 exec_lo, exec_lo, s14
	v_lshrrev_b32_e32 v0, s30, v30
	v_lshrrev_b32_e32 v1, s27, v31
	; wave barrier
	s_delay_alu instid0(VALU_DEP_1) | instskip(NEXT) | instid1(VALU_DEP_1)
	v_and_b32_e32 v1, s28, v1
	v_dual_cndmask_b32 v1, 0, v1 :: v_dual_and_b32 v0, s31, v0
	s_delay_alu instid0(VALU_DEP_1) | instskip(NEXT) | instid1(VALU_DEP_1)
	v_lshlrev_b32_e32 v0, s29, v0
	v_cndmask_b32_e64 v0, 0, v0, s13
	s_delay_alu instid0(VALU_DEP_1) | instskip(NEXT) | instid1(VALU_DEP_1)
	v_or_b32_e32 v0, v1, v0
	v_and_b32_e32 v2, 1, v0
	v_lshlrev_b32_e32 v3, 30, v0
	v_lshlrev_b32_e32 v4, 29, v0
	;; [unrolled: 1-line block ×4, first 2 shown]
	v_add_co_u32 v2, s14, v2, -1
	s_delay_alu instid0(VALU_DEP_1)
	v_cndmask_b32_e64 v6, 0, 1, s14
	v_not_b32_e32 v49, v3
	v_cmp_gt_i32_e64 s15, 0, v3
	v_not_b32_e32 v3, v4
	v_lshlrev_b32_e32 v47, 26, v0
	v_cmp_ne_u32_e64 s14, 0, v6
	v_ashrrev_i32_e32 v6, 31, v49
	v_lshlrev_b32_e32 v48, 25, v0
	v_ashrrev_i32_e32 v3, 31, v3
	v_mul_lo_u32 v1, v0, 6
	v_xor_b32_e32 v2, s14, v2
	v_cmp_gt_i32_e64 s14, 0, v4
	v_not_b32_e32 v4, v5
	v_xor_b32_e32 v6, s15, v6
	v_cmp_gt_i32_e64 s15, 0, v5
	v_and_b32_e32 v2, exec_lo, v2
	v_not_b32_e32 v5, v7
	v_ashrrev_i32_e32 v4, 31, v4
	v_xor_b32_e32 v3, s14, v3
	v_cmp_gt_i32_e64 s14, 0, v7
	v_and_b32_e32 v2, v2, v6
	v_not_b32_e32 v6, v47
	v_ashrrev_i32_e32 v5, 31, v5
	v_xor_b32_e32 v4, s15, v4
	v_lshlrev_b32_e32 v0, 24, v0
	v_and_b32_e32 v2, v2, v3
	v_cmp_gt_i32_e64 s15, 0, v47
	v_not_b32_e32 v3, v48
	v_ashrrev_i32_e32 v6, 31, v6
	v_xor_b32_e32 v5, s14, v5
	v_and_b32_e32 v2, v2, v4
	v_cmp_gt_i32_e64 s14, 0, v48
	v_not_b32_e32 v4, v0
	v_ashrrev_i32_e32 v3, 31, v3
	v_xor_b32_e32 v6, s15, v6
	v_and_b32_e32 v2, v2, v5
	v_cmp_gt_i32_e64 s15, 0, v0
	v_ashrrev_i32_e32 v0, 31, v4
	v_xor_b32_e32 v3, s14, v3
	v_add_lshl_u32 v1, v1, v17, 2
	v_and_b32_e32 v2, v2, v6
	s_delay_alu instid0(VALU_DEP_4) | instskip(SKIP_3) | instid1(VALU_DEP_2)
	v_xor_b32_e32 v0, s15, v0
	ds_load_b32 v47, v1 offset:24
	v_and_b32_e32 v2, v2, v3
	v_add_nc_u32_e32 v49, 24, v1
	; wave barrier
	v_and_b32_e32 v0, v2, v0
	s_delay_alu instid0(VALU_DEP_1) | instskip(SKIP_1) | instid1(VALU_DEP_2)
	v_mbcnt_lo_u32_b32 v48, v0, 0
	v_cmp_ne_u32_e64 s15, 0, v0
	v_cmp_eq_u32_e64 s14, 0, v48
	s_delay_alu instid0(VALU_DEP_1) | instskip(NEXT) | instid1(SALU_CYCLE_1)
	s_and_b32 s15, s14, s15
	s_and_saveexec_b32 s14, s15
	s_cbranch_execz .LBB167_10
; %bb.9:                                ;   in Loop: Header=BB167_4 Depth=2
	s_waitcnt lgkmcnt(0)
	v_bcnt_u32_b32 v0, v0, v47
	ds_store_b32 v49, v0
.LBB167_10:                             ;   in Loop: Header=BB167_4 Depth=2
	s_or_b32 exec_lo, exec_lo, s14
	v_lshrrev_b32_e32 v0, s30, v28
	v_lshrrev_b32_e32 v1, s27, v29
	; wave barrier
	s_delay_alu instid0(VALU_DEP_1) | instskip(NEXT) | instid1(VALU_DEP_1)
	v_and_b32_e32 v1, s28, v1
	v_dual_cndmask_b32 v1, 0, v1 :: v_dual_and_b32 v0, s31, v0
	s_delay_alu instid0(VALU_DEP_1) | instskip(NEXT) | instid1(VALU_DEP_1)
	v_lshlrev_b32_e32 v0, s29, v0
	v_cndmask_b32_e64 v0, 0, v0, s13
	s_delay_alu instid0(VALU_DEP_1) | instskip(NEXT) | instid1(VALU_DEP_1)
	v_or_b32_e32 v0, v1, v0
	v_and_b32_e32 v2, 1, v0
	v_lshlrev_b32_e32 v3, 30, v0
	v_lshlrev_b32_e32 v4, 29, v0
	;; [unrolled: 1-line block ×4, first 2 shown]
	v_add_co_u32 v2, s14, v2, -1
	s_delay_alu instid0(VALU_DEP_1)
	v_cndmask_b32_e64 v6, 0, 1, s14
	v_not_b32_e32 v52, v3
	v_cmp_gt_i32_e64 s15, 0, v3
	v_not_b32_e32 v3, v4
	v_lshlrev_b32_e32 v50, 26, v0
	v_cmp_ne_u32_e64 s14, 0, v6
	v_ashrrev_i32_e32 v6, 31, v52
	v_lshlrev_b32_e32 v51, 25, v0
	v_ashrrev_i32_e32 v3, 31, v3
	v_mul_lo_u32 v1, v0, 6
	v_xor_b32_e32 v2, s14, v2
	v_cmp_gt_i32_e64 s14, 0, v4
	v_not_b32_e32 v4, v5
	v_xor_b32_e32 v6, s15, v6
	v_cmp_gt_i32_e64 s15, 0, v5
	v_and_b32_e32 v2, exec_lo, v2
	v_not_b32_e32 v5, v7
	v_ashrrev_i32_e32 v4, 31, v4
	v_xor_b32_e32 v3, s14, v3
	v_cmp_gt_i32_e64 s14, 0, v7
	v_and_b32_e32 v2, v2, v6
	v_not_b32_e32 v6, v50
	v_ashrrev_i32_e32 v5, 31, v5
	v_xor_b32_e32 v4, s15, v4
	v_lshlrev_b32_e32 v0, 24, v0
	v_and_b32_e32 v2, v2, v3
	v_cmp_gt_i32_e64 s15, 0, v50
	v_not_b32_e32 v3, v51
	v_ashrrev_i32_e32 v6, 31, v6
	v_xor_b32_e32 v5, s14, v5
	v_and_b32_e32 v2, v2, v4
	v_cmp_gt_i32_e64 s14, 0, v51
	v_not_b32_e32 v4, v0
	v_ashrrev_i32_e32 v3, 31, v3
	v_xor_b32_e32 v6, s15, v6
	v_and_b32_e32 v2, v2, v5
	v_cmp_gt_i32_e64 s15, 0, v0
	v_ashrrev_i32_e32 v0, 31, v4
	v_xor_b32_e32 v3, s14, v3
	v_add_lshl_u32 v1, v1, v17, 2
	v_and_b32_e32 v2, v2, v6
	s_delay_alu instid0(VALU_DEP_4) | instskip(SKIP_3) | instid1(VALU_DEP_2)
	v_xor_b32_e32 v0, s15, v0
	ds_load_b32 v50, v1 offset:24
	v_and_b32_e32 v2, v2, v3
	v_add_nc_u32_e32 v52, 24, v1
	; wave barrier
	v_and_b32_e32 v0, v2, v0
	s_delay_alu instid0(VALU_DEP_1) | instskip(SKIP_1) | instid1(VALU_DEP_2)
	v_mbcnt_lo_u32_b32 v51, v0, 0
	v_cmp_ne_u32_e64 s15, 0, v0
	v_cmp_eq_u32_e64 s14, 0, v51
	s_delay_alu instid0(VALU_DEP_1) | instskip(NEXT) | instid1(SALU_CYCLE_1)
	s_and_b32 s15, s14, s15
	s_and_saveexec_b32 s14, s15
	s_cbranch_execz .LBB167_12
; %bb.11:                               ;   in Loop: Header=BB167_4 Depth=2
	s_waitcnt lgkmcnt(0)
	v_bcnt_u32_b32 v0, v0, v50
	ds_store_b32 v52, v0
.LBB167_12:                             ;   in Loop: Header=BB167_4 Depth=2
	s_or_b32 exec_lo, exec_lo, s14
	v_lshrrev_b32_e32 v0, s30, v40
	v_lshrrev_b32_e32 v1, s27, v41
	; wave barrier
	s_delay_alu instid0(VALU_DEP_1) | instskip(NEXT) | instid1(VALU_DEP_1)
	v_and_b32_e32 v1, s28, v1
	v_dual_cndmask_b32 v1, 0, v1 :: v_dual_and_b32 v0, s31, v0
	s_delay_alu instid0(VALU_DEP_1) | instskip(NEXT) | instid1(VALU_DEP_1)
	v_lshlrev_b32_e32 v0, s29, v0
	v_cndmask_b32_e64 v0, 0, v0, s13
	s_delay_alu instid0(VALU_DEP_1) | instskip(NEXT) | instid1(VALU_DEP_1)
	v_or_b32_e32 v0, v1, v0
	v_and_b32_e32 v2, 1, v0
	v_lshlrev_b32_e32 v3, 30, v0
	v_lshlrev_b32_e32 v4, 29, v0
	;; [unrolled: 1-line block ×4, first 2 shown]
	v_add_co_u32 v2, s14, v2, -1
	s_delay_alu instid0(VALU_DEP_1)
	v_cndmask_b32_e64 v6, 0, 1, s14
	v_not_b32_e32 v55, v3
	v_cmp_gt_i32_e64 s15, 0, v3
	v_not_b32_e32 v3, v4
	v_lshlrev_b32_e32 v53, 26, v0
	v_cmp_ne_u32_e64 s14, 0, v6
	v_ashrrev_i32_e32 v6, 31, v55
	v_lshlrev_b32_e32 v54, 25, v0
	v_ashrrev_i32_e32 v3, 31, v3
	v_mul_lo_u32 v1, v0, 6
	v_xor_b32_e32 v2, s14, v2
	v_cmp_gt_i32_e64 s14, 0, v4
	v_not_b32_e32 v4, v5
	v_xor_b32_e32 v6, s15, v6
	v_cmp_gt_i32_e64 s15, 0, v5
	v_and_b32_e32 v2, exec_lo, v2
	v_not_b32_e32 v5, v7
	v_ashrrev_i32_e32 v4, 31, v4
	v_xor_b32_e32 v3, s14, v3
	v_cmp_gt_i32_e64 s14, 0, v7
	v_and_b32_e32 v2, v2, v6
	v_not_b32_e32 v6, v53
	v_ashrrev_i32_e32 v5, 31, v5
	v_xor_b32_e32 v4, s15, v4
	v_lshlrev_b32_e32 v0, 24, v0
	v_and_b32_e32 v2, v2, v3
	v_cmp_gt_i32_e64 s15, 0, v53
	v_not_b32_e32 v3, v54
	v_ashrrev_i32_e32 v6, 31, v6
	v_xor_b32_e32 v5, s14, v5
	v_and_b32_e32 v2, v2, v4
	v_cmp_gt_i32_e64 s14, 0, v54
	v_not_b32_e32 v4, v0
	v_ashrrev_i32_e32 v3, 31, v3
	v_xor_b32_e32 v6, s15, v6
	v_and_b32_e32 v2, v2, v5
	v_cmp_gt_i32_e64 s15, 0, v0
	v_ashrrev_i32_e32 v0, 31, v4
	v_xor_b32_e32 v3, s14, v3
	v_add_lshl_u32 v1, v1, v17, 2
	v_and_b32_e32 v2, v2, v6
	s_delay_alu instid0(VALU_DEP_4) | instskip(SKIP_3) | instid1(VALU_DEP_2)
	v_xor_b32_e32 v0, s15, v0
	ds_load_b32 v53, v1 offset:24
	v_and_b32_e32 v2, v2, v3
	v_add_nc_u32_e32 v55, 24, v1
	; wave barrier
	v_and_b32_e32 v0, v2, v0
	s_delay_alu instid0(VALU_DEP_1) | instskip(SKIP_1) | instid1(VALU_DEP_2)
	v_mbcnt_lo_u32_b32 v54, v0, 0
	v_cmp_ne_u32_e64 s15, 0, v0
	v_cmp_eq_u32_e64 s14, 0, v54
	s_delay_alu instid0(VALU_DEP_1) | instskip(NEXT) | instid1(SALU_CYCLE_1)
	s_and_b32 s15, s14, s15
	s_and_saveexec_b32 s14, s15
	s_cbranch_execz .LBB167_14
; %bb.13:                               ;   in Loop: Header=BB167_4 Depth=2
	s_waitcnt lgkmcnt(0)
	v_bcnt_u32_b32 v0, v0, v53
	ds_store_b32 v55, v0
.LBB167_14:                             ;   in Loop: Header=BB167_4 Depth=2
	s_or_b32 exec_lo, exec_lo, s14
	v_lshrrev_b32_e32 v0, s30, v38
	v_lshrrev_b32_e32 v1, s27, v39
	; wave barrier
	s_delay_alu instid0(VALU_DEP_1) | instskip(NEXT) | instid1(VALU_DEP_1)
	v_and_b32_e32 v1, s28, v1
	v_dual_cndmask_b32 v1, 0, v1 :: v_dual_and_b32 v0, s31, v0
	s_delay_alu instid0(VALU_DEP_1) | instskip(NEXT) | instid1(VALU_DEP_1)
	v_lshlrev_b32_e32 v0, s29, v0
	v_cndmask_b32_e64 v0, 0, v0, s13
	s_delay_alu instid0(VALU_DEP_1) | instskip(NEXT) | instid1(VALU_DEP_1)
	v_or_b32_e32 v0, v1, v0
	v_and_b32_e32 v2, 1, v0
	v_lshlrev_b32_e32 v3, 30, v0
	v_lshlrev_b32_e32 v4, 29, v0
	;; [unrolled: 1-line block ×4, first 2 shown]
	v_add_co_u32 v2, s14, v2, -1
	s_delay_alu instid0(VALU_DEP_1)
	v_cndmask_b32_e64 v6, 0, 1, s14
	v_not_b32_e32 v58, v3
	v_cmp_gt_i32_e64 s15, 0, v3
	v_not_b32_e32 v3, v4
	v_lshlrev_b32_e32 v56, 26, v0
	v_cmp_ne_u32_e64 s14, 0, v6
	v_ashrrev_i32_e32 v6, 31, v58
	v_lshlrev_b32_e32 v57, 25, v0
	v_ashrrev_i32_e32 v3, 31, v3
	v_mul_lo_u32 v1, v0, 6
	v_xor_b32_e32 v2, s14, v2
	v_cmp_gt_i32_e64 s14, 0, v4
	v_not_b32_e32 v4, v5
	v_xor_b32_e32 v6, s15, v6
	v_cmp_gt_i32_e64 s15, 0, v5
	v_and_b32_e32 v2, exec_lo, v2
	v_not_b32_e32 v5, v7
	v_ashrrev_i32_e32 v4, 31, v4
	v_xor_b32_e32 v3, s14, v3
	v_cmp_gt_i32_e64 s14, 0, v7
	v_and_b32_e32 v2, v2, v6
	v_not_b32_e32 v6, v56
	v_ashrrev_i32_e32 v5, 31, v5
	v_xor_b32_e32 v4, s15, v4
	v_lshlrev_b32_e32 v0, 24, v0
	v_and_b32_e32 v2, v2, v3
	v_cmp_gt_i32_e64 s15, 0, v56
	v_not_b32_e32 v3, v57
	v_ashrrev_i32_e32 v6, 31, v6
	v_xor_b32_e32 v5, s14, v5
	v_and_b32_e32 v2, v2, v4
	v_cmp_gt_i32_e64 s14, 0, v57
	v_not_b32_e32 v4, v0
	v_ashrrev_i32_e32 v3, 31, v3
	v_xor_b32_e32 v6, s15, v6
	v_and_b32_e32 v2, v2, v5
	v_cmp_gt_i32_e64 s15, 0, v0
	v_ashrrev_i32_e32 v0, 31, v4
	v_xor_b32_e32 v3, s14, v3
	v_add_lshl_u32 v1, v1, v17, 2
	v_and_b32_e32 v2, v2, v6
	s_delay_alu instid0(VALU_DEP_4) | instskip(SKIP_3) | instid1(VALU_DEP_2)
	v_xor_b32_e32 v0, s15, v0
	ds_load_b32 v56, v1 offset:24
	v_and_b32_e32 v2, v2, v3
	v_add_nc_u32_e32 v58, 24, v1
	; wave barrier
	v_and_b32_e32 v0, v2, v0
	s_delay_alu instid0(VALU_DEP_1) | instskip(SKIP_1) | instid1(VALU_DEP_2)
	v_mbcnt_lo_u32_b32 v57, v0, 0
	v_cmp_ne_u32_e64 s15, 0, v0
	v_cmp_eq_u32_e64 s14, 0, v57
	s_delay_alu instid0(VALU_DEP_1) | instskip(NEXT) | instid1(SALU_CYCLE_1)
	s_and_b32 s15, s14, s15
	s_and_saveexec_b32 s14, s15
	s_cbranch_execz .LBB167_16
; %bb.15:                               ;   in Loop: Header=BB167_4 Depth=2
	s_waitcnt lgkmcnt(0)
	v_bcnt_u32_b32 v0, v0, v56
	ds_store_b32 v58, v0
.LBB167_16:                             ;   in Loop: Header=BB167_4 Depth=2
	s_or_b32 exec_lo, exec_lo, s14
	v_lshrrev_b32_e32 v0, s30, v36
	v_lshrrev_b32_e32 v1, s27, v37
	; wave barrier
	s_delay_alu instid0(VALU_DEP_1) | instskip(NEXT) | instid1(VALU_DEP_1)
	v_and_b32_e32 v1, s28, v1
	v_dual_cndmask_b32 v1, 0, v1 :: v_dual_and_b32 v0, s31, v0
	s_delay_alu instid0(VALU_DEP_1) | instskip(NEXT) | instid1(VALU_DEP_1)
	v_lshlrev_b32_e32 v0, s29, v0
	v_cndmask_b32_e64 v0, 0, v0, s13
	s_delay_alu instid0(VALU_DEP_1) | instskip(NEXT) | instid1(VALU_DEP_1)
	v_or_b32_e32 v0, v1, v0
	v_and_b32_e32 v2, 1, v0
	v_lshlrev_b32_e32 v3, 30, v0
	v_lshlrev_b32_e32 v4, 29, v0
	;; [unrolled: 1-line block ×4, first 2 shown]
	v_add_co_u32 v2, s14, v2, -1
	s_delay_alu instid0(VALU_DEP_1)
	v_cndmask_b32_e64 v6, 0, 1, s14
	v_not_b32_e32 v61, v3
	v_cmp_gt_i32_e64 s15, 0, v3
	v_not_b32_e32 v3, v4
	v_lshlrev_b32_e32 v59, 26, v0
	v_cmp_ne_u32_e64 s14, 0, v6
	v_ashrrev_i32_e32 v6, 31, v61
	v_lshlrev_b32_e32 v60, 25, v0
	v_ashrrev_i32_e32 v3, 31, v3
	v_mul_lo_u32 v1, v0, 6
	v_xor_b32_e32 v2, s14, v2
	v_cmp_gt_i32_e64 s14, 0, v4
	v_not_b32_e32 v4, v5
	v_xor_b32_e32 v6, s15, v6
	v_cmp_gt_i32_e64 s15, 0, v5
	v_and_b32_e32 v2, exec_lo, v2
	v_not_b32_e32 v5, v7
	v_ashrrev_i32_e32 v4, 31, v4
	v_xor_b32_e32 v3, s14, v3
	v_cmp_gt_i32_e64 s14, 0, v7
	v_and_b32_e32 v2, v2, v6
	v_not_b32_e32 v6, v59
	v_ashrrev_i32_e32 v5, 31, v5
	v_xor_b32_e32 v4, s15, v4
	v_lshlrev_b32_e32 v0, 24, v0
	v_and_b32_e32 v2, v2, v3
	v_cmp_gt_i32_e64 s15, 0, v59
	v_not_b32_e32 v3, v60
	v_ashrrev_i32_e32 v6, 31, v6
	v_xor_b32_e32 v5, s14, v5
	v_and_b32_e32 v2, v2, v4
	v_cmp_gt_i32_e64 s14, 0, v60
	v_not_b32_e32 v4, v0
	v_ashrrev_i32_e32 v3, 31, v3
	v_xor_b32_e32 v6, s15, v6
	v_and_b32_e32 v2, v2, v5
	v_cmp_gt_i32_e64 s15, 0, v0
	v_ashrrev_i32_e32 v0, 31, v4
	v_xor_b32_e32 v3, s14, v3
	v_add_lshl_u32 v1, v1, v17, 2
	v_and_b32_e32 v2, v2, v6
	s_delay_alu instid0(VALU_DEP_4) | instskip(SKIP_3) | instid1(VALU_DEP_2)
	v_xor_b32_e32 v0, s15, v0
	ds_load_b32 v59, v1 offset:24
	v_and_b32_e32 v2, v2, v3
	v_add_nc_u32_e32 v61, 24, v1
	; wave barrier
	v_and_b32_e32 v0, v2, v0
	s_delay_alu instid0(VALU_DEP_1) | instskip(SKIP_1) | instid1(VALU_DEP_2)
	v_mbcnt_lo_u32_b32 v60, v0, 0
	v_cmp_ne_u32_e64 s15, 0, v0
	v_cmp_eq_u32_e64 s14, 0, v60
	s_delay_alu instid0(VALU_DEP_1) | instskip(NEXT) | instid1(SALU_CYCLE_1)
	s_and_b32 s15, s14, s15
	s_and_saveexec_b32 s14, s15
	s_cbranch_execz .LBB167_18
; %bb.17:                               ;   in Loop: Header=BB167_4 Depth=2
	s_waitcnt lgkmcnt(0)
	v_bcnt_u32_b32 v0, v0, v59
	ds_store_b32 v61, v0
.LBB167_18:                             ;   in Loop: Header=BB167_4 Depth=2
	s_or_b32 exec_lo, exec_lo, s14
	v_lshrrev_b32_e32 v0, s30, v34
	v_lshrrev_b32_e32 v1, s27, v35
	; wave barrier
	s_delay_alu instid0(VALU_DEP_1) | instskip(NEXT) | instid1(VALU_DEP_1)
	v_and_b32_e32 v1, s28, v1
	v_dual_cndmask_b32 v1, 0, v1 :: v_dual_and_b32 v0, s31, v0
	s_delay_alu instid0(VALU_DEP_1) | instskip(NEXT) | instid1(VALU_DEP_1)
	v_lshlrev_b32_e32 v0, s29, v0
	v_cndmask_b32_e64 v0, 0, v0, s13
	s_delay_alu instid0(VALU_DEP_1) | instskip(NEXT) | instid1(VALU_DEP_1)
	v_or_b32_e32 v0, v1, v0
	v_and_b32_e32 v2, 1, v0
	v_lshlrev_b32_e32 v3, 30, v0
	v_lshlrev_b32_e32 v4, 29, v0
	;; [unrolled: 1-line block ×4, first 2 shown]
	v_add_co_u32 v2, s13, v2, -1
	s_delay_alu instid0(VALU_DEP_1)
	v_cndmask_b32_e64 v6, 0, 1, s13
	v_not_b32_e32 v64, v3
	v_cmp_gt_i32_e64 s13, 0, v3
	v_not_b32_e32 v3, v4
	v_lshlrev_b32_e32 v62, 26, v0
	v_cmp_ne_u32_e32 vcc_lo, 0, v6
	v_ashrrev_i32_e32 v6, 31, v64
	v_lshlrev_b32_e32 v63, 25, v0
	v_ashrrev_i32_e32 v3, 31, v3
	v_mul_lo_u32 v1, v0, 6
	v_xor_b32_e32 v2, vcc_lo, v2
	v_cmp_gt_i32_e32 vcc_lo, 0, v4
	v_not_b32_e32 v4, v5
	v_xor_b32_e32 v6, s13, v6
	v_cmp_gt_i32_e64 s13, 0, v5
	v_and_b32_e32 v2, exec_lo, v2
	v_not_b32_e32 v5, v7
	v_ashrrev_i32_e32 v4, 31, v4
	v_xor_b32_e32 v3, vcc_lo, v3
	v_cmp_gt_i32_e32 vcc_lo, 0, v7
	v_and_b32_e32 v2, v2, v6
	v_not_b32_e32 v6, v62
	v_ashrrev_i32_e32 v5, 31, v5
	v_xor_b32_e32 v4, s13, v4
	v_lshlrev_b32_e32 v0, 24, v0
	v_and_b32_e32 v2, v2, v3
	v_cmp_gt_i32_e64 s13, 0, v62
	v_not_b32_e32 v3, v63
	v_ashrrev_i32_e32 v6, 31, v6
	v_xor_b32_e32 v5, vcc_lo, v5
	v_and_b32_e32 v2, v2, v4
	v_cmp_gt_i32_e32 vcc_lo, 0, v63
	v_not_b32_e32 v4, v0
	v_ashrrev_i32_e32 v3, 31, v3
	v_xor_b32_e32 v6, s13, v6
	v_and_b32_e32 v2, v2, v5
	v_cmp_gt_i32_e64 s13, 0, v0
	v_ashrrev_i32_e32 v0, 31, v4
	v_xor_b32_e32 v3, vcc_lo, v3
	v_add_lshl_u32 v1, v1, v17, 2
	v_and_b32_e32 v2, v2, v6
	s_delay_alu instid0(VALU_DEP_4) | instskip(SKIP_3) | instid1(VALU_DEP_2)
	v_xor_b32_e32 v0, s13, v0
	ds_load_b32 v62, v1 offset:24
	v_and_b32_e32 v2, v2, v3
	v_add_nc_u32_e32 v64, 24, v1
	; wave barrier
	v_and_b32_e32 v0, v2, v0
	s_delay_alu instid0(VALU_DEP_1) | instskip(SKIP_1) | instid1(VALU_DEP_2)
	v_mbcnt_lo_u32_b32 v63, v0, 0
	v_cmp_ne_u32_e64 s13, 0, v0
	v_cmp_eq_u32_e32 vcc_lo, 0, v63
	s_delay_alu instid0(VALU_DEP_2) | instskip(NEXT) | instid1(SALU_CYCLE_1)
	s_and_b32 s14, vcc_lo, s13
	s_and_saveexec_b32 s13, s14
	s_cbranch_execz .LBB167_20
; %bb.19:                               ;   in Loop: Header=BB167_4 Depth=2
	s_waitcnt lgkmcnt(0)
	v_bcnt_u32_b32 v0, v0, v62
	ds_store_b32 v64, v0
.LBB167_20:                             ;   in Loop: Header=BB167_4 Depth=2
	s_or_b32 exec_lo, exec_lo, s13
	; wave barrier
	s_waitcnt lgkmcnt(0)
	s_barrier
	buffer_gl0_inv
	ds_load_2addr_b64 v[4:7], v66 offset0:3 offset1:4
	ds_load_2addr_b64 v[0:3], v67 offset0:2 offset1:3
	s_waitcnt lgkmcnt(1)
	v_add_nc_u32_e32 v65, v5, v4
	s_delay_alu instid0(VALU_DEP_1) | instskip(SKIP_1) | instid1(VALU_DEP_1)
	v_add3_u32 v65, v65, v6, v7
	s_waitcnt lgkmcnt(0)
	v_add3_u32 v65, v65, v0, v1
	s_delay_alu instid0(VALU_DEP_1) | instskip(NEXT) | instid1(VALU_DEP_1)
	v_add3_u32 v3, v65, v2, v3
	v_mov_b32_dpp v65, v3 row_shr:1 row_mask:0xf bank_mask:0xf
	s_delay_alu instid0(VALU_DEP_1) | instskip(NEXT) | instid1(VALU_DEP_1)
	v_cndmask_b32_e64 v65, v65, 0, s1
	v_add_nc_u32_e32 v3, v65, v3
	s_delay_alu instid0(VALU_DEP_1) | instskip(NEXT) | instid1(VALU_DEP_1)
	v_mov_b32_dpp v65, v3 row_shr:2 row_mask:0xf bank_mask:0xf
	v_cndmask_b32_e64 v65, 0, v65, s2
	s_delay_alu instid0(VALU_DEP_1) | instskip(NEXT) | instid1(VALU_DEP_1)
	v_add_nc_u32_e32 v3, v3, v65
	v_mov_b32_dpp v65, v3 row_shr:4 row_mask:0xf bank_mask:0xf
	s_delay_alu instid0(VALU_DEP_1) | instskip(NEXT) | instid1(VALU_DEP_1)
	v_cndmask_b32_e64 v65, 0, v65, s3
	v_add_nc_u32_e32 v3, v3, v65
	s_delay_alu instid0(VALU_DEP_1) | instskip(NEXT) | instid1(VALU_DEP_1)
	v_mov_b32_dpp v65, v3 row_shr:8 row_mask:0xf bank_mask:0xf
	v_cndmask_b32_e64 v65, 0, v65, s4
	s_delay_alu instid0(VALU_DEP_1) | instskip(SKIP_3) | instid1(VALU_DEP_1)
	v_add_nc_u32_e32 v3, v3, v65
	ds_swizzle_b32 v65, v3 offset:swizzle(BROADCAST,32,15)
	s_waitcnt lgkmcnt(0)
	v_cndmask_b32_e64 v65, v65, 0, s5
	v_add_nc_u32_e32 v3, v3, v65
	s_and_saveexec_b32 s13, s12
	s_cbranch_execz .LBB167_22
; %bb.21:                               ;   in Loop: Header=BB167_4 Depth=2
	ds_store_b32 v69, v3
.LBB167_22:                             ;   in Loop: Header=BB167_4 Depth=2
	s_or_b32 exec_lo, exec_lo, s13
	s_waitcnt lgkmcnt(0)
	s_barrier
	buffer_gl0_inv
	s_and_saveexec_b32 s13, s6
	s_cbranch_execz .LBB167_24
; %bb.23:                               ;   in Loop: Header=BB167_4 Depth=2
	ds_load_b32 v65, v81
	s_waitcnt lgkmcnt(0)
	v_mov_b32_dpp v82, v65 row_shr:1 row_mask:0xf bank_mask:0xf
	s_delay_alu instid0(VALU_DEP_1) | instskip(NEXT) | instid1(VALU_DEP_1)
	v_cndmask_b32_e64 v82, v82, 0, s9
	v_add_nc_u32_e32 v65, v82, v65
	s_delay_alu instid0(VALU_DEP_1) | instskip(NEXT) | instid1(VALU_DEP_1)
	v_mov_b32_dpp v82, v65 row_shr:2 row_mask:0xf bank_mask:0xf
	v_cndmask_b32_e64 v82, 0, v82, s10
	s_delay_alu instid0(VALU_DEP_1) | instskip(NEXT) | instid1(VALU_DEP_1)
	v_add_nc_u32_e32 v65, v65, v82
	v_mov_b32_dpp v82, v65 row_shr:4 row_mask:0xf bank_mask:0xf
	s_delay_alu instid0(VALU_DEP_1) | instskip(NEXT) | instid1(VALU_DEP_1)
	v_cndmask_b32_e64 v82, 0, v82, s11
	v_add_nc_u32_e32 v65, v65, v82
	ds_store_b32 v81, v65
.LBB167_24:                             ;   in Loop: Header=BB167_4 Depth=2
	s_or_b32 exec_lo, exec_lo, s13
	v_mov_b32_e32 v65, 0
	s_waitcnt lgkmcnt(0)
	s_barrier
	buffer_gl0_inv
	s_and_saveexec_b32 s13, s7
	s_cbranch_execz .LBB167_26
; %bb.25:                               ;   in Loop: Header=BB167_4 Depth=2
	ds_load_b32 v65, v71
.LBB167_26:                             ;   in Loop: Header=BB167_4 Depth=2
	s_or_b32 exec_lo, exec_lo, s13
	s_waitcnt lgkmcnt(0)
	v_add_nc_u32_e32 v3, v65, v3
	s_cmp_gt_u32 s27, 55
	ds_bpermute_b32 v3, v68, v3
	s_waitcnt lgkmcnt(0)
	v_cndmask_b32_e64 v3, v3, v65, s0
	s_delay_alu instid0(VALU_DEP_1) | instskip(NEXT) | instid1(VALU_DEP_1)
	v_cndmask_b32_e64 v3, v3, 0, s8
	v_add_nc_u32_e32 v4, v3, v4
	s_delay_alu instid0(VALU_DEP_1) | instskip(NEXT) | instid1(VALU_DEP_1)
	v_add_nc_u32_e32 v5, v4, v5
	v_add_nc_u32_e32 v6, v5, v6
	s_delay_alu instid0(VALU_DEP_1) | instskip(NEXT) | instid1(VALU_DEP_1)
	v_add_nc_u32_e32 v82, v6, v7
	;; [unrolled: 3-line block ×3, first 2 shown]
	v_add_nc_u32_e32 v1, v0, v2
	ds_store_2addr_b64 v66, v[3:4], v[5:6] offset0:3 offset1:4
	ds_store_2addr_b64 v67, v[82:83], v[0:1] offset0:2 offset1:3
	s_waitcnt lgkmcnt(0)
	s_barrier
	buffer_gl0_inv
	ds_load_b32 v0, v43
	ds_load_b32 v1, v46
	ds_load_b32 v2, v49
	ds_load_b32 v3, v52
	ds_load_b32 v4, v55
	ds_load_b32 v5, v58
	ds_load_b32 v6, v61
	ds_load_b32 v7, v64
	s_waitcnt lgkmcnt(0)
	v_add_nc_u32_e32 v0, v0, v42
	v_add3_u32 v1, v45, v44, v1
	v_add3_u32 v2, v48, v47, v2
	;; [unrolled: 1-line block ×7, first 2 shown]
	v_lshrrev_b32_e32 v42, 2, v0
	v_lshrrev_b32_e32 v43, 2, v1
	;; [unrolled: 1-line block ×8, first 2 shown]
	v_and_b32_e32 v42, 0x3ffffff8, v42
	v_and_b32_e32 v43, 0x3ffffff8, v43
	;; [unrolled: 1-line block ×8, first 2 shown]
	v_lshl_add_u32 v82, v0, 3, v42
	v_lshl_add_u32 v83, v1, 3, v43
	;; [unrolled: 1-line block ×8, first 2 shown]
	s_cbranch_scc0 .LBB167_3
; %bb.27:                               ;   in Loop: Header=BB167_2 Depth=1
                                        ; implicit-def: $sgpr27
                                        ; implicit-def: $vgpr2_vgpr3
                                        ; implicit-def: $vgpr4_vgpr5
                                        ; implicit-def: $vgpr6_vgpr7
                                        ; implicit-def: $vgpr58_vgpr59
                                        ; implicit-def: $vgpr60_vgpr61
                                        ; implicit-def: $vgpr62_vgpr63
                                        ; implicit-def: $vgpr64_vgpr65
                                        ; implicit-def: $vgpr0_vgpr1
                                        ; implicit-def: $vgpr56_vgpr57
                                        ; implicit-def: $vgpr42_vgpr43
                                        ; implicit-def: $vgpr44_vgpr45
                                        ; implicit-def: $vgpr48_vgpr49
                                        ; implicit-def: $vgpr46_vgpr47
                                        ; implicit-def: $vgpr50_vgpr51
                                        ; implicit-def: $vgpr52_vgpr53
                                        ; implicit-def: $vgpr54_vgpr55
                                        ; implicit-def: $sgpr26
                                        ; implicit-def: $sgpr25
	s_branch .LBB167_1
.LBB167_28:
	s_waitcnt lgkmcnt(3)
	v_add_nc_u32_e32 v14, v20, v14
	v_lshlrev_b32_e32 v20, 3, v16
	s_add_u32 s0, s18, s20
	v_add_nc_u32_e32 v12, v18, v12
	s_addc_u32 s1, s19, s21
	v_add_nc_u32_e32 v13, v19, v13
	v_add_co_u32 v18, s2, s0, v20
	s_delay_alu instid0(VALU_DEP_1) | instskip(SKIP_1) | instid1(VALU_DEP_3)
	v_add_co_ci_u32_e64 v19, null, s1, 0, s2
	v_add_nc_u32_e32 v15, v21, v15
	v_add_co_u32 v16, vcc_lo, 0x1000, v18
	s_waitcnt lgkmcnt(2)
	v_add_nc_u32_e32 v8, v22, v8
	v_add_nc_u32_e32 v9, v23, v9
	v_add_co_ci_u32_e32 v17, vcc_lo, 0, v19, vcc_lo
	v_add_nc_u32_e32 v10, v24, v10
	v_add_nc_u32_e32 v11, v25, v11
	v_add_co_u32 v18, vcc_lo, 0x2000, v18
	s_waitcnt lgkmcnt(1)
	v_add_nc_u32_e32 v4, v28, v4
	v_add_nc_u32_e32 v5, v29, v5
	;; [unrolled: 1-line block ×4, first 2 shown]
	s_waitcnt lgkmcnt(0)
	v_add_nc_u32_e32 v0, v32, v0
	v_add_nc_u32_e32 v1, v33, v1
	;; [unrolled: 1-line block ×4, first 2 shown]
	v_add_co_ci_u32_e32 v19, vcc_lo, 0, v19, vcc_lo
	s_clause 0x7
	global_store_b64 v20, v[12:13], s[0:1]
	global_store_b64 v20, v[14:15], s[0:1] offset:1536
	global_store_b64 v20, v[8:9], s[0:1] offset:3072
	global_store_b64 v[16:17], v[10:11], off offset:512
	global_store_b64 v[16:17], v[4:5], off offset:2048
	;; [unrolled: 1-line block ×5, first 2 shown]
	s_nop 0
	s_sendmsg sendmsg(MSG_DEALLOC_VGPRS)
	s_endpgm
	.section	.rodata,"a",@progbits
	.p2align	6, 0x0
	.amdhsa_kernel _Z17sort_pairs_kernelI22helper_blocked_blockedN15benchmark_utils11custom_typeIiiEELj192ELj8ELj10EEvPKT0_PS4_
		.amdhsa_group_segment_fixed_size 12672
		.amdhsa_private_segment_fixed_size 0
		.amdhsa_kernarg_size 272
		.amdhsa_user_sgpr_count 15
		.amdhsa_user_sgpr_dispatch_ptr 0
		.amdhsa_user_sgpr_queue_ptr 0
		.amdhsa_user_sgpr_kernarg_segment_ptr 1
		.amdhsa_user_sgpr_dispatch_id 0
		.amdhsa_user_sgpr_private_segment_size 0
		.amdhsa_wavefront_size32 1
		.amdhsa_uses_dynamic_stack 0
		.amdhsa_enable_private_segment 0
		.amdhsa_system_sgpr_workgroup_id_x 1
		.amdhsa_system_sgpr_workgroup_id_y 0
		.amdhsa_system_sgpr_workgroup_id_z 0
		.amdhsa_system_sgpr_workgroup_info 0
		.amdhsa_system_vgpr_workitem_id 2
		.amdhsa_next_free_vgpr 90
		.amdhsa_next_free_sgpr 32
		.amdhsa_reserve_vcc 1
		.amdhsa_float_round_mode_32 0
		.amdhsa_float_round_mode_16_64 0
		.amdhsa_float_denorm_mode_32 3
		.amdhsa_float_denorm_mode_16_64 3
		.amdhsa_dx10_clamp 1
		.amdhsa_ieee_mode 1
		.amdhsa_fp16_overflow 0
		.amdhsa_workgroup_processor_mode 1
		.amdhsa_memory_ordered 1
		.amdhsa_forward_progress 0
		.amdhsa_shared_vgpr_count 0
		.amdhsa_exception_fp_ieee_invalid_op 0
		.amdhsa_exception_fp_denorm_src 0
		.amdhsa_exception_fp_ieee_div_zero 0
		.amdhsa_exception_fp_ieee_overflow 0
		.amdhsa_exception_fp_ieee_underflow 0
		.amdhsa_exception_fp_ieee_inexact 0
		.amdhsa_exception_int_div_zero 0
	.end_amdhsa_kernel
	.section	.text._Z17sort_pairs_kernelI22helper_blocked_blockedN15benchmark_utils11custom_typeIiiEELj192ELj8ELj10EEvPKT0_PS4_,"axG",@progbits,_Z17sort_pairs_kernelI22helper_blocked_blockedN15benchmark_utils11custom_typeIiiEELj192ELj8ELj10EEvPKT0_PS4_,comdat
.Lfunc_end167:
	.size	_Z17sort_pairs_kernelI22helper_blocked_blockedN15benchmark_utils11custom_typeIiiEELj192ELj8ELj10EEvPKT0_PS4_, .Lfunc_end167-_Z17sort_pairs_kernelI22helper_blocked_blockedN15benchmark_utils11custom_typeIiiEELj192ELj8ELj10EEvPKT0_PS4_
                                        ; -- End function
	.section	.AMDGPU.csdata,"",@progbits
; Kernel info:
; codeLenInByte = 6168
; NumSgprs: 34
; NumVgprs: 90
; ScratchSize: 0
; MemoryBound: 0
; FloatMode: 240
; IeeeMode: 1
; LDSByteSize: 12672 bytes/workgroup (compile time only)
; SGPRBlocks: 4
; VGPRBlocks: 11
; NumSGPRsForWavesPerEU: 34
; NumVGPRsForWavesPerEU: 90
; Occupancy: 15
; WaveLimiterHint : 1
; COMPUTE_PGM_RSRC2:SCRATCH_EN: 0
; COMPUTE_PGM_RSRC2:USER_SGPR: 15
; COMPUTE_PGM_RSRC2:TRAP_HANDLER: 0
; COMPUTE_PGM_RSRC2:TGID_X_EN: 1
; COMPUTE_PGM_RSRC2:TGID_Y_EN: 0
; COMPUTE_PGM_RSRC2:TGID_Z_EN: 0
; COMPUTE_PGM_RSRC2:TIDIG_COMP_CNT: 2
	.section	.text._Z16sort_keys_kernelI22helper_blocked_blockedN15benchmark_utils11custom_typeIiiEELj256ELj1ELj10EEvPKT0_PS4_,"axG",@progbits,_Z16sort_keys_kernelI22helper_blocked_blockedN15benchmark_utils11custom_typeIiiEELj256ELj1ELj10EEvPKT0_PS4_,comdat
	.protected	_Z16sort_keys_kernelI22helper_blocked_blockedN15benchmark_utils11custom_typeIiiEELj256ELj1ELj10EEvPKT0_PS4_ ; -- Begin function _Z16sort_keys_kernelI22helper_blocked_blockedN15benchmark_utils11custom_typeIiiEELj256ELj1ELj10EEvPKT0_PS4_
	.globl	_Z16sort_keys_kernelI22helper_blocked_blockedN15benchmark_utils11custom_typeIiiEELj256ELj1ELj10EEvPKT0_PS4_
	.p2align	8
	.type	_Z16sort_keys_kernelI22helper_blocked_blockedN15benchmark_utils11custom_typeIiiEELj256ELj1ELj10EEvPKT0_PS4_,@function
_Z16sort_keys_kernelI22helper_blocked_blockedN15benchmark_utils11custom_typeIiiEELj256ELj1ELj10EEvPKT0_PS4_: ; @_Z16sort_keys_kernelI22helper_blocked_blockedN15benchmark_utils11custom_typeIiiEELj256ELj1ELj10EEvPKT0_PS4_
; %bb.0:
	s_clause 0x1
	s_load_b128 s[16:19], s[0:1], 0x0
	s_load_b32 s11, s[0:1], 0x1c
	s_mov_b32 s23, 0
	s_lshl_b32 s22, s15, 8
	v_mbcnt_lo_u32_b32 v5, -1, 0
	s_lshl_b64 s[20:21], s[22:23], 3
	v_bfe_u32 v3, v0, 10, 10
	s_mov_b32 s22, s23
	s_mov_b32 s15, 10
	v_and_b32_e32 v6, 16, v5
	v_add_nc_u32_e32 v7, -1, v5
	v_dual_mov_b32 v11, s22 :: v_dual_and_b32 v4, 15, v5
	v_dual_mov_b32 v12, s23 :: v_dual_and_b32 v13, 7, v5
	s_delay_alu instid0(VALU_DEP_4) | instskip(NEXT) | instid1(VALU_DEP_4)
	v_cmp_eq_u32_e64 s4, 0, v6
	v_cmp_gt_i32_e64 s7, 0, v7
	s_delay_alu instid0(VALU_DEP_4)
	v_cmp_lt_u32_e64 s2, 3, v4
	v_cmp_lt_u32_e64 s3, 7, v4
	v_cmp_eq_u32_e64 s8, 0, v13
	s_waitcnt lgkmcnt(0)
	s_add_u32 s0, s16, s20
	s_addc_u32 s1, s17, s21
	s_mov_b32 s16, s23
	s_mov_b32 s17, s23
	v_dual_mov_b32 v9, s16 :: v_dual_and_b32 v8, 0x3ff, v0
	v_mov_b32_e32 v10, s17
	v_bfe_u32 v0, v0, 20, 10
	s_lshr_b32 s12, s11, 16
	s_delay_alu instid0(VALU_DEP_3)
	v_lshlrev_b32_e32 v1, 3, v8
	v_lshlrev_b32_e32 v15, 5, v8
	v_and_b32_e32 v6, 0xe0, v8
	v_mad_u32_u24 v0, v0, s12, v3
	v_lshrrev_b32_e32 v14, 3, v8
	global_load_b64 v[1:2], v1, s[0:1]
	s_and_b32 s11, s11, 0xffff
	v_cmp_eq_u32_e64 s0, 0, v4
	v_cmp_lt_u32_e64 s1, 1, v4
	v_mad_u64_u32 v[3:4], null, v0, s11, v[8:9]
	v_cndmask_b32_e64 v7, v7, v5, s7
	v_cmp_lt_u32_e64 s9, 1, v13
	v_cmp_lt_u32_e64 s10, 3, v13
	v_lshlrev_b32_e32 v23, 2, v8
	v_or_b32_e32 v13, 31, v6
	v_and_b32_e32 v17, 28, v14
	v_or_b32_e32 v0, v5, v6
	v_mad_i32_i24 v19, 0xffffffe4, v8, v15
	v_cmp_eq_u32_e32 vcc_lo, 0, v5
	v_cmp_gt_u32_e64 s5, 8, v8
	v_cmp_lt_u32_e64 s6, 31, v8
	v_cmp_eq_u32_e64 s7, 0, v8
	v_add_nc_u32_e32 v16, 32, v15
	v_lshlrev_b32_e32 v18, 2, v7
	v_cmp_eq_u32_e64 s11, v13, v8
	v_add_nc_u32_e32 v20, -4, v17
	v_lshlrev_b32_e32 v21, 3, v0
	v_lshrrev_b32_e32 v22, 5, v3
	v_add_nc_u32_e32 v23, v19, v23
	s_waitcnt vmcnt(0)
	v_xor_b32_e32 v13, 0x80000000, v1
	v_xor_b32_e32 v14, 0x80000000, v2
	s_branch .LBB168_2
.LBB168_1:                              ;   in Loop: Header=BB168_2 Depth=1
	s_or_b32 exec_lo, exec_lo, s12
	s_waitcnt lgkmcnt(0)
	v_add_nc_u32_e32 v3, v26, v3
	s_add_i32 s15, s15, -1
	s_delay_alu instid0(SALU_CYCLE_1) | instskip(SKIP_3) | instid1(VALU_DEP_1)
	s_cmp_eq_u32 s15, 0
	ds_bpermute_b32 v3, v18, v3
	s_waitcnt lgkmcnt(0)
	v_cndmask_b32_e32 v3, v3, v26, vcc_lo
	v_cndmask_b32_e64 v3, v3, 0, s7
	s_delay_alu instid0(VALU_DEP_1) | instskip(NEXT) | instid1(VALU_DEP_1)
	v_add_nc_u32_e32 v4, v3, v4
	v_add_nc_u32_e32 v5, v4, v5
	s_delay_alu instid0(VALU_DEP_1) | instskip(NEXT) | instid1(VALU_DEP_1)
	v_add_nc_u32_e32 v6, v5, v6
	v_add_nc_u32_e32 v26, v6, v7
	s_delay_alu instid0(VALU_DEP_1) | instskip(NEXT) | instid1(VALU_DEP_1)
	v_add_nc_u32_e32 v27, v26, v0
	v_add_nc_u32_e32 v0, v27, v1
	s_delay_alu instid0(VALU_DEP_1)
	v_add_nc_u32_e32 v1, v0, v2
	ds_store_2addr_b64 v15, v[3:4], v[5:6] offset0:4 offset1:5
	ds_store_2addr_b64 v16, v[26:27], v[0:1] offset0:2 offset1:3
	s_waitcnt lgkmcnt(0)
	s_barrier
	buffer_gl0_inv
	ds_load_b32 v0, v25
	v_lshlrev_b32_e32 v1, 3, v24
	s_waitcnt lgkmcnt(0)
	s_barrier
	buffer_gl0_inv
	v_lshl_add_u32 v0, v0, 3, v1
	ds_store_b64 v0, v[13:14]
	s_waitcnt lgkmcnt(0)
	s_barrier
	buffer_gl0_inv
	ds_load_b64 v[13:14], v23
	s_cbranch_scc1 .LBB168_66
.LBB168_2:                              ; =>This Inner Loop Header: Depth=1
	s_waitcnt lgkmcnt(0)
	s_delay_alu instid0(VALU_DEP_1)
	v_and_b32_e32 v0, 1, v14
	v_lshlrev_b32_e32 v1, 30, v14
	v_lshlrev_b32_e32 v2, 29, v14
	;; [unrolled: 1-line block ×4, first 2 shown]
	v_add_co_u32 v0, s12, v0, -1
	s_delay_alu instid0(VALU_DEP_1)
	v_cndmask_b32_e64 v3, 0, 1, s12
	v_not_b32_e32 v7, v1
	v_cmp_gt_i32_e64 s13, 0, v1
	v_not_b32_e32 v1, v2
	v_lshlrev_b32_e32 v6, 26, v14
	v_cmp_ne_u32_e64 s12, 0, v3
	v_ashrrev_i32_e32 v7, 31, v7
	v_lshlrev_b32_e32 v3, 25, v14
	v_ashrrev_i32_e32 v1, 31, v1
	v_cmp_gt_i32_e64 s14, 0, v5
	v_xor_b32_e32 v0, s12, v0
	v_cmp_gt_i32_e64 s12, 0, v2
	v_not_b32_e32 v2, v4
	v_xor_b32_e32 v7, s13, v7
	v_cmp_gt_i32_e64 s13, 0, v4
	v_and_b32_e32 v0, exec_lo, v0
	v_xor_b32_e32 v1, s12, v1
	v_ashrrev_i32_e32 v2, 31, v2
	v_not_b32_e32 v4, v5
	v_not_b32_e32 v5, v6
	v_and_b32_e32 v0, v0, v7
	v_cmp_gt_i32_e64 s12, 0, v6
	v_xor_b32_e32 v2, s13, v2
	v_not_b32_e32 v6, v3
	ds_store_2addr_b64 v15, v[11:12], v[9:10] offset0:4 offset1:5
	ds_store_2addr_b64 v16, v[11:12], v[9:10] offset0:2 offset1:3
	v_and_b32_e32 v0, v0, v1
	v_ashrrev_i32_e32 v1, 31, v4
	v_ashrrev_i32_e32 v4, 31, v5
	v_lshlrev_b32_e32 v5, 24, v14
	s_waitcnt lgkmcnt(0)
	v_and_b32_e32 v0, v0, v2
	v_xor_b32_e32 v1, s14, v1
	v_xor_b32_e32 v2, s12, v4
	v_cmp_gt_i32_e64 s12, 0, v3
	v_not_b32_e32 v3, v5
	v_ashrrev_i32_e32 v4, 31, v6
	v_and_b32_e32 v0, v0, v1
	v_cmp_gt_i32_e64 s13, 0, v5
	s_barrier
	v_ashrrev_i32_e32 v1, 31, v3
	v_xor_b32_e32 v3, s12, v4
	v_and_b32_e32 v0, v0, v2
	buffer_gl0_inv
	v_xor_b32_e32 v1, s13, v1
	; wave barrier
	v_and_b32_e32 v0, v0, v3
	s_delay_alu instid0(VALU_DEP_1) | instskip(SKIP_1) | instid1(VALU_DEP_2)
	v_and_b32_e32 v0, v0, v1
	v_and_b32_e32 v1, 0xff, v14
	v_mbcnt_lo_u32_b32 v24, v0, 0
	s_delay_alu instid0(VALU_DEP_2) | instskip(SKIP_1) | instid1(VALU_DEP_3)
	v_lshl_add_u32 v1, v1, 3, v22
	v_cmp_ne_u32_e64 s13, 0, v0
	v_cmp_eq_u32_e64 s12, 0, v24
	s_delay_alu instid0(VALU_DEP_3) | instskip(NEXT) | instid1(VALU_DEP_2)
	v_lshl_add_u32 v25, v1, 2, 32
	s_and_b32 s13, s13, s12
	s_delay_alu instid0(SALU_CYCLE_1)
	s_and_saveexec_b32 s12, s13
	s_cbranch_execz .LBB168_4
; %bb.3:                                ;   in Loop: Header=BB168_2 Depth=1
	v_bcnt_u32_b32 v0, v0, 0
	ds_store_b32 v25, v0
.LBB168_4:                              ;   in Loop: Header=BB168_2 Depth=1
	s_or_b32 exec_lo, exec_lo, s12
	; wave barrier
	s_waitcnt lgkmcnt(0)
	s_barrier
	buffer_gl0_inv
	ds_load_2addr_b64 v[4:7], v15 offset0:4 offset1:5
	ds_load_2addr_b64 v[0:3], v16 offset0:2 offset1:3
	s_waitcnt lgkmcnt(1)
	v_add_nc_u32_e32 v26, v5, v4
	s_delay_alu instid0(VALU_DEP_1) | instskip(SKIP_1) | instid1(VALU_DEP_1)
	v_add3_u32 v26, v26, v6, v7
	s_waitcnt lgkmcnt(0)
	v_add3_u32 v26, v26, v0, v1
	s_delay_alu instid0(VALU_DEP_1) | instskip(NEXT) | instid1(VALU_DEP_1)
	v_add3_u32 v3, v26, v2, v3
	v_mov_b32_dpp v26, v3 row_shr:1 row_mask:0xf bank_mask:0xf
	s_delay_alu instid0(VALU_DEP_1) | instskip(NEXT) | instid1(VALU_DEP_1)
	v_cndmask_b32_e64 v26, v26, 0, s0
	v_add_nc_u32_e32 v3, v26, v3
	s_delay_alu instid0(VALU_DEP_1) | instskip(NEXT) | instid1(VALU_DEP_1)
	v_mov_b32_dpp v26, v3 row_shr:2 row_mask:0xf bank_mask:0xf
	v_cndmask_b32_e64 v26, 0, v26, s1
	s_delay_alu instid0(VALU_DEP_1) | instskip(NEXT) | instid1(VALU_DEP_1)
	v_add_nc_u32_e32 v3, v3, v26
	v_mov_b32_dpp v26, v3 row_shr:4 row_mask:0xf bank_mask:0xf
	s_delay_alu instid0(VALU_DEP_1) | instskip(NEXT) | instid1(VALU_DEP_1)
	v_cndmask_b32_e64 v26, 0, v26, s2
	v_add_nc_u32_e32 v3, v3, v26
	s_delay_alu instid0(VALU_DEP_1) | instskip(NEXT) | instid1(VALU_DEP_1)
	v_mov_b32_dpp v26, v3 row_shr:8 row_mask:0xf bank_mask:0xf
	v_cndmask_b32_e64 v26, 0, v26, s3
	s_delay_alu instid0(VALU_DEP_1) | instskip(SKIP_3) | instid1(VALU_DEP_1)
	v_add_nc_u32_e32 v3, v3, v26
	ds_swizzle_b32 v26, v3 offset:swizzle(BROADCAST,32,15)
	s_waitcnt lgkmcnt(0)
	v_cndmask_b32_e64 v26, v26, 0, s4
	v_add_nc_u32_e32 v3, v3, v26
	s_and_saveexec_b32 s12, s11
	s_cbranch_execz .LBB168_6
; %bb.5:                                ;   in Loop: Header=BB168_2 Depth=1
	ds_store_b32 v17, v3
.LBB168_6:                              ;   in Loop: Header=BB168_2 Depth=1
	s_or_b32 exec_lo, exec_lo, s12
	s_waitcnt lgkmcnt(0)
	s_barrier
	buffer_gl0_inv
	s_and_saveexec_b32 s12, s5
	s_cbranch_execz .LBB168_8
; %bb.7:                                ;   in Loop: Header=BB168_2 Depth=1
	ds_load_b32 v26, v19
	s_waitcnt lgkmcnt(0)
	v_mov_b32_dpp v27, v26 row_shr:1 row_mask:0xf bank_mask:0xf
	s_delay_alu instid0(VALU_DEP_1) | instskip(NEXT) | instid1(VALU_DEP_1)
	v_cndmask_b32_e64 v27, v27, 0, s8
	v_add_nc_u32_e32 v26, v27, v26
	s_delay_alu instid0(VALU_DEP_1) | instskip(NEXT) | instid1(VALU_DEP_1)
	v_mov_b32_dpp v27, v26 row_shr:2 row_mask:0xf bank_mask:0xf
	v_cndmask_b32_e64 v27, 0, v27, s9
	s_delay_alu instid0(VALU_DEP_1) | instskip(NEXT) | instid1(VALU_DEP_1)
	v_add_nc_u32_e32 v26, v26, v27
	v_mov_b32_dpp v27, v26 row_shr:4 row_mask:0xf bank_mask:0xf
	s_delay_alu instid0(VALU_DEP_1) | instskip(NEXT) | instid1(VALU_DEP_1)
	v_cndmask_b32_e64 v27, 0, v27, s10
	v_add_nc_u32_e32 v26, v26, v27
	ds_store_b32 v19, v26
.LBB168_8:                              ;   in Loop: Header=BB168_2 Depth=1
	s_or_b32 exec_lo, exec_lo, s12
	v_mov_b32_e32 v26, 0
	s_waitcnt lgkmcnt(0)
	s_barrier
	buffer_gl0_inv
	s_and_saveexec_b32 s12, s6
	s_cbranch_execz .LBB168_10
; %bb.9:                                ;   in Loop: Header=BB168_2 Depth=1
	ds_load_b32 v26, v20
.LBB168_10:                             ;   in Loop: Header=BB168_2 Depth=1
	s_or_b32 exec_lo, exec_lo, s12
	s_waitcnt lgkmcnt(0)
	v_add_nc_u32_e32 v3, v26, v3
	ds_bpermute_b32 v3, v18, v3
	s_waitcnt lgkmcnt(0)
	v_cndmask_b32_e32 v3, v3, v26, vcc_lo
	s_delay_alu instid0(VALU_DEP_1) | instskip(NEXT) | instid1(VALU_DEP_1)
	v_cndmask_b32_e64 v3, v3, 0, s7
	v_add_nc_u32_e32 v4, v3, v4
	s_delay_alu instid0(VALU_DEP_1) | instskip(NEXT) | instid1(VALU_DEP_1)
	v_add_nc_u32_e32 v5, v4, v5
	v_add_nc_u32_e32 v6, v5, v6
	s_delay_alu instid0(VALU_DEP_1) | instskip(NEXT) | instid1(VALU_DEP_1)
	v_add_nc_u32_e32 v26, v6, v7
	;; [unrolled: 3-line block ×3, first 2 shown]
	v_add_nc_u32_e32 v1, v0, v2
	ds_store_2addr_b64 v15, v[3:4], v[5:6] offset0:4 offset1:5
	ds_store_2addr_b64 v16, v[26:27], v[0:1] offset0:2 offset1:3
	s_waitcnt lgkmcnt(0)
	s_barrier
	buffer_gl0_inv
	ds_load_b32 v0, v25
	v_lshlrev_b32_e32 v1, 3, v24
	s_waitcnt lgkmcnt(0)
	s_barrier
	buffer_gl0_inv
	v_lshl_add_u32 v0, v0, 3, v1
	ds_store_b64 v0, v[13:14]
	s_waitcnt lgkmcnt(0)
	s_barrier
	buffer_gl0_inv
	ds_load_b64 v[13:14], v21
	s_waitcnt lgkmcnt(0)
	s_barrier
	buffer_gl0_inv
	ds_store_2addr_b64 v15, v[11:12], v[9:10] offset0:4 offset1:5
	ds_store_2addr_b64 v16, v[11:12], v[9:10] offset0:2 offset1:3
	s_waitcnt lgkmcnt(0)
	s_barrier
	buffer_gl0_inv
	; wave barrier
	v_bfe_u32 v0, v14, 8, 1
	v_lshrrev_b32_e32 v1, 8, v14
	s_delay_alu instid0(VALU_DEP_2) | instskip(NEXT) | instid1(VALU_DEP_1)
	v_add_co_u32 v0, s12, v0, -1
	v_cndmask_b32_e64 v2, 0, 1, s12
	s_delay_alu instid0(VALU_DEP_3)
	v_lshlrev_b32_e32 v3, 30, v1
	v_lshlrev_b32_e32 v4, 29, v1
	v_lshlrev_b32_e32 v5, 28, v1
	v_lshlrev_b32_e32 v6, 27, v1
	v_cmp_ne_u32_e64 s12, 0, v2
	v_not_b32_e32 v2, v3
	v_cmp_gt_i32_e64 s13, 0, v3
	v_not_b32_e32 v3, v4
	v_lshlrev_b32_e32 v7, 26, v1
	v_xor_b32_e32 v0, s12, v0
	v_ashrrev_i32_e32 v2, 31, v2
	v_cmp_gt_i32_e64 s12, 0, v4
	v_not_b32_e32 v4, v5
	v_ashrrev_i32_e32 v3, 31, v3
	v_and_b32_e32 v0, exec_lo, v0
	v_xor_b32_e32 v2, s13, v2
	v_cmp_gt_i32_e64 s13, 0, v5
	v_not_b32_e32 v5, v6
	v_ashrrev_i32_e32 v4, 31, v4
	v_xor_b32_e32 v3, s12, v3
	v_and_b32_e32 v0, v0, v2
	v_lshlrev_b32_e32 v24, 25, v1
	v_cmp_gt_i32_e64 s12, 0, v6
	v_not_b32_e32 v2, v7
	v_ashrrev_i32_e32 v5, 31, v5
	v_xor_b32_e32 v4, s13, v4
	v_and_b32_e32 v0, v0, v3
	v_lshlrev_b32_e32 v1, 24, v1
	v_cmp_gt_i32_e64 s13, 0, v7
	v_not_b32_e32 v3, v24
	v_ashrrev_i32_e32 v2, 31, v2
	v_xor_b32_e32 v5, s12, v5
	v_and_b32_e32 v0, v0, v4
	v_cmp_gt_i32_e64 s12, 0, v24
	v_not_b32_e32 v4, v1
	v_ashrrev_i32_e32 v3, 31, v3
	v_xor_b32_e32 v2, s13, v2
	v_and_b32_e32 v0, v0, v5
	v_cmp_gt_i32_e64 s13, 0, v1
	v_ashrrev_i32_e32 v1, 31, v4
	v_xor_b32_e32 v3, s12, v3
	s_delay_alu instid0(VALU_DEP_4) | instskip(SKIP_1) | instid1(VALU_DEP_4)
	v_and_b32_e32 v0, v0, v2
	v_lshrrev_b32_e32 v2, 5, v14
	v_xor_b32_e32 v1, s13, v1
	s_delay_alu instid0(VALU_DEP_3) | instskip(NEXT) | instid1(VALU_DEP_1)
	v_and_b32_e32 v0, v0, v3
	v_and_b32_e32 v0, v0, v1
	s_delay_alu instid0(VALU_DEP_4) | instskip(NEXT) | instid1(VALU_DEP_2)
	v_and_b32_e32 v1, 0x7f8, v2
	v_mbcnt_lo_u32_b32 v24, v0, 0
	s_delay_alu instid0(VALU_DEP_2) | instskip(SKIP_1) | instid1(VALU_DEP_3)
	v_add_nc_u32_e32 v1, v1, v22
	v_cmp_ne_u32_e64 s13, 0, v0
	v_cmp_eq_u32_e64 s12, 0, v24
	s_delay_alu instid0(VALU_DEP_3) | instskip(NEXT) | instid1(VALU_DEP_2)
	v_lshl_add_u32 v25, v1, 2, 32
	s_and_b32 s13, s13, s12
	s_delay_alu instid0(SALU_CYCLE_1)
	s_and_saveexec_b32 s12, s13
	s_cbranch_execz .LBB168_12
; %bb.11:                               ;   in Loop: Header=BB168_2 Depth=1
	v_bcnt_u32_b32 v0, v0, 0
	ds_store_b32 v25, v0
.LBB168_12:                             ;   in Loop: Header=BB168_2 Depth=1
	s_or_b32 exec_lo, exec_lo, s12
	; wave barrier
	s_waitcnt lgkmcnt(0)
	s_barrier
	buffer_gl0_inv
	ds_load_2addr_b64 v[4:7], v15 offset0:4 offset1:5
	ds_load_2addr_b64 v[0:3], v16 offset0:2 offset1:3
	s_waitcnt lgkmcnt(1)
	v_add_nc_u32_e32 v26, v5, v4
	s_delay_alu instid0(VALU_DEP_1) | instskip(SKIP_1) | instid1(VALU_DEP_1)
	v_add3_u32 v26, v26, v6, v7
	s_waitcnt lgkmcnt(0)
	v_add3_u32 v26, v26, v0, v1
	s_delay_alu instid0(VALU_DEP_1) | instskip(NEXT) | instid1(VALU_DEP_1)
	v_add3_u32 v3, v26, v2, v3
	v_mov_b32_dpp v26, v3 row_shr:1 row_mask:0xf bank_mask:0xf
	s_delay_alu instid0(VALU_DEP_1) | instskip(NEXT) | instid1(VALU_DEP_1)
	v_cndmask_b32_e64 v26, v26, 0, s0
	v_add_nc_u32_e32 v3, v26, v3
	s_delay_alu instid0(VALU_DEP_1) | instskip(NEXT) | instid1(VALU_DEP_1)
	v_mov_b32_dpp v26, v3 row_shr:2 row_mask:0xf bank_mask:0xf
	v_cndmask_b32_e64 v26, 0, v26, s1
	s_delay_alu instid0(VALU_DEP_1) | instskip(NEXT) | instid1(VALU_DEP_1)
	v_add_nc_u32_e32 v3, v3, v26
	v_mov_b32_dpp v26, v3 row_shr:4 row_mask:0xf bank_mask:0xf
	s_delay_alu instid0(VALU_DEP_1) | instskip(NEXT) | instid1(VALU_DEP_1)
	v_cndmask_b32_e64 v26, 0, v26, s2
	v_add_nc_u32_e32 v3, v3, v26
	s_delay_alu instid0(VALU_DEP_1) | instskip(NEXT) | instid1(VALU_DEP_1)
	v_mov_b32_dpp v26, v3 row_shr:8 row_mask:0xf bank_mask:0xf
	v_cndmask_b32_e64 v26, 0, v26, s3
	s_delay_alu instid0(VALU_DEP_1) | instskip(SKIP_3) | instid1(VALU_DEP_1)
	v_add_nc_u32_e32 v3, v3, v26
	ds_swizzle_b32 v26, v3 offset:swizzle(BROADCAST,32,15)
	s_waitcnt lgkmcnt(0)
	v_cndmask_b32_e64 v26, v26, 0, s4
	v_add_nc_u32_e32 v3, v3, v26
	s_and_saveexec_b32 s12, s11
	s_cbranch_execz .LBB168_14
; %bb.13:                               ;   in Loop: Header=BB168_2 Depth=1
	ds_store_b32 v17, v3
.LBB168_14:                             ;   in Loop: Header=BB168_2 Depth=1
	s_or_b32 exec_lo, exec_lo, s12
	s_waitcnt lgkmcnt(0)
	s_barrier
	buffer_gl0_inv
	s_and_saveexec_b32 s12, s5
	s_cbranch_execz .LBB168_16
; %bb.15:                               ;   in Loop: Header=BB168_2 Depth=1
	ds_load_b32 v26, v19
	s_waitcnt lgkmcnt(0)
	v_mov_b32_dpp v27, v26 row_shr:1 row_mask:0xf bank_mask:0xf
	s_delay_alu instid0(VALU_DEP_1) | instskip(NEXT) | instid1(VALU_DEP_1)
	v_cndmask_b32_e64 v27, v27, 0, s8
	v_add_nc_u32_e32 v26, v27, v26
	s_delay_alu instid0(VALU_DEP_1) | instskip(NEXT) | instid1(VALU_DEP_1)
	v_mov_b32_dpp v27, v26 row_shr:2 row_mask:0xf bank_mask:0xf
	v_cndmask_b32_e64 v27, 0, v27, s9
	s_delay_alu instid0(VALU_DEP_1) | instskip(NEXT) | instid1(VALU_DEP_1)
	v_add_nc_u32_e32 v26, v26, v27
	v_mov_b32_dpp v27, v26 row_shr:4 row_mask:0xf bank_mask:0xf
	s_delay_alu instid0(VALU_DEP_1) | instskip(NEXT) | instid1(VALU_DEP_1)
	v_cndmask_b32_e64 v27, 0, v27, s10
	v_add_nc_u32_e32 v26, v26, v27
	ds_store_b32 v19, v26
.LBB168_16:                             ;   in Loop: Header=BB168_2 Depth=1
	s_or_b32 exec_lo, exec_lo, s12
	v_mov_b32_e32 v26, 0
	s_waitcnt lgkmcnt(0)
	s_barrier
	buffer_gl0_inv
	s_and_saveexec_b32 s12, s6
	s_cbranch_execz .LBB168_18
; %bb.17:                               ;   in Loop: Header=BB168_2 Depth=1
	ds_load_b32 v26, v20
.LBB168_18:                             ;   in Loop: Header=BB168_2 Depth=1
	s_or_b32 exec_lo, exec_lo, s12
	s_waitcnt lgkmcnt(0)
	v_add_nc_u32_e32 v3, v26, v3
	ds_bpermute_b32 v3, v18, v3
	s_waitcnt lgkmcnt(0)
	v_cndmask_b32_e32 v3, v3, v26, vcc_lo
	s_delay_alu instid0(VALU_DEP_1) | instskip(NEXT) | instid1(VALU_DEP_1)
	v_cndmask_b32_e64 v3, v3, 0, s7
	v_add_nc_u32_e32 v4, v3, v4
	s_delay_alu instid0(VALU_DEP_1) | instskip(NEXT) | instid1(VALU_DEP_1)
	v_add_nc_u32_e32 v5, v4, v5
	v_add_nc_u32_e32 v6, v5, v6
	s_delay_alu instid0(VALU_DEP_1) | instskip(NEXT) | instid1(VALU_DEP_1)
	v_add_nc_u32_e32 v26, v6, v7
	;; [unrolled: 3-line block ×3, first 2 shown]
	v_add_nc_u32_e32 v1, v0, v2
	ds_store_2addr_b64 v15, v[3:4], v[5:6] offset0:4 offset1:5
	ds_store_2addr_b64 v16, v[26:27], v[0:1] offset0:2 offset1:3
	s_waitcnt lgkmcnt(0)
	s_barrier
	buffer_gl0_inv
	ds_load_b32 v0, v25
	v_lshlrev_b32_e32 v1, 3, v24
	s_waitcnt lgkmcnt(0)
	s_barrier
	buffer_gl0_inv
	v_lshl_add_u32 v0, v0, 3, v1
	ds_store_b64 v0, v[13:14]
	s_waitcnt lgkmcnt(0)
	s_barrier
	buffer_gl0_inv
	ds_load_b64 v[13:14], v21
	s_waitcnt lgkmcnt(0)
	s_barrier
	buffer_gl0_inv
	v_bfe_u32 v0, v14, 16, 1
	v_lshrrev_b32_e32 v1, 16, v14
	s_delay_alu instid0(VALU_DEP_2) | instskip(NEXT) | instid1(VALU_DEP_1)
	v_add_co_u32 v0, s12, v0, -1
	v_cndmask_b32_e64 v2, 0, 1, s12
	s_delay_alu instid0(VALU_DEP_3)
	v_lshlrev_b32_e32 v3, 30, v1
	v_lshlrev_b32_e32 v4, 29, v1
	;; [unrolled: 1-line block ×4, first 2 shown]
	v_cmp_ne_u32_e64 s12, 0, v2
	v_not_b32_e32 v2, v3
	v_cmp_gt_i32_e64 s13, 0, v3
	v_not_b32_e32 v3, v4
	v_lshlrev_b32_e32 v7, 26, v1
	v_xor_b32_e32 v0, s12, v0
	v_ashrrev_i32_e32 v2, 31, v2
	v_cmp_gt_i32_e64 s12, 0, v4
	v_not_b32_e32 v4, v5
	v_ashrrev_i32_e32 v3, 31, v3
	v_and_b32_e32 v0, exec_lo, v0
	v_xor_b32_e32 v2, s13, v2
	v_cmp_gt_i32_e64 s13, 0, v5
	v_not_b32_e32 v5, v6
	v_ashrrev_i32_e32 v4, 31, v4
	v_xor_b32_e32 v3, s12, v3
	v_and_b32_e32 v0, v0, v2
	v_lshlrev_b32_e32 v24, 25, v1
	v_cmp_gt_i32_e64 s12, 0, v6
	v_not_b32_e32 v2, v7
	v_ashrrev_i32_e32 v5, 31, v5
	v_xor_b32_e32 v4, s13, v4
	v_and_b32_e32 v0, v0, v3
	v_lshlrev_b32_e32 v1, 24, v1
	v_cmp_gt_i32_e64 s13, 0, v7
	v_not_b32_e32 v3, v24
	v_ashrrev_i32_e32 v2, 31, v2
	v_xor_b32_e32 v5, s12, v5
	v_and_b32_e32 v0, v0, v4
	v_cmp_gt_i32_e64 s12, 0, v24
	v_not_b32_e32 v4, v1
	v_ashrrev_i32_e32 v3, 31, v3
	v_xor_b32_e32 v2, s13, v2
	v_and_b32_e32 v0, v0, v5
	v_cmp_gt_i32_e64 s13, 0, v1
	v_ashrrev_i32_e32 v1, 31, v4
	v_xor_b32_e32 v3, s12, v3
	v_lshrrev_b32_e32 v6, 13, v14
	v_and_b32_e32 v0, v0, v2
	s_delay_alu instid0(VALU_DEP_4) | instskip(SKIP_1) | instid1(VALU_DEP_3)
	v_xor_b32_e32 v5, s13, v1
	v_dual_mov_b32 v1, s22 :: v_dual_mov_b32 v2, s23
	v_dual_mov_b32 v3, s16 :: v_dual_and_b32 v0, v0, v3
	v_mov_b32_e32 v4, s17
	ds_store_2addr_b64 v15, v[1:2], v[3:4] offset0:4 offset1:5
	ds_store_2addr_b64 v16, v[1:2], v[3:4] offset0:2 offset1:3
	v_and_b32_e32 v0, v0, v5
	v_and_b32_e32 v5, 0x7f8, v6
	s_waitcnt lgkmcnt(0)
	s_barrier
	buffer_gl0_inv
	v_mbcnt_lo_u32_b32 v24, v0, 0
	v_add_nc_u32_e32 v1, v5, v22
	v_cmp_ne_u32_e64 s13, 0, v0
	; wave barrier
	s_delay_alu instid0(VALU_DEP_3) | instskip(NEXT) | instid1(VALU_DEP_3)
	v_cmp_eq_u32_e64 s12, 0, v24
	v_lshl_add_u32 v25, v1, 2, 32
	s_delay_alu instid0(VALU_DEP_2) | instskip(NEXT) | instid1(SALU_CYCLE_1)
	s_and_b32 s13, s13, s12
	s_and_saveexec_b32 s12, s13
	s_cbranch_execz .LBB168_20
; %bb.19:                               ;   in Loop: Header=BB168_2 Depth=1
	v_bcnt_u32_b32 v0, v0, 0
	ds_store_b32 v25, v0
.LBB168_20:                             ;   in Loop: Header=BB168_2 Depth=1
	s_or_b32 exec_lo, exec_lo, s12
	; wave barrier
	s_waitcnt lgkmcnt(0)
	s_barrier
	buffer_gl0_inv
	ds_load_2addr_b64 v[4:7], v15 offset0:4 offset1:5
	ds_load_2addr_b64 v[0:3], v16 offset0:2 offset1:3
	s_waitcnt lgkmcnt(1)
	v_add_nc_u32_e32 v26, v5, v4
	s_delay_alu instid0(VALU_DEP_1) | instskip(SKIP_1) | instid1(VALU_DEP_1)
	v_add3_u32 v26, v26, v6, v7
	s_waitcnt lgkmcnt(0)
	v_add3_u32 v26, v26, v0, v1
	s_delay_alu instid0(VALU_DEP_1) | instskip(NEXT) | instid1(VALU_DEP_1)
	v_add3_u32 v3, v26, v2, v3
	v_mov_b32_dpp v26, v3 row_shr:1 row_mask:0xf bank_mask:0xf
	s_delay_alu instid0(VALU_DEP_1) | instskip(NEXT) | instid1(VALU_DEP_1)
	v_cndmask_b32_e64 v26, v26, 0, s0
	v_add_nc_u32_e32 v3, v26, v3
	s_delay_alu instid0(VALU_DEP_1) | instskip(NEXT) | instid1(VALU_DEP_1)
	v_mov_b32_dpp v26, v3 row_shr:2 row_mask:0xf bank_mask:0xf
	v_cndmask_b32_e64 v26, 0, v26, s1
	s_delay_alu instid0(VALU_DEP_1) | instskip(NEXT) | instid1(VALU_DEP_1)
	v_add_nc_u32_e32 v3, v3, v26
	v_mov_b32_dpp v26, v3 row_shr:4 row_mask:0xf bank_mask:0xf
	s_delay_alu instid0(VALU_DEP_1) | instskip(NEXT) | instid1(VALU_DEP_1)
	v_cndmask_b32_e64 v26, 0, v26, s2
	v_add_nc_u32_e32 v3, v3, v26
	s_delay_alu instid0(VALU_DEP_1) | instskip(NEXT) | instid1(VALU_DEP_1)
	v_mov_b32_dpp v26, v3 row_shr:8 row_mask:0xf bank_mask:0xf
	v_cndmask_b32_e64 v26, 0, v26, s3
	s_delay_alu instid0(VALU_DEP_1) | instskip(SKIP_3) | instid1(VALU_DEP_1)
	v_add_nc_u32_e32 v3, v3, v26
	ds_swizzle_b32 v26, v3 offset:swizzle(BROADCAST,32,15)
	s_waitcnt lgkmcnt(0)
	v_cndmask_b32_e64 v26, v26, 0, s4
	v_add_nc_u32_e32 v3, v3, v26
	s_and_saveexec_b32 s12, s11
	s_cbranch_execz .LBB168_22
; %bb.21:                               ;   in Loop: Header=BB168_2 Depth=1
	ds_store_b32 v17, v3
.LBB168_22:                             ;   in Loop: Header=BB168_2 Depth=1
	s_or_b32 exec_lo, exec_lo, s12
	s_waitcnt lgkmcnt(0)
	s_barrier
	buffer_gl0_inv
	s_and_saveexec_b32 s12, s5
	s_cbranch_execz .LBB168_24
; %bb.23:                               ;   in Loop: Header=BB168_2 Depth=1
	ds_load_b32 v26, v19
	s_waitcnt lgkmcnt(0)
	v_mov_b32_dpp v27, v26 row_shr:1 row_mask:0xf bank_mask:0xf
	s_delay_alu instid0(VALU_DEP_1) | instskip(NEXT) | instid1(VALU_DEP_1)
	v_cndmask_b32_e64 v27, v27, 0, s8
	v_add_nc_u32_e32 v26, v27, v26
	s_delay_alu instid0(VALU_DEP_1) | instskip(NEXT) | instid1(VALU_DEP_1)
	v_mov_b32_dpp v27, v26 row_shr:2 row_mask:0xf bank_mask:0xf
	v_cndmask_b32_e64 v27, 0, v27, s9
	s_delay_alu instid0(VALU_DEP_1) | instskip(NEXT) | instid1(VALU_DEP_1)
	v_add_nc_u32_e32 v26, v26, v27
	v_mov_b32_dpp v27, v26 row_shr:4 row_mask:0xf bank_mask:0xf
	s_delay_alu instid0(VALU_DEP_1) | instskip(NEXT) | instid1(VALU_DEP_1)
	v_cndmask_b32_e64 v27, 0, v27, s10
	v_add_nc_u32_e32 v26, v26, v27
	ds_store_b32 v19, v26
.LBB168_24:                             ;   in Loop: Header=BB168_2 Depth=1
	s_or_b32 exec_lo, exec_lo, s12
	v_mov_b32_e32 v26, 0
	s_waitcnt lgkmcnt(0)
	s_barrier
	buffer_gl0_inv
	s_and_saveexec_b32 s12, s6
	s_cbranch_execz .LBB168_26
; %bb.25:                               ;   in Loop: Header=BB168_2 Depth=1
	ds_load_b32 v26, v20
.LBB168_26:                             ;   in Loop: Header=BB168_2 Depth=1
	s_or_b32 exec_lo, exec_lo, s12
	s_waitcnt lgkmcnt(0)
	v_add_nc_u32_e32 v3, v26, v3
	ds_bpermute_b32 v3, v18, v3
	s_waitcnt lgkmcnt(0)
	v_cndmask_b32_e32 v3, v3, v26, vcc_lo
	s_delay_alu instid0(VALU_DEP_1) | instskip(NEXT) | instid1(VALU_DEP_1)
	v_cndmask_b32_e64 v3, v3, 0, s7
	v_add_nc_u32_e32 v4, v3, v4
	s_delay_alu instid0(VALU_DEP_1) | instskip(NEXT) | instid1(VALU_DEP_1)
	v_add_nc_u32_e32 v5, v4, v5
	v_add_nc_u32_e32 v6, v5, v6
	s_delay_alu instid0(VALU_DEP_1) | instskip(NEXT) | instid1(VALU_DEP_1)
	v_add_nc_u32_e32 v26, v6, v7
	;; [unrolled: 3-line block ×3, first 2 shown]
	v_add_nc_u32_e32 v1, v0, v2
	ds_store_2addr_b64 v15, v[3:4], v[5:6] offset0:4 offset1:5
	ds_store_2addr_b64 v16, v[26:27], v[0:1] offset0:2 offset1:3
	s_waitcnt lgkmcnt(0)
	s_barrier
	buffer_gl0_inv
	ds_load_b32 v0, v25
	v_lshlrev_b32_e32 v1, 3, v24
	s_waitcnt lgkmcnt(0)
	s_barrier
	buffer_gl0_inv
	v_lshl_add_u32 v0, v0, 3, v1
	ds_store_b64 v0, v[13:14]
	s_waitcnt lgkmcnt(0)
	s_barrier
	buffer_gl0_inv
	ds_load_b64 v[13:14], v21
	s_waitcnt lgkmcnt(0)
	s_barrier
	buffer_gl0_inv
	v_bfe_u32 v0, v14, 24, 1
	v_lshrrev_b32_e32 v5, 24, v14
	s_delay_alu instid0(VALU_DEP_2) | instskip(NEXT) | instid1(VALU_DEP_1)
	v_add_co_u32 v0, s12, v0, -1
	v_cndmask_b32_e64 v1, 0, 1, s12
	s_delay_alu instid0(VALU_DEP_3)
	v_lshlrev_b32_e32 v2, 30, v5
	v_lshlrev_b32_e32 v3, 29, v5
	;; [unrolled: 1-line block ×4, first 2 shown]
	v_cmp_ne_u32_e64 s12, 0, v1
	v_not_b32_e32 v1, v2
	v_cmp_gt_i32_e64 s13, 0, v2
	v_not_b32_e32 v2, v3
	v_lshlrev_b32_e32 v7, 26, v5
	v_xor_b32_e32 v0, s12, v0
	v_ashrrev_i32_e32 v1, 31, v1
	v_cmp_gt_i32_e64 s12, 0, v3
	v_not_b32_e32 v3, v4
	v_ashrrev_i32_e32 v2, 31, v2
	v_and_b32_e32 v0, exec_lo, v0
	v_xor_b32_e32 v1, s13, v1
	v_cmp_gt_i32_e64 s13, 0, v4
	v_not_b32_e32 v4, v6
	v_ashrrev_i32_e32 v3, 31, v3
	v_xor_b32_e32 v2, s12, v2
	v_and_b32_e32 v0, v0, v1
	v_lshlrev_b32_e32 v24, 25, v5
	v_cmp_gt_i32_e64 s12, 0, v6
	v_not_b32_e32 v1, v7
	v_ashrrev_i32_e32 v4, 31, v4
	v_xor_b32_e32 v3, s13, v3
	v_and_b32_e32 v0, v0, v2
	v_cmp_gt_i32_e64 s13, 0, v7
	v_not_b32_e32 v2, v24
	v_ashrrev_i32_e32 v1, 31, v1
	v_xor_b32_e32 v4, s12, v4
	v_and_b32_e32 v0, v0, v3
	v_not_b32_e32 v3, v14
	v_cmp_gt_i32_e64 s12, 0, v24
	v_ashrrev_i32_e32 v2, 31, v2
	v_xor_b32_e32 v1, s13, v1
	v_and_b32_e32 v0, v0, v4
	v_cmp_gt_i32_e64 s13, 0, v14
	v_ashrrev_i32_e32 v3, 31, v3
	v_xor_b32_e32 v2, s12, v2
	s_delay_alu instid0(VALU_DEP_4) | instskip(NEXT) | instid1(VALU_DEP_3)
	v_and_b32_e32 v0, v0, v1
	v_xor_b32_e32 v3, s13, v3
	s_delay_alu instid0(VALU_DEP_2) | instskip(SKIP_1) | instid1(VALU_DEP_2)
	v_dual_mov_b32 v1, s22 :: v_dual_and_b32 v0, v0, v2
	v_mov_b32_e32 v2, s23
	v_dual_mov_b32 v3, s16 :: v_dual_and_b32 v0, v0, v3
	v_mov_b32_e32 v4, s17
	ds_store_2addr_b64 v15, v[1:2], v[3:4] offset0:4 offset1:5
	ds_store_2addr_b64 v16, v[1:2], v[3:4] offset0:2 offset1:3
	v_mbcnt_lo_u32_b32 v24, v0, 0
	v_lshl_add_u32 v1, v5, 3, v22
	v_cmp_ne_u32_e64 s13, 0, v0
	s_waitcnt lgkmcnt(0)
	s_barrier
	v_cmp_eq_u32_e64 s12, 0, v24
	v_lshl_add_u32 v25, v1, 2, 32
	buffer_gl0_inv
	; wave barrier
	s_and_b32 s13, s13, s12
	s_delay_alu instid0(SALU_CYCLE_1)
	s_and_saveexec_b32 s12, s13
	s_cbranch_execz .LBB168_28
; %bb.27:                               ;   in Loop: Header=BB168_2 Depth=1
	v_bcnt_u32_b32 v0, v0, 0
	ds_store_b32 v25, v0
.LBB168_28:                             ;   in Loop: Header=BB168_2 Depth=1
	s_or_b32 exec_lo, exec_lo, s12
	; wave barrier
	s_waitcnt lgkmcnt(0)
	s_barrier
	buffer_gl0_inv
	ds_load_2addr_b64 v[4:7], v15 offset0:4 offset1:5
	ds_load_2addr_b64 v[0:3], v16 offset0:2 offset1:3
	s_waitcnt lgkmcnt(1)
	v_add_nc_u32_e32 v26, v5, v4
	s_delay_alu instid0(VALU_DEP_1) | instskip(SKIP_1) | instid1(VALU_DEP_1)
	v_add3_u32 v26, v26, v6, v7
	s_waitcnt lgkmcnt(0)
	v_add3_u32 v26, v26, v0, v1
	s_delay_alu instid0(VALU_DEP_1) | instskip(NEXT) | instid1(VALU_DEP_1)
	v_add3_u32 v3, v26, v2, v3
	v_mov_b32_dpp v26, v3 row_shr:1 row_mask:0xf bank_mask:0xf
	s_delay_alu instid0(VALU_DEP_1) | instskip(NEXT) | instid1(VALU_DEP_1)
	v_cndmask_b32_e64 v26, v26, 0, s0
	v_add_nc_u32_e32 v3, v26, v3
	s_delay_alu instid0(VALU_DEP_1) | instskip(NEXT) | instid1(VALU_DEP_1)
	v_mov_b32_dpp v26, v3 row_shr:2 row_mask:0xf bank_mask:0xf
	v_cndmask_b32_e64 v26, 0, v26, s1
	s_delay_alu instid0(VALU_DEP_1) | instskip(NEXT) | instid1(VALU_DEP_1)
	v_add_nc_u32_e32 v3, v3, v26
	v_mov_b32_dpp v26, v3 row_shr:4 row_mask:0xf bank_mask:0xf
	s_delay_alu instid0(VALU_DEP_1) | instskip(NEXT) | instid1(VALU_DEP_1)
	v_cndmask_b32_e64 v26, 0, v26, s2
	v_add_nc_u32_e32 v3, v3, v26
	s_delay_alu instid0(VALU_DEP_1) | instskip(NEXT) | instid1(VALU_DEP_1)
	v_mov_b32_dpp v26, v3 row_shr:8 row_mask:0xf bank_mask:0xf
	v_cndmask_b32_e64 v26, 0, v26, s3
	s_delay_alu instid0(VALU_DEP_1) | instskip(SKIP_3) | instid1(VALU_DEP_1)
	v_add_nc_u32_e32 v3, v3, v26
	ds_swizzle_b32 v26, v3 offset:swizzle(BROADCAST,32,15)
	s_waitcnt lgkmcnt(0)
	v_cndmask_b32_e64 v26, v26, 0, s4
	v_add_nc_u32_e32 v3, v3, v26
	s_and_saveexec_b32 s12, s11
	s_cbranch_execz .LBB168_30
; %bb.29:                               ;   in Loop: Header=BB168_2 Depth=1
	ds_store_b32 v17, v3
.LBB168_30:                             ;   in Loop: Header=BB168_2 Depth=1
	s_or_b32 exec_lo, exec_lo, s12
	s_waitcnt lgkmcnt(0)
	s_barrier
	buffer_gl0_inv
	s_and_saveexec_b32 s12, s5
	s_cbranch_execz .LBB168_32
; %bb.31:                               ;   in Loop: Header=BB168_2 Depth=1
	ds_load_b32 v26, v19
	s_waitcnt lgkmcnt(0)
	v_mov_b32_dpp v27, v26 row_shr:1 row_mask:0xf bank_mask:0xf
	s_delay_alu instid0(VALU_DEP_1) | instskip(NEXT) | instid1(VALU_DEP_1)
	v_cndmask_b32_e64 v27, v27, 0, s8
	v_add_nc_u32_e32 v26, v27, v26
	s_delay_alu instid0(VALU_DEP_1) | instskip(NEXT) | instid1(VALU_DEP_1)
	v_mov_b32_dpp v27, v26 row_shr:2 row_mask:0xf bank_mask:0xf
	v_cndmask_b32_e64 v27, 0, v27, s9
	s_delay_alu instid0(VALU_DEP_1) | instskip(NEXT) | instid1(VALU_DEP_1)
	v_add_nc_u32_e32 v26, v26, v27
	v_mov_b32_dpp v27, v26 row_shr:4 row_mask:0xf bank_mask:0xf
	s_delay_alu instid0(VALU_DEP_1) | instskip(NEXT) | instid1(VALU_DEP_1)
	v_cndmask_b32_e64 v27, 0, v27, s10
	v_add_nc_u32_e32 v26, v26, v27
	ds_store_b32 v19, v26
.LBB168_32:                             ;   in Loop: Header=BB168_2 Depth=1
	s_or_b32 exec_lo, exec_lo, s12
	v_mov_b32_e32 v26, 0
	s_waitcnt lgkmcnt(0)
	s_barrier
	buffer_gl0_inv
	s_and_saveexec_b32 s12, s6
	s_cbranch_execz .LBB168_34
; %bb.33:                               ;   in Loop: Header=BB168_2 Depth=1
	ds_load_b32 v26, v20
.LBB168_34:                             ;   in Loop: Header=BB168_2 Depth=1
	s_or_b32 exec_lo, exec_lo, s12
	s_waitcnt lgkmcnt(0)
	v_add_nc_u32_e32 v3, v26, v3
	ds_bpermute_b32 v3, v18, v3
	s_waitcnt lgkmcnt(0)
	v_cndmask_b32_e32 v3, v3, v26, vcc_lo
	s_delay_alu instid0(VALU_DEP_1) | instskip(NEXT) | instid1(VALU_DEP_1)
	v_cndmask_b32_e64 v3, v3, 0, s7
	v_add_nc_u32_e32 v4, v3, v4
	s_delay_alu instid0(VALU_DEP_1) | instskip(NEXT) | instid1(VALU_DEP_1)
	v_add_nc_u32_e32 v5, v4, v5
	v_add_nc_u32_e32 v6, v5, v6
	s_delay_alu instid0(VALU_DEP_1) | instskip(NEXT) | instid1(VALU_DEP_1)
	v_add_nc_u32_e32 v26, v6, v7
	;; [unrolled: 3-line block ×3, first 2 shown]
	v_add_nc_u32_e32 v1, v0, v2
	ds_store_2addr_b64 v15, v[3:4], v[5:6] offset0:4 offset1:5
	ds_store_2addr_b64 v16, v[26:27], v[0:1] offset0:2 offset1:3
	s_waitcnt lgkmcnt(0)
	s_barrier
	buffer_gl0_inv
	ds_load_b32 v0, v25
	v_lshlrev_b32_e32 v1, 3, v24
	s_waitcnt lgkmcnt(0)
	s_barrier
	buffer_gl0_inv
	v_lshl_add_u32 v0, v0, 3, v1
	ds_store_b64 v0, v[13:14]
	s_waitcnt lgkmcnt(0)
	s_barrier
	buffer_gl0_inv
	ds_load_b64 v[13:14], v21
	s_waitcnt lgkmcnt(0)
	s_barrier
	buffer_gl0_inv
	v_and_b32_e32 v0, 1, v13
	v_lshlrev_b32_e32 v1, 30, v13
	v_lshlrev_b32_e32 v2, 29, v13
	;; [unrolled: 1-line block ×4, first 2 shown]
	v_add_co_u32 v0, s12, v0, -1
	s_delay_alu instid0(VALU_DEP_1)
	v_cndmask_b32_e64 v4, 0, 1, s12
	v_not_b32_e32 v24, v1
	v_cmp_gt_i32_e64 s13, 0, v1
	v_not_b32_e32 v1, v2
	v_lshlrev_b32_e32 v6, 26, v13
	v_cmp_ne_u32_e64 s12, 0, v4
	v_ashrrev_i32_e32 v24, 31, v24
	v_lshlrev_b32_e32 v7, 25, v13
	v_ashrrev_i32_e32 v1, 31, v1
	v_lshlrev_b32_e32 v4, 24, v13
	v_xor_b32_e32 v0, s12, v0
	v_cmp_gt_i32_e64 s12, 0, v2
	v_not_b32_e32 v2, v3
	v_xor_b32_e32 v24, s13, v24
	v_cmp_gt_i32_e64 s13, 0, v3
	v_and_b32_e32 v0, exec_lo, v0
	v_not_b32_e32 v3, v5
	v_ashrrev_i32_e32 v2, 31, v2
	v_xor_b32_e32 v1, s12, v1
	v_cmp_gt_i32_e64 s12, 0, v5
	v_and_b32_e32 v0, v0, v24
	v_not_b32_e32 v5, v6
	v_ashrrev_i32_e32 v3, 31, v3
	v_xor_b32_e32 v2, s13, v2
	v_cmp_gt_i32_e64 s13, 0, v6
	v_and_b32_e32 v0, v0, v1
	;; [unrolled: 5-line block ×3, first 2 shown]
	v_not_b32_e32 v2, v4
	v_ashrrev_i32_e32 v1, 31, v1
	v_xor_b32_e32 v5, s13, v5
	v_cmp_gt_i32_e64 s13, 0, v4
	v_dual_mov_b32 v3, s16 :: v_dual_and_b32 v0, v0, v3
	v_ashrrev_i32_e32 v2, 31, v2
	v_xor_b32_e32 v1, s12, v1
	v_mov_b32_e32 v4, s17
	s_delay_alu instid0(VALU_DEP_4) | instskip(NEXT) | instid1(VALU_DEP_4)
	v_and_b32_e32 v0, v0, v5
	v_xor_b32_e32 v5, s13, v2
	s_delay_alu instid0(VALU_DEP_2)
	v_dual_mov_b32 v1, s22 :: v_dual_and_b32 v0, v0, v1
	v_mov_b32_e32 v2, s23
	ds_store_2addr_b64 v15, v[1:2], v[3:4] offset0:4 offset1:5
	ds_store_2addr_b64 v16, v[1:2], v[3:4] offset0:2 offset1:3
	v_and_b32_e32 v0, v0, v5
	v_and_b32_e32 v5, 0xff, v13
	s_waitcnt lgkmcnt(0)
	s_barrier
	buffer_gl0_inv
	v_mbcnt_lo_u32_b32 v24, v0, 0
	v_lshl_add_u32 v1, v5, 3, v22
	v_cmp_ne_u32_e64 s13, 0, v0
	; wave barrier
	s_delay_alu instid0(VALU_DEP_3) | instskip(NEXT) | instid1(VALU_DEP_3)
	v_cmp_eq_u32_e64 s12, 0, v24
	v_lshl_add_u32 v25, v1, 2, 32
	s_delay_alu instid0(VALU_DEP_2) | instskip(NEXT) | instid1(SALU_CYCLE_1)
	s_and_b32 s13, s13, s12
	s_and_saveexec_b32 s12, s13
	s_cbranch_execz .LBB168_36
; %bb.35:                               ;   in Loop: Header=BB168_2 Depth=1
	v_bcnt_u32_b32 v0, v0, 0
	ds_store_b32 v25, v0
.LBB168_36:                             ;   in Loop: Header=BB168_2 Depth=1
	s_or_b32 exec_lo, exec_lo, s12
	; wave barrier
	s_waitcnt lgkmcnt(0)
	s_barrier
	buffer_gl0_inv
	ds_load_2addr_b64 v[4:7], v15 offset0:4 offset1:5
	ds_load_2addr_b64 v[0:3], v16 offset0:2 offset1:3
	s_waitcnt lgkmcnt(1)
	v_add_nc_u32_e32 v26, v5, v4
	s_delay_alu instid0(VALU_DEP_1) | instskip(SKIP_1) | instid1(VALU_DEP_1)
	v_add3_u32 v26, v26, v6, v7
	s_waitcnt lgkmcnt(0)
	v_add3_u32 v26, v26, v0, v1
	s_delay_alu instid0(VALU_DEP_1) | instskip(NEXT) | instid1(VALU_DEP_1)
	v_add3_u32 v3, v26, v2, v3
	v_mov_b32_dpp v26, v3 row_shr:1 row_mask:0xf bank_mask:0xf
	s_delay_alu instid0(VALU_DEP_1) | instskip(NEXT) | instid1(VALU_DEP_1)
	v_cndmask_b32_e64 v26, v26, 0, s0
	v_add_nc_u32_e32 v3, v26, v3
	s_delay_alu instid0(VALU_DEP_1) | instskip(NEXT) | instid1(VALU_DEP_1)
	v_mov_b32_dpp v26, v3 row_shr:2 row_mask:0xf bank_mask:0xf
	v_cndmask_b32_e64 v26, 0, v26, s1
	s_delay_alu instid0(VALU_DEP_1) | instskip(NEXT) | instid1(VALU_DEP_1)
	v_add_nc_u32_e32 v3, v3, v26
	v_mov_b32_dpp v26, v3 row_shr:4 row_mask:0xf bank_mask:0xf
	s_delay_alu instid0(VALU_DEP_1) | instskip(NEXT) | instid1(VALU_DEP_1)
	v_cndmask_b32_e64 v26, 0, v26, s2
	v_add_nc_u32_e32 v3, v3, v26
	s_delay_alu instid0(VALU_DEP_1) | instskip(NEXT) | instid1(VALU_DEP_1)
	v_mov_b32_dpp v26, v3 row_shr:8 row_mask:0xf bank_mask:0xf
	v_cndmask_b32_e64 v26, 0, v26, s3
	s_delay_alu instid0(VALU_DEP_1) | instskip(SKIP_3) | instid1(VALU_DEP_1)
	v_add_nc_u32_e32 v3, v3, v26
	ds_swizzle_b32 v26, v3 offset:swizzle(BROADCAST,32,15)
	s_waitcnt lgkmcnt(0)
	v_cndmask_b32_e64 v26, v26, 0, s4
	v_add_nc_u32_e32 v3, v3, v26
	s_and_saveexec_b32 s12, s11
	s_cbranch_execz .LBB168_38
; %bb.37:                               ;   in Loop: Header=BB168_2 Depth=1
	ds_store_b32 v17, v3
.LBB168_38:                             ;   in Loop: Header=BB168_2 Depth=1
	s_or_b32 exec_lo, exec_lo, s12
	s_waitcnt lgkmcnt(0)
	s_barrier
	buffer_gl0_inv
	s_and_saveexec_b32 s12, s5
	s_cbranch_execz .LBB168_40
; %bb.39:                               ;   in Loop: Header=BB168_2 Depth=1
	ds_load_b32 v26, v19
	s_waitcnt lgkmcnt(0)
	v_mov_b32_dpp v27, v26 row_shr:1 row_mask:0xf bank_mask:0xf
	s_delay_alu instid0(VALU_DEP_1) | instskip(NEXT) | instid1(VALU_DEP_1)
	v_cndmask_b32_e64 v27, v27, 0, s8
	v_add_nc_u32_e32 v26, v27, v26
	s_delay_alu instid0(VALU_DEP_1) | instskip(NEXT) | instid1(VALU_DEP_1)
	v_mov_b32_dpp v27, v26 row_shr:2 row_mask:0xf bank_mask:0xf
	v_cndmask_b32_e64 v27, 0, v27, s9
	s_delay_alu instid0(VALU_DEP_1) | instskip(NEXT) | instid1(VALU_DEP_1)
	v_add_nc_u32_e32 v26, v26, v27
	v_mov_b32_dpp v27, v26 row_shr:4 row_mask:0xf bank_mask:0xf
	s_delay_alu instid0(VALU_DEP_1) | instskip(NEXT) | instid1(VALU_DEP_1)
	v_cndmask_b32_e64 v27, 0, v27, s10
	v_add_nc_u32_e32 v26, v26, v27
	ds_store_b32 v19, v26
.LBB168_40:                             ;   in Loop: Header=BB168_2 Depth=1
	s_or_b32 exec_lo, exec_lo, s12
	v_mov_b32_e32 v26, 0
	s_waitcnt lgkmcnt(0)
	s_barrier
	buffer_gl0_inv
	s_and_saveexec_b32 s12, s6
	s_cbranch_execz .LBB168_42
; %bb.41:                               ;   in Loop: Header=BB168_2 Depth=1
	ds_load_b32 v26, v20
.LBB168_42:                             ;   in Loop: Header=BB168_2 Depth=1
	s_or_b32 exec_lo, exec_lo, s12
	s_waitcnt lgkmcnt(0)
	v_add_nc_u32_e32 v3, v26, v3
	ds_bpermute_b32 v3, v18, v3
	s_waitcnt lgkmcnt(0)
	v_cndmask_b32_e32 v3, v3, v26, vcc_lo
	s_delay_alu instid0(VALU_DEP_1) | instskip(NEXT) | instid1(VALU_DEP_1)
	v_cndmask_b32_e64 v3, v3, 0, s7
	v_add_nc_u32_e32 v4, v3, v4
	s_delay_alu instid0(VALU_DEP_1) | instskip(NEXT) | instid1(VALU_DEP_1)
	v_add_nc_u32_e32 v5, v4, v5
	v_add_nc_u32_e32 v6, v5, v6
	s_delay_alu instid0(VALU_DEP_1) | instskip(NEXT) | instid1(VALU_DEP_1)
	v_add_nc_u32_e32 v26, v6, v7
	;; [unrolled: 3-line block ×3, first 2 shown]
	v_add_nc_u32_e32 v1, v0, v2
	ds_store_2addr_b64 v15, v[3:4], v[5:6] offset0:4 offset1:5
	ds_store_2addr_b64 v16, v[26:27], v[0:1] offset0:2 offset1:3
	s_waitcnt lgkmcnt(0)
	s_barrier
	buffer_gl0_inv
	ds_load_b32 v0, v25
	v_lshlrev_b32_e32 v1, 3, v24
	s_waitcnt lgkmcnt(0)
	s_barrier
	buffer_gl0_inv
	v_lshl_add_u32 v0, v0, 3, v1
	ds_store_b64 v0, v[13:14]
	s_waitcnt lgkmcnt(0)
	s_barrier
	buffer_gl0_inv
	ds_load_b64 v[13:14], v21
	s_waitcnt lgkmcnt(0)
	s_barrier
	buffer_gl0_inv
	v_bfe_u32 v0, v13, 8, 1
	v_lshrrev_b32_e32 v1, 8, v13
	s_delay_alu instid0(VALU_DEP_2) | instskip(NEXT) | instid1(VALU_DEP_1)
	v_add_co_u32 v0, s12, v0, -1
	v_cndmask_b32_e64 v2, 0, 1, s12
	s_delay_alu instid0(VALU_DEP_3)
	v_lshlrev_b32_e32 v3, 30, v1
	v_lshlrev_b32_e32 v4, 29, v1
	;; [unrolled: 1-line block ×4, first 2 shown]
	v_cmp_ne_u32_e64 s12, 0, v2
	v_not_b32_e32 v2, v3
	v_cmp_gt_i32_e64 s13, 0, v3
	v_not_b32_e32 v3, v4
	v_lshlrev_b32_e32 v7, 26, v1
	v_xor_b32_e32 v0, s12, v0
	v_ashrrev_i32_e32 v2, 31, v2
	v_cmp_gt_i32_e64 s12, 0, v4
	v_not_b32_e32 v4, v5
	v_ashrrev_i32_e32 v3, 31, v3
	v_and_b32_e32 v0, exec_lo, v0
	v_xor_b32_e32 v2, s13, v2
	v_cmp_gt_i32_e64 s13, 0, v5
	v_not_b32_e32 v5, v6
	v_ashrrev_i32_e32 v4, 31, v4
	v_xor_b32_e32 v3, s12, v3
	v_and_b32_e32 v0, v0, v2
	v_lshlrev_b32_e32 v24, 25, v1
	v_cmp_gt_i32_e64 s12, 0, v6
	v_not_b32_e32 v2, v7
	v_ashrrev_i32_e32 v5, 31, v5
	v_xor_b32_e32 v4, s13, v4
	v_and_b32_e32 v0, v0, v3
	v_lshlrev_b32_e32 v1, 24, v1
	v_cmp_gt_i32_e64 s13, 0, v7
	v_not_b32_e32 v3, v24
	v_ashrrev_i32_e32 v2, 31, v2
	v_xor_b32_e32 v5, s12, v5
	v_and_b32_e32 v0, v0, v4
	v_cmp_gt_i32_e64 s12, 0, v24
	v_not_b32_e32 v4, v1
	v_ashrrev_i32_e32 v3, 31, v3
	v_xor_b32_e32 v2, s13, v2
	v_and_b32_e32 v0, v0, v5
	v_cmp_gt_i32_e64 s13, 0, v1
	v_ashrrev_i32_e32 v1, 31, v4
	v_xor_b32_e32 v3, s12, v3
	v_lshrrev_b32_e32 v6, 5, v13
	v_and_b32_e32 v0, v0, v2
	s_delay_alu instid0(VALU_DEP_4) | instskip(SKIP_1) | instid1(VALU_DEP_3)
	v_xor_b32_e32 v5, s13, v1
	v_dual_mov_b32 v1, s22 :: v_dual_mov_b32 v2, s23
	v_dual_mov_b32 v3, s16 :: v_dual_and_b32 v0, v0, v3
	v_mov_b32_e32 v4, s17
	ds_store_2addr_b64 v15, v[1:2], v[3:4] offset0:4 offset1:5
	ds_store_2addr_b64 v16, v[1:2], v[3:4] offset0:2 offset1:3
	v_and_b32_e32 v0, v0, v5
	v_and_b32_e32 v5, 0x7f8, v6
	s_waitcnt lgkmcnt(0)
	s_barrier
	buffer_gl0_inv
	v_mbcnt_lo_u32_b32 v24, v0, 0
	v_add_nc_u32_e32 v1, v5, v22
	v_cmp_ne_u32_e64 s13, 0, v0
	; wave barrier
	s_delay_alu instid0(VALU_DEP_3) | instskip(NEXT) | instid1(VALU_DEP_3)
	v_cmp_eq_u32_e64 s12, 0, v24
	v_lshl_add_u32 v25, v1, 2, 32
	s_delay_alu instid0(VALU_DEP_2) | instskip(NEXT) | instid1(SALU_CYCLE_1)
	s_and_b32 s13, s13, s12
	s_and_saveexec_b32 s12, s13
	s_cbranch_execz .LBB168_44
; %bb.43:                               ;   in Loop: Header=BB168_2 Depth=1
	v_bcnt_u32_b32 v0, v0, 0
	ds_store_b32 v25, v0
.LBB168_44:                             ;   in Loop: Header=BB168_2 Depth=1
	s_or_b32 exec_lo, exec_lo, s12
	; wave barrier
	s_waitcnt lgkmcnt(0)
	s_barrier
	buffer_gl0_inv
	ds_load_2addr_b64 v[4:7], v15 offset0:4 offset1:5
	ds_load_2addr_b64 v[0:3], v16 offset0:2 offset1:3
	s_waitcnt lgkmcnt(1)
	v_add_nc_u32_e32 v26, v5, v4
	s_delay_alu instid0(VALU_DEP_1) | instskip(SKIP_1) | instid1(VALU_DEP_1)
	v_add3_u32 v26, v26, v6, v7
	s_waitcnt lgkmcnt(0)
	v_add3_u32 v26, v26, v0, v1
	s_delay_alu instid0(VALU_DEP_1) | instskip(NEXT) | instid1(VALU_DEP_1)
	v_add3_u32 v3, v26, v2, v3
	v_mov_b32_dpp v26, v3 row_shr:1 row_mask:0xf bank_mask:0xf
	s_delay_alu instid0(VALU_DEP_1) | instskip(NEXT) | instid1(VALU_DEP_1)
	v_cndmask_b32_e64 v26, v26, 0, s0
	v_add_nc_u32_e32 v3, v26, v3
	s_delay_alu instid0(VALU_DEP_1) | instskip(NEXT) | instid1(VALU_DEP_1)
	v_mov_b32_dpp v26, v3 row_shr:2 row_mask:0xf bank_mask:0xf
	v_cndmask_b32_e64 v26, 0, v26, s1
	s_delay_alu instid0(VALU_DEP_1) | instskip(NEXT) | instid1(VALU_DEP_1)
	v_add_nc_u32_e32 v3, v3, v26
	v_mov_b32_dpp v26, v3 row_shr:4 row_mask:0xf bank_mask:0xf
	s_delay_alu instid0(VALU_DEP_1) | instskip(NEXT) | instid1(VALU_DEP_1)
	v_cndmask_b32_e64 v26, 0, v26, s2
	v_add_nc_u32_e32 v3, v3, v26
	s_delay_alu instid0(VALU_DEP_1) | instskip(NEXT) | instid1(VALU_DEP_1)
	v_mov_b32_dpp v26, v3 row_shr:8 row_mask:0xf bank_mask:0xf
	v_cndmask_b32_e64 v26, 0, v26, s3
	s_delay_alu instid0(VALU_DEP_1) | instskip(SKIP_3) | instid1(VALU_DEP_1)
	v_add_nc_u32_e32 v3, v3, v26
	ds_swizzle_b32 v26, v3 offset:swizzle(BROADCAST,32,15)
	s_waitcnt lgkmcnt(0)
	v_cndmask_b32_e64 v26, v26, 0, s4
	v_add_nc_u32_e32 v3, v3, v26
	s_and_saveexec_b32 s12, s11
	s_cbranch_execz .LBB168_46
; %bb.45:                               ;   in Loop: Header=BB168_2 Depth=1
	ds_store_b32 v17, v3
.LBB168_46:                             ;   in Loop: Header=BB168_2 Depth=1
	s_or_b32 exec_lo, exec_lo, s12
	s_waitcnt lgkmcnt(0)
	s_barrier
	buffer_gl0_inv
	s_and_saveexec_b32 s12, s5
	s_cbranch_execz .LBB168_48
; %bb.47:                               ;   in Loop: Header=BB168_2 Depth=1
	ds_load_b32 v26, v19
	s_waitcnt lgkmcnt(0)
	v_mov_b32_dpp v27, v26 row_shr:1 row_mask:0xf bank_mask:0xf
	s_delay_alu instid0(VALU_DEP_1) | instskip(NEXT) | instid1(VALU_DEP_1)
	v_cndmask_b32_e64 v27, v27, 0, s8
	v_add_nc_u32_e32 v26, v27, v26
	s_delay_alu instid0(VALU_DEP_1) | instskip(NEXT) | instid1(VALU_DEP_1)
	v_mov_b32_dpp v27, v26 row_shr:2 row_mask:0xf bank_mask:0xf
	v_cndmask_b32_e64 v27, 0, v27, s9
	s_delay_alu instid0(VALU_DEP_1) | instskip(NEXT) | instid1(VALU_DEP_1)
	v_add_nc_u32_e32 v26, v26, v27
	v_mov_b32_dpp v27, v26 row_shr:4 row_mask:0xf bank_mask:0xf
	s_delay_alu instid0(VALU_DEP_1) | instskip(NEXT) | instid1(VALU_DEP_1)
	v_cndmask_b32_e64 v27, 0, v27, s10
	v_add_nc_u32_e32 v26, v26, v27
	ds_store_b32 v19, v26
.LBB168_48:                             ;   in Loop: Header=BB168_2 Depth=1
	s_or_b32 exec_lo, exec_lo, s12
	v_mov_b32_e32 v26, 0
	s_waitcnt lgkmcnt(0)
	s_barrier
	buffer_gl0_inv
	s_and_saveexec_b32 s12, s6
	s_cbranch_execz .LBB168_50
; %bb.49:                               ;   in Loop: Header=BB168_2 Depth=1
	ds_load_b32 v26, v20
.LBB168_50:                             ;   in Loop: Header=BB168_2 Depth=1
	s_or_b32 exec_lo, exec_lo, s12
	s_waitcnt lgkmcnt(0)
	v_add_nc_u32_e32 v3, v26, v3
	ds_bpermute_b32 v3, v18, v3
	s_waitcnt lgkmcnt(0)
	v_cndmask_b32_e32 v3, v3, v26, vcc_lo
	s_delay_alu instid0(VALU_DEP_1) | instskip(NEXT) | instid1(VALU_DEP_1)
	v_cndmask_b32_e64 v3, v3, 0, s7
	v_add_nc_u32_e32 v4, v3, v4
	s_delay_alu instid0(VALU_DEP_1) | instskip(NEXT) | instid1(VALU_DEP_1)
	v_add_nc_u32_e32 v5, v4, v5
	v_add_nc_u32_e32 v6, v5, v6
	s_delay_alu instid0(VALU_DEP_1) | instskip(NEXT) | instid1(VALU_DEP_1)
	v_add_nc_u32_e32 v26, v6, v7
	;; [unrolled: 3-line block ×3, first 2 shown]
	v_add_nc_u32_e32 v1, v0, v2
	ds_store_2addr_b64 v15, v[3:4], v[5:6] offset0:4 offset1:5
	ds_store_2addr_b64 v16, v[26:27], v[0:1] offset0:2 offset1:3
	s_waitcnt lgkmcnt(0)
	s_barrier
	buffer_gl0_inv
	ds_load_b32 v0, v25
	v_lshlrev_b32_e32 v1, 3, v24
	s_waitcnt lgkmcnt(0)
	s_barrier
	buffer_gl0_inv
	v_lshl_add_u32 v0, v0, 3, v1
	ds_store_b64 v0, v[13:14]
	s_waitcnt lgkmcnt(0)
	s_barrier
	buffer_gl0_inv
	ds_load_b64 v[13:14], v21
	s_waitcnt lgkmcnt(0)
	s_barrier
	buffer_gl0_inv
	v_bfe_u32 v0, v13, 16, 1
	v_lshrrev_b32_e32 v1, 16, v13
	s_delay_alu instid0(VALU_DEP_2) | instskip(NEXT) | instid1(VALU_DEP_1)
	v_add_co_u32 v0, s12, v0, -1
	v_cndmask_b32_e64 v2, 0, 1, s12
	s_delay_alu instid0(VALU_DEP_3)
	v_lshlrev_b32_e32 v3, 30, v1
	v_lshlrev_b32_e32 v4, 29, v1
	;; [unrolled: 1-line block ×4, first 2 shown]
	v_cmp_ne_u32_e64 s12, 0, v2
	v_not_b32_e32 v2, v3
	v_cmp_gt_i32_e64 s13, 0, v3
	v_not_b32_e32 v3, v4
	v_lshlrev_b32_e32 v7, 26, v1
	v_xor_b32_e32 v0, s12, v0
	v_ashrrev_i32_e32 v2, 31, v2
	v_cmp_gt_i32_e64 s12, 0, v4
	v_not_b32_e32 v4, v5
	v_ashrrev_i32_e32 v3, 31, v3
	v_and_b32_e32 v0, exec_lo, v0
	v_xor_b32_e32 v2, s13, v2
	v_cmp_gt_i32_e64 s13, 0, v5
	v_not_b32_e32 v5, v6
	v_ashrrev_i32_e32 v4, 31, v4
	v_xor_b32_e32 v3, s12, v3
	v_and_b32_e32 v0, v0, v2
	v_lshlrev_b32_e32 v24, 25, v1
	v_cmp_gt_i32_e64 s12, 0, v6
	v_not_b32_e32 v2, v7
	v_ashrrev_i32_e32 v5, 31, v5
	v_xor_b32_e32 v4, s13, v4
	v_and_b32_e32 v0, v0, v3
	v_lshlrev_b32_e32 v1, 24, v1
	v_cmp_gt_i32_e64 s13, 0, v7
	v_not_b32_e32 v3, v24
	v_ashrrev_i32_e32 v2, 31, v2
	v_xor_b32_e32 v5, s12, v5
	v_and_b32_e32 v0, v0, v4
	v_cmp_gt_i32_e64 s12, 0, v24
	v_not_b32_e32 v4, v1
	v_ashrrev_i32_e32 v3, 31, v3
	v_xor_b32_e32 v2, s13, v2
	v_and_b32_e32 v0, v0, v5
	v_cmp_gt_i32_e64 s13, 0, v1
	v_ashrrev_i32_e32 v1, 31, v4
	v_xor_b32_e32 v3, s12, v3
	v_lshrrev_b32_e32 v6, 13, v13
	v_and_b32_e32 v0, v0, v2
	s_delay_alu instid0(VALU_DEP_4) | instskip(SKIP_1) | instid1(VALU_DEP_3)
	v_xor_b32_e32 v5, s13, v1
	v_dual_mov_b32 v1, s22 :: v_dual_mov_b32 v2, s23
	v_dual_mov_b32 v3, s16 :: v_dual_and_b32 v0, v0, v3
	v_mov_b32_e32 v4, s17
	ds_store_2addr_b64 v15, v[1:2], v[3:4] offset0:4 offset1:5
	ds_store_2addr_b64 v16, v[1:2], v[3:4] offset0:2 offset1:3
	v_and_b32_e32 v0, v0, v5
	v_and_b32_e32 v5, 0x7f8, v6
	s_waitcnt lgkmcnt(0)
	s_barrier
	buffer_gl0_inv
	v_mbcnt_lo_u32_b32 v24, v0, 0
	v_add_nc_u32_e32 v1, v5, v22
	v_cmp_ne_u32_e64 s13, 0, v0
	; wave barrier
	s_delay_alu instid0(VALU_DEP_3) | instskip(NEXT) | instid1(VALU_DEP_3)
	v_cmp_eq_u32_e64 s12, 0, v24
	v_lshl_add_u32 v25, v1, 2, 32
	s_delay_alu instid0(VALU_DEP_2) | instskip(NEXT) | instid1(SALU_CYCLE_1)
	s_and_b32 s13, s13, s12
	s_and_saveexec_b32 s12, s13
	s_cbranch_execz .LBB168_52
; %bb.51:                               ;   in Loop: Header=BB168_2 Depth=1
	v_bcnt_u32_b32 v0, v0, 0
	ds_store_b32 v25, v0
.LBB168_52:                             ;   in Loop: Header=BB168_2 Depth=1
	s_or_b32 exec_lo, exec_lo, s12
	; wave barrier
	s_waitcnt lgkmcnt(0)
	s_barrier
	buffer_gl0_inv
	ds_load_2addr_b64 v[4:7], v15 offset0:4 offset1:5
	ds_load_2addr_b64 v[0:3], v16 offset0:2 offset1:3
	s_waitcnt lgkmcnt(1)
	v_add_nc_u32_e32 v26, v5, v4
	s_delay_alu instid0(VALU_DEP_1) | instskip(SKIP_1) | instid1(VALU_DEP_1)
	v_add3_u32 v26, v26, v6, v7
	s_waitcnt lgkmcnt(0)
	v_add3_u32 v26, v26, v0, v1
	s_delay_alu instid0(VALU_DEP_1) | instskip(NEXT) | instid1(VALU_DEP_1)
	v_add3_u32 v3, v26, v2, v3
	v_mov_b32_dpp v26, v3 row_shr:1 row_mask:0xf bank_mask:0xf
	s_delay_alu instid0(VALU_DEP_1) | instskip(NEXT) | instid1(VALU_DEP_1)
	v_cndmask_b32_e64 v26, v26, 0, s0
	v_add_nc_u32_e32 v3, v26, v3
	s_delay_alu instid0(VALU_DEP_1) | instskip(NEXT) | instid1(VALU_DEP_1)
	v_mov_b32_dpp v26, v3 row_shr:2 row_mask:0xf bank_mask:0xf
	v_cndmask_b32_e64 v26, 0, v26, s1
	s_delay_alu instid0(VALU_DEP_1) | instskip(NEXT) | instid1(VALU_DEP_1)
	v_add_nc_u32_e32 v3, v3, v26
	v_mov_b32_dpp v26, v3 row_shr:4 row_mask:0xf bank_mask:0xf
	s_delay_alu instid0(VALU_DEP_1) | instskip(NEXT) | instid1(VALU_DEP_1)
	v_cndmask_b32_e64 v26, 0, v26, s2
	v_add_nc_u32_e32 v3, v3, v26
	s_delay_alu instid0(VALU_DEP_1) | instskip(NEXT) | instid1(VALU_DEP_1)
	v_mov_b32_dpp v26, v3 row_shr:8 row_mask:0xf bank_mask:0xf
	v_cndmask_b32_e64 v26, 0, v26, s3
	s_delay_alu instid0(VALU_DEP_1) | instskip(SKIP_3) | instid1(VALU_DEP_1)
	v_add_nc_u32_e32 v3, v3, v26
	ds_swizzle_b32 v26, v3 offset:swizzle(BROADCAST,32,15)
	s_waitcnt lgkmcnt(0)
	v_cndmask_b32_e64 v26, v26, 0, s4
	v_add_nc_u32_e32 v3, v3, v26
	s_and_saveexec_b32 s12, s11
	s_cbranch_execz .LBB168_54
; %bb.53:                               ;   in Loop: Header=BB168_2 Depth=1
	ds_store_b32 v17, v3
.LBB168_54:                             ;   in Loop: Header=BB168_2 Depth=1
	s_or_b32 exec_lo, exec_lo, s12
	s_waitcnt lgkmcnt(0)
	s_barrier
	buffer_gl0_inv
	s_and_saveexec_b32 s12, s5
	s_cbranch_execz .LBB168_56
; %bb.55:                               ;   in Loop: Header=BB168_2 Depth=1
	ds_load_b32 v26, v19
	s_waitcnt lgkmcnt(0)
	v_mov_b32_dpp v27, v26 row_shr:1 row_mask:0xf bank_mask:0xf
	s_delay_alu instid0(VALU_DEP_1) | instskip(NEXT) | instid1(VALU_DEP_1)
	v_cndmask_b32_e64 v27, v27, 0, s8
	v_add_nc_u32_e32 v26, v27, v26
	s_delay_alu instid0(VALU_DEP_1) | instskip(NEXT) | instid1(VALU_DEP_1)
	v_mov_b32_dpp v27, v26 row_shr:2 row_mask:0xf bank_mask:0xf
	v_cndmask_b32_e64 v27, 0, v27, s9
	s_delay_alu instid0(VALU_DEP_1) | instskip(NEXT) | instid1(VALU_DEP_1)
	v_add_nc_u32_e32 v26, v26, v27
	v_mov_b32_dpp v27, v26 row_shr:4 row_mask:0xf bank_mask:0xf
	s_delay_alu instid0(VALU_DEP_1) | instskip(NEXT) | instid1(VALU_DEP_1)
	v_cndmask_b32_e64 v27, 0, v27, s10
	v_add_nc_u32_e32 v26, v26, v27
	ds_store_b32 v19, v26
.LBB168_56:                             ;   in Loop: Header=BB168_2 Depth=1
	s_or_b32 exec_lo, exec_lo, s12
	v_mov_b32_e32 v26, 0
	s_waitcnt lgkmcnt(0)
	s_barrier
	buffer_gl0_inv
	s_and_saveexec_b32 s12, s6
	s_cbranch_execz .LBB168_58
; %bb.57:                               ;   in Loop: Header=BB168_2 Depth=1
	ds_load_b32 v26, v20
.LBB168_58:                             ;   in Loop: Header=BB168_2 Depth=1
	s_or_b32 exec_lo, exec_lo, s12
	s_waitcnt lgkmcnt(0)
	v_add_nc_u32_e32 v3, v26, v3
	ds_bpermute_b32 v3, v18, v3
	s_waitcnt lgkmcnt(0)
	v_cndmask_b32_e32 v3, v3, v26, vcc_lo
	s_delay_alu instid0(VALU_DEP_1) | instskip(NEXT) | instid1(VALU_DEP_1)
	v_cndmask_b32_e64 v3, v3, 0, s7
	v_add_nc_u32_e32 v4, v3, v4
	s_delay_alu instid0(VALU_DEP_1) | instskip(NEXT) | instid1(VALU_DEP_1)
	v_add_nc_u32_e32 v5, v4, v5
	v_add_nc_u32_e32 v6, v5, v6
	s_delay_alu instid0(VALU_DEP_1) | instskip(NEXT) | instid1(VALU_DEP_1)
	v_add_nc_u32_e32 v26, v6, v7
	;; [unrolled: 3-line block ×3, first 2 shown]
	v_add_nc_u32_e32 v1, v0, v2
	ds_store_2addr_b64 v15, v[3:4], v[5:6] offset0:4 offset1:5
	ds_store_2addr_b64 v16, v[26:27], v[0:1] offset0:2 offset1:3
	s_waitcnt lgkmcnt(0)
	s_barrier
	buffer_gl0_inv
	ds_load_b32 v0, v25
	v_lshlrev_b32_e32 v1, 3, v24
	s_waitcnt lgkmcnt(0)
	s_barrier
	buffer_gl0_inv
	v_lshl_add_u32 v0, v0, 3, v1
	ds_store_b64 v0, v[13:14]
	s_waitcnt lgkmcnt(0)
	s_barrier
	buffer_gl0_inv
	ds_load_b64 v[13:14], v21
	s_waitcnt lgkmcnt(0)
	s_barrier
	buffer_gl0_inv
	v_bfe_u32 v0, v13, 24, 1
	v_lshrrev_b32_e32 v5, 24, v13
	s_delay_alu instid0(VALU_DEP_2) | instskip(NEXT) | instid1(VALU_DEP_1)
	v_add_co_u32 v0, s12, v0, -1
	v_cndmask_b32_e64 v1, 0, 1, s12
	s_delay_alu instid0(VALU_DEP_3)
	v_lshlrev_b32_e32 v2, 30, v5
	v_lshlrev_b32_e32 v3, 29, v5
	;; [unrolled: 1-line block ×4, first 2 shown]
	v_cmp_ne_u32_e64 s12, 0, v1
	v_not_b32_e32 v1, v2
	v_cmp_gt_i32_e64 s13, 0, v2
	v_not_b32_e32 v2, v3
	v_lshlrev_b32_e32 v7, 26, v5
	v_xor_b32_e32 v0, s12, v0
	v_ashrrev_i32_e32 v1, 31, v1
	v_cmp_gt_i32_e64 s12, 0, v3
	v_not_b32_e32 v3, v4
	v_ashrrev_i32_e32 v2, 31, v2
	v_and_b32_e32 v0, exec_lo, v0
	v_xor_b32_e32 v1, s13, v1
	v_cmp_gt_i32_e64 s13, 0, v4
	v_not_b32_e32 v4, v6
	v_ashrrev_i32_e32 v3, 31, v3
	v_xor_b32_e32 v2, s12, v2
	v_and_b32_e32 v0, v0, v1
	v_lshlrev_b32_e32 v24, 25, v5
	v_cmp_gt_i32_e64 s12, 0, v6
	v_not_b32_e32 v1, v7
	v_ashrrev_i32_e32 v4, 31, v4
	v_xor_b32_e32 v3, s13, v3
	v_and_b32_e32 v0, v0, v2
	v_cmp_gt_i32_e64 s13, 0, v7
	v_not_b32_e32 v2, v24
	v_ashrrev_i32_e32 v1, 31, v1
	v_xor_b32_e32 v4, s12, v4
	v_and_b32_e32 v0, v0, v3
	v_not_b32_e32 v3, v13
	v_cmp_gt_i32_e64 s12, 0, v24
	v_ashrrev_i32_e32 v2, 31, v2
	v_xor_b32_e32 v1, s13, v1
	v_and_b32_e32 v0, v0, v4
	v_cmp_gt_i32_e64 s13, 0, v13
	v_ashrrev_i32_e32 v3, 31, v3
	v_xor_b32_e32 v2, s12, v2
	s_delay_alu instid0(VALU_DEP_4) | instskip(NEXT) | instid1(VALU_DEP_3)
	v_and_b32_e32 v0, v0, v1
	v_xor_b32_e32 v3, s13, v3
	s_delay_alu instid0(VALU_DEP_2) | instskip(SKIP_1) | instid1(VALU_DEP_2)
	v_dual_mov_b32 v1, s22 :: v_dual_and_b32 v0, v0, v2
	v_mov_b32_e32 v2, s23
	v_dual_mov_b32 v3, s16 :: v_dual_and_b32 v0, v0, v3
	v_mov_b32_e32 v4, s17
	ds_store_2addr_b64 v15, v[1:2], v[3:4] offset0:4 offset1:5
	ds_store_2addr_b64 v16, v[1:2], v[3:4] offset0:2 offset1:3
	v_mbcnt_lo_u32_b32 v24, v0, 0
	v_lshl_add_u32 v1, v5, 3, v22
	v_cmp_ne_u32_e64 s13, 0, v0
	s_waitcnt lgkmcnt(0)
	s_barrier
	v_cmp_eq_u32_e64 s12, 0, v24
	v_lshl_add_u32 v25, v1, 2, 32
	buffer_gl0_inv
	; wave barrier
	s_and_b32 s13, s13, s12
	s_delay_alu instid0(SALU_CYCLE_1)
	s_and_saveexec_b32 s12, s13
	s_cbranch_execz .LBB168_60
; %bb.59:                               ;   in Loop: Header=BB168_2 Depth=1
	v_bcnt_u32_b32 v0, v0, 0
	ds_store_b32 v25, v0
.LBB168_60:                             ;   in Loop: Header=BB168_2 Depth=1
	s_or_b32 exec_lo, exec_lo, s12
	; wave barrier
	s_waitcnt lgkmcnt(0)
	s_barrier
	buffer_gl0_inv
	ds_load_2addr_b64 v[4:7], v15 offset0:4 offset1:5
	ds_load_2addr_b64 v[0:3], v16 offset0:2 offset1:3
	s_waitcnt lgkmcnt(1)
	v_add_nc_u32_e32 v26, v5, v4
	s_delay_alu instid0(VALU_DEP_1) | instskip(SKIP_1) | instid1(VALU_DEP_1)
	v_add3_u32 v26, v26, v6, v7
	s_waitcnt lgkmcnt(0)
	v_add3_u32 v26, v26, v0, v1
	s_delay_alu instid0(VALU_DEP_1) | instskip(NEXT) | instid1(VALU_DEP_1)
	v_add3_u32 v3, v26, v2, v3
	v_mov_b32_dpp v26, v3 row_shr:1 row_mask:0xf bank_mask:0xf
	s_delay_alu instid0(VALU_DEP_1) | instskip(NEXT) | instid1(VALU_DEP_1)
	v_cndmask_b32_e64 v26, v26, 0, s0
	v_add_nc_u32_e32 v3, v26, v3
	s_delay_alu instid0(VALU_DEP_1) | instskip(NEXT) | instid1(VALU_DEP_1)
	v_mov_b32_dpp v26, v3 row_shr:2 row_mask:0xf bank_mask:0xf
	v_cndmask_b32_e64 v26, 0, v26, s1
	s_delay_alu instid0(VALU_DEP_1) | instskip(NEXT) | instid1(VALU_DEP_1)
	v_add_nc_u32_e32 v3, v3, v26
	v_mov_b32_dpp v26, v3 row_shr:4 row_mask:0xf bank_mask:0xf
	s_delay_alu instid0(VALU_DEP_1) | instskip(NEXT) | instid1(VALU_DEP_1)
	v_cndmask_b32_e64 v26, 0, v26, s2
	v_add_nc_u32_e32 v3, v3, v26
	s_delay_alu instid0(VALU_DEP_1) | instskip(NEXT) | instid1(VALU_DEP_1)
	v_mov_b32_dpp v26, v3 row_shr:8 row_mask:0xf bank_mask:0xf
	v_cndmask_b32_e64 v26, 0, v26, s3
	s_delay_alu instid0(VALU_DEP_1) | instskip(SKIP_3) | instid1(VALU_DEP_1)
	v_add_nc_u32_e32 v3, v3, v26
	ds_swizzle_b32 v26, v3 offset:swizzle(BROADCAST,32,15)
	s_waitcnt lgkmcnt(0)
	v_cndmask_b32_e64 v26, v26, 0, s4
	v_add_nc_u32_e32 v3, v3, v26
	s_and_saveexec_b32 s12, s11
	s_cbranch_execz .LBB168_62
; %bb.61:                               ;   in Loop: Header=BB168_2 Depth=1
	ds_store_b32 v17, v3
.LBB168_62:                             ;   in Loop: Header=BB168_2 Depth=1
	s_or_b32 exec_lo, exec_lo, s12
	s_waitcnt lgkmcnt(0)
	s_barrier
	buffer_gl0_inv
	s_and_saveexec_b32 s12, s5
	s_cbranch_execz .LBB168_64
; %bb.63:                               ;   in Loop: Header=BB168_2 Depth=1
	ds_load_b32 v26, v19
	s_waitcnt lgkmcnt(0)
	v_mov_b32_dpp v27, v26 row_shr:1 row_mask:0xf bank_mask:0xf
	s_delay_alu instid0(VALU_DEP_1) | instskip(NEXT) | instid1(VALU_DEP_1)
	v_cndmask_b32_e64 v27, v27, 0, s8
	v_add_nc_u32_e32 v26, v27, v26
	s_delay_alu instid0(VALU_DEP_1) | instskip(NEXT) | instid1(VALU_DEP_1)
	v_mov_b32_dpp v27, v26 row_shr:2 row_mask:0xf bank_mask:0xf
	v_cndmask_b32_e64 v27, 0, v27, s9
	s_delay_alu instid0(VALU_DEP_1) | instskip(NEXT) | instid1(VALU_DEP_1)
	v_add_nc_u32_e32 v26, v26, v27
	v_mov_b32_dpp v27, v26 row_shr:4 row_mask:0xf bank_mask:0xf
	s_delay_alu instid0(VALU_DEP_1) | instskip(NEXT) | instid1(VALU_DEP_1)
	v_cndmask_b32_e64 v27, 0, v27, s10
	v_add_nc_u32_e32 v26, v26, v27
	ds_store_b32 v19, v26
.LBB168_64:                             ;   in Loop: Header=BB168_2 Depth=1
	s_or_b32 exec_lo, exec_lo, s12
	v_mov_b32_e32 v26, 0
	s_waitcnt lgkmcnt(0)
	s_barrier
	buffer_gl0_inv
	s_and_saveexec_b32 s12, s6
	s_cbranch_execz .LBB168_1
; %bb.65:                               ;   in Loop: Header=BB168_2 Depth=1
	ds_load_b32 v26, v20
	s_branch .LBB168_1
.LBB168_66:
	s_waitcnt lgkmcnt(0)
	v_xor_b32_e32 v1, 0x80000000, v14
	v_xor_b32_e32 v0, 0x80000000, v13
	v_lshlrev_b32_e32 v2, 3, v8
	s_add_u32 s0, s18, s20
	s_addc_u32 s1, s19, s21
	global_store_b64 v2, v[0:1], s[0:1]
	s_nop 0
	s_sendmsg sendmsg(MSG_DEALLOC_VGPRS)
	s_endpgm
	.section	.rodata,"a",@progbits
	.p2align	6, 0x0
	.amdhsa_kernel _Z16sort_keys_kernelI22helper_blocked_blockedN15benchmark_utils11custom_typeIiiEELj256ELj1ELj10EEvPKT0_PS4_
		.amdhsa_group_segment_fixed_size 8224
		.amdhsa_private_segment_fixed_size 0
		.amdhsa_kernarg_size 272
		.amdhsa_user_sgpr_count 15
		.amdhsa_user_sgpr_dispatch_ptr 0
		.amdhsa_user_sgpr_queue_ptr 0
		.amdhsa_user_sgpr_kernarg_segment_ptr 1
		.amdhsa_user_sgpr_dispatch_id 0
		.amdhsa_user_sgpr_private_segment_size 0
		.amdhsa_wavefront_size32 1
		.amdhsa_uses_dynamic_stack 0
		.amdhsa_enable_private_segment 0
		.amdhsa_system_sgpr_workgroup_id_x 1
		.amdhsa_system_sgpr_workgroup_id_y 0
		.amdhsa_system_sgpr_workgroup_id_z 0
		.amdhsa_system_sgpr_workgroup_info 0
		.amdhsa_system_vgpr_workitem_id 2
		.amdhsa_next_free_vgpr 28
		.amdhsa_next_free_sgpr 24
		.amdhsa_reserve_vcc 1
		.amdhsa_float_round_mode_32 0
		.amdhsa_float_round_mode_16_64 0
		.amdhsa_float_denorm_mode_32 3
		.amdhsa_float_denorm_mode_16_64 3
		.amdhsa_dx10_clamp 1
		.amdhsa_ieee_mode 1
		.amdhsa_fp16_overflow 0
		.amdhsa_workgroup_processor_mode 1
		.amdhsa_memory_ordered 1
		.amdhsa_forward_progress 0
		.amdhsa_shared_vgpr_count 0
		.amdhsa_exception_fp_ieee_invalid_op 0
		.amdhsa_exception_fp_denorm_src 0
		.amdhsa_exception_fp_ieee_div_zero 0
		.amdhsa_exception_fp_ieee_overflow 0
		.amdhsa_exception_fp_ieee_underflow 0
		.amdhsa_exception_fp_ieee_inexact 0
		.amdhsa_exception_int_div_zero 0
	.end_amdhsa_kernel
	.section	.text._Z16sort_keys_kernelI22helper_blocked_blockedN15benchmark_utils11custom_typeIiiEELj256ELj1ELj10EEvPKT0_PS4_,"axG",@progbits,_Z16sort_keys_kernelI22helper_blocked_blockedN15benchmark_utils11custom_typeIiiEELj256ELj1ELj10EEvPKT0_PS4_,comdat
.Lfunc_end168:
	.size	_Z16sort_keys_kernelI22helper_blocked_blockedN15benchmark_utils11custom_typeIiiEELj256ELj1ELj10EEvPKT0_PS4_, .Lfunc_end168-_Z16sort_keys_kernelI22helper_blocked_blockedN15benchmark_utils11custom_typeIiiEELj256ELj1ELj10EEvPKT0_PS4_
                                        ; -- End function
	.section	.AMDGPU.csdata,"",@progbits
; Kernel info:
; codeLenInByte = 8132
; NumSgprs: 26
; NumVgprs: 28
; ScratchSize: 0
; MemoryBound: 0
; FloatMode: 240
; IeeeMode: 1
; LDSByteSize: 8224 bytes/workgroup (compile time only)
; SGPRBlocks: 3
; VGPRBlocks: 3
; NumSGPRsForWavesPerEU: 26
; NumVGPRsForWavesPerEU: 28
; Occupancy: 16
; WaveLimiterHint : 0
; COMPUTE_PGM_RSRC2:SCRATCH_EN: 0
; COMPUTE_PGM_RSRC2:USER_SGPR: 15
; COMPUTE_PGM_RSRC2:TRAP_HANDLER: 0
; COMPUTE_PGM_RSRC2:TGID_X_EN: 1
; COMPUTE_PGM_RSRC2:TGID_Y_EN: 0
; COMPUTE_PGM_RSRC2:TGID_Z_EN: 0
; COMPUTE_PGM_RSRC2:TIDIG_COMP_CNT: 2
	.section	.text._Z17sort_pairs_kernelI22helper_blocked_blockedN15benchmark_utils11custom_typeIiiEELj256ELj1ELj10EEvPKT0_PS4_,"axG",@progbits,_Z17sort_pairs_kernelI22helper_blocked_blockedN15benchmark_utils11custom_typeIiiEELj256ELj1ELj10EEvPKT0_PS4_,comdat
	.protected	_Z17sort_pairs_kernelI22helper_blocked_blockedN15benchmark_utils11custom_typeIiiEELj256ELj1ELj10EEvPKT0_PS4_ ; -- Begin function _Z17sort_pairs_kernelI22helper_blocked_blockedN15benchmark_utils11custom_typeIiiEELj256ELj1ELj10EEvPKT0_PS4_
	.globl	_Z17sort_pairs_kernelI22helper_blocked_blockedN15benchmark_utils11custom_typeIiiEELj256ELj1ELj10EEvPKT0_PS4_
	.p2align	8
	.type	_Z17sort_pairs_kernelI22helper_blocked_blockedN15benchmark_utils11custom_typeIiiEELj256ELj1ELj10EEvPKT0_PS4_,@function
_Z17sort_pairs_kernelI22helper_blocked_blockedN15benchmark_utils11custom_typeIiiEELj256ELj1ELj10EEvPKT0_PS4_: ; @_Z17sort_pairs_kernelI22helper_blocked_blockedN15benchmark_utils11custom_typeIiiEELj256ELj1ELj10EEvPKT0_PS4_
; %bb.0:
	s_clause 0x1
	s_load_b128 s[16:19], s[0:1], 0x0
	s_load_b32 s11, s[0:1], 0x1c
	s_mov_b32 s23, 0
	s_lshl_b32 s22, s15, 8
	v_mbcnt_lo_u32_b32 v5, -1, 0
	s_lshl_b64 s[20:21], s[22:23], 3
	v_bfe_u32 v3, v0, 10, 10
	s_mov_b32 s22, s23
	s_mov_b32 s15, 10
	v_and_b32_e32 v6, 16, v5
	v_add_nc_u32_e32 v7, -1, v5
	v_dual_mov_b32 v11, s22 :: v_dual_and_b32 v4, 15, v5
	v_dual_mov_b32 v12, s23 :: v_dual_and_b32 v13, 7, v5
	s_delay_alu instid0(VALU_DEP_4) | instskip(NEXT) | instid1(VALU_DEP_4)
	v_cmp_eq_u32_e64 s4, 0, v6
	v_cmp_gt_i32_e64 s7, 0, v7
	s_delay_alu instid0(VALU_DEP_4)
	v_cmp_lt_u32_e64 s2, 3, v4
	v_cmp_lt_u32_e64 s3, 7, v4
	v_cmp_eq_u32_e64 s8, 0, v13
	s_waitcnt lgkmcnt(0)
	s_add_u32 s0, s16, s20
	s_addc_u32 s1, s17, s21
	s_mov_b32 s16, s23
	s_mov_b32 s17, s23
	v_dual_mov_b32 v9, s16 :: v_dual_and_b32 v8, 0x3ff, v0
	v_mov_b32_e32 v10, s17
	v_bfe_u32 v0, v0, 20, 10
	s_lshr_b32 s12, s11, 16
	s_delay_alu instid0(VALU_DEP_3)
	v_lshlrev_b32_e32 v1, 3, v8
	v_lshlrev_b32_e32 v19, 5, v8
	v_and_b32_e32 v6, 0xe0, v8
	v_mad_u32_u24 v0, v0, s12, v3
	v_lshrrev_b32_e32 v14, 3, v8
	global_load_b64 v[1:2], v1, s[0:1]
	s_and_b32 s11, s11, 0xffff
	v_cmp_eq_u32_e64 s0, 0, v4
	v_cmp_lt_u32_e64 s1, 1, v4
	v_mad_u64_u32 v[3:4], null, v0, s11, v[8:9]
	v_cndmask_b32_e64 v7, v7, v5, s7
	v_cmp_lt_u32_e64 s9, 1, v13
	v_cmp_lt_u32_e64 s10, 3, v13
	v_lshlrev_b32_e32 v17, 2, v8
	v_or_b32_e32 v13, 31, v6
	v_and_b32_e32 v21, 28, v14
	v_or_b32_e32 v0, v5, v6
	v_mad_i32_i24 v23, 0xffffffe4, v8, v19
	v_cmp_eq_u32_e32 vcc_lo, 0, v5
	v_cmp_gt_u32_e64 s5, 8, v8
	v_cmp_lt_u32_e64 s6, 31, v8
	v_cmp_eq_u32_e64 s7, 0, v8
	v_add_nc_u32_e32 v20, 32, v19
	v_lshlrev_b32_e32 v22, 2, v7
	v_cmp_eq_u32_e64 s11, v13, v8
	v_add_nc_u32_e32 v24, -4, v21
	v_lshlrev_b32_e32 v25, 3, v0
	v_lshrrev_b32_e32 v26, 5, v3
	v_add_nc_u32_e32 v27, v23, v17
	s_waitcnt vmcnt(0)
	v_add_nc_u32_e32 v13, 1, v1
	v_add_nc_u32_e32 v14, 1, v2
	v_xor_b32_e32 v15, 0x80000000, v1
	v_xor_b32_e32 v16, 0x80000000, v2
	s_branch .LBB169_2
.LBB169_1:                              ;   in Loop: Header=BB169_2 Depth=1
	s_or_b32 exec_lo, exec_lo, s12
	s_waitcnt lgkmcnt(0)
	v_add_nc_u32_e32 v3, v28, v3
	s_add_i32 s15, s15, -1
	s_delay_alu instid0(SALU_CYCLE_1) | instskip(SKIP_3) | instid1(VALU_DEP_1)
	s_cmp_lg_u32 s15, 0
	ds_bpermute_b32 v3, v22, v3
	s_waitcnt lgkmcnt(0)
	v_cndmask_b32_e32 v3, v3, v28, vcc_lo
	v_cndmask_b32_e64 v3, v3, 0, s7
	s_delay_alu instid0(VALU_DEP_1) | instskip(NEXT) | instid1(VALU_DEP_1)
	v_add_nc_u32_e32 v4, v3, v4
	v_add_nc_u32_e32 v5, v4, v5
	s_delay_alu instid0(VALU_DEP_1) | instskip(NEXT) | instid1(VALU_DEP_1)
	v_add_nc_u32_e32 v6, v5, v6
	v_add_nc_u32_e32 v28, v6, v7
	;; [unrolled: 3-line block ×3, first 2 shown]
	s_delay_alu instid0(VALU_DEP_1)
	v_add_nc_u32_e32 v1, v0, v2
	ds_store_2addr_b64 v19, v[3:4], v[5:6] offset0:4 offset1:5
	ds_store_2addr_b64 v20, v[28:29], v[0:1] offset0:2 offset1:3
	s_waitcnt lgkmcnt(0)
	s_barrier
	buffer_gl0_inv
	ds_load_b32 v0, v16
	v_lshlrev_b32_e32 v1, 3, v15
	s_waitcnt lgkmcnt(0)
	s_barrier
	buffer_gl0_inv
	v_lshl_add_u32 v0, v0, 3, v1
	ds_store_b64 v0, v[13:14]
	s_waitcnt lgkmcnt(0)
	s_barrier
	buffer_gl0_inv
	ds_load_b64 v[15:16], v27
	s_waitcnt lgkmcnt(0)
	s_barrier
	buffer_gl0_inv
	ds_store_b64 v0, v[17:18]
	s_waitcnt lgkmcnt(0)
	s_barrier
	buffer_gl0_inv
	ds_load_b64 v[13:14], v27
	s_cbranch_scc0 .LBB169_66
.LBB169_2:                              ; =>This Inner Loop Header: Depth=1
	s_delay_alu instid0(VALU_DEP_1)
	v_and_b32_e32 v0, 1, v16
	v_lshlrev_b32_e32 v1, 30, v16
	v_lshlrev_b32_e32 v2, 29, v16
	;; [unrolled: 1-line block ×4, first 2 shown]
	v_add_co_u32 v0, s12, v0, -1
	s_delay_alu instid0(VALU_DEP_1)
	v_cndmask_b32_e64 v3, 0, 1, s12
	v_not_b32_e32 v7, v1
	v_cmp_gt_i32_e64 s13, 0, v1
	v_not_b32_e32 v1, v2
	v_lshlrev_b32_e32 v6, 26, v16
	v_cmp_ne_u32_e64 s12, 0, v3
	v_ashrrev_i32_e32 v7, 31, v7
	v_lshlrev_b32_e32 v3, 25, v16
	v_ashrrev_i32_e32 v1, 31, v1
	v_cmp_gt_i32_e64 s14, 0, v5
	v_xor_b32_e32 v0, s12, v0
	v_cmp_gt_i32_e64 s12, 0, v2
	v_not_b32_e32 v2, v4
	v_xor_b32_e32 v7, s13, v7
	v_cmp_gt_i32_e64 s13, 0, v4
	v_and_b32_e32 v0, exec_lo, v0
	v_xor_b32_e32 v1, s12, v1
	v_ashrrev_i32_e32 v2, 31, v2
	v_not_b32_e32 v4, v5
	v_not_b32_e32 v5, v6
	v_and_b32_e32 v0, v0, v7
	v_cmp_gt_i32_e64 s12, 0, v6
	v_xor_b32_e32 v2, s13, v2
	v_not_b32_e32 v6, v3
	ds_store_2addr_b64 v19, v[11:12], v[9:10] offset0:4 offset1:5
	ds_store_2addr_b64 v20, v[11:12], v[9:10] offset0:2 offset1:3
	v_and_b32_e32 v0, v0, v1
	v_ashrrev_i32_e32 v1, 31, v4
	v_ashrrev_i32_e32 v4, 31, v5
	v_lshlrev_b32_e32 v5, 24, v16
	s_waitcnt lgkmcnt(0)
	v_and_b32_e32 v0, v0, v2
	v_xor_b32_e32 v1, s14, v1
	v_xor_b32_e32 v2, s12, v4
	v_cmp_gt_i32_e64 s12, 0, v3
	v_not_b32_e32 v3, v5
	v_ashrrev_i32_e32 v4, 31, v6
	v_and_b32_e32 v0, v0, v1
	v_cmp_gt_i32_e64 s13, 0, v5
	s_barrier
	v_ashrrev_i32_e32 v1, 31, v3
	v_xor_b32_e32 v3, s12, v4
	v_and_b32_e32 v0, v0, v2
	buffer_gl0_inv
	v_xor_b32_e32 v1, s13, v1
	; wave barrier
	v_and_b32_e32 v0, v0, v3
	s_delay_alu instid0(VALU_DEP_1) | instskip(SKIP_1) | instid1(VALU_DEP_2)
	v_and_b32_e32 v0, v0, v1
	v_and_b32_e32 v1, 0xff, v16
	v_mbcnt_lo_u32_b32 v17, v0, 0
	s_delay_alu instid0(VALU_DEP_2) | instskip(SKIP_1) | instid1(VALU_DEP_3)
	v_lshl_add_u32 v1, v1, 3, v26
	v_cmp_ne_u32_e64 s13, 0, v0
	v_cmp_eq_u32_e64 s12, 0, v17
	s_delay_alu instid0(VALU_DEP_3) | instskip(NEXT) | instid1(VALU_DEP_2)
	v_lshl_add_u32 v18, v1, 2, 32
	s_and_b32 s13, s13, s12
	s_delay_alu instid0(SALU_CYCLE_1)
	s_and_saveexec_b32 s12, s13
	s_cbranch_execz .LBB169_4
; %bb.3:                                ;   in Loop: Header=BB169_2 Depth=1
	v_bcnt_u32_b32 v0, v0, 0
	ds_store_b32 v18, v0
.LBB169_4:                              ;   in Loop: Header=BB169_2 Depth=1
	s_or_b32 exec_lo, exec_lo, s12
	; wave barrier
	s_waitcnt lgkmcnt(0)
	s_barrier
	buffer_gl0_inv
	ds_load_2addr_b64 v[4:7], v19 offset0:4 offset1:5
	ds_load_2addr_b64 v[0:3], v20 offset0:2 offset1:3
	s_waitcnt lgkmcnt(1)
	v_add_nc_u32_e32 v28, v5, v4
	s_delay_alu instid0(VALU_DEP_1) | instskip(SKIP_1) | instid1(VALU_DEP_1)
	v_add3_u32 v28, v28, v6, v7
	s_waitcnt lgkmcnt(0)
	v_add3_u32 v28, v28, v0, v1
	s_delay_alu instid0(VALU_DEP_1) | instskip(NEXT) | instid1(VALU_DEP_1)
	v_add3_u32 v3, v28, v2, v3
	v_mov_b32_dpp v28, v3 row_shr:1 row_mask:0xf bank_mask:0xf
	s_delay_alu instid0(VALU_DEP_1) | instskip(NEXT) | instid1(VALU_DEP_1)
	v_cndmask_b32_e64 v28, v28, 0, s0
	v_add_nc_u32_e32 v3, v28, v3
	s_delay_alu instid0(VALU_DEP_1) | instskip(NEXT) | instid1(VALU_DEP_1)
	v_mov_b32_dpp v28, v3 row_shr:2 row_mask:0xf bank_mask:0xf
	v_cndmask_b32_e64 v28, 0, v28, s1
	s_delay_alu instid0(VALU_DEP_1) | instskip(NEXT) | instid1(VALU_DEP_1)
	v_add_nc_u32_e32 v3, v3, v28
	v_mov_b32_dpp v28, v3 row_shr:4 row_mask:0xf bank_mask:0xf
	s_delay_alu instid0(VALU_DEP_1) | instskip(NEXT) | instid1(VALU_DEP_1)
	v_cndmask_b32_e64 v28, 0, v28, s2
	v_add_nc_u32_e32 v3, v3, v28
	s_delay_alu instid0(VALU_DEP_1) | instskip(NEXT) | instid1(VALU_DEP_1)
	v_mov_b32_dpp v28, v3 row_shr:8 row_mask:0xf bank_mask:0xf
	v_cndmask_b32_e64 v28, 0, v28, s3
	s_delay_alu instid0(VALU_DEP_1) | instskip(SKIP_3) | instid1(VALU_DEP_1)
	v_add_nc_u32_e32 v3, v3, v28
	ds_swizzle_b32 v28, v3 offset:swizzle(BROADCAST,32,15)
	s_waitcnt lgkmcnt(0)
	v_cndmask_b32_e64 v28, v28, 0, s4
	v_add_nc_u32_e32 v3, v3, v28
	s_and_saveexec_b32 s12, s11
	s_cbranch_execz .LBB169_6
; %bb.5:                                ;   in Loop: Header=BB169_2 Depth=1
	ds_store_b32 v21, v3
.LBB169_6:                              ;   in Loop: Header=BB169_2 Depth=1
	s_or_b32 exec_lo, exec_lo, s12
	s_waitcnt lgkmcnt(0)
	s_barrier
	buffer_gl0_inv
	s_and_saveexec_b32 s12, s5
	s_cbranch_execz .LBB169_8
; %bb.7:                                ;   in Loop: Header=BB169_2 Depth=1
	ds_load_b32 v28, v23
	s_waitcnt lgkmcnt(0)
	v_mov_b32_dpp v29, v28 row_shr:1 row_mask:0xf bank_mask:0xf
	s_delay_alu instid0(VALU_DEP_1) | instskip(NEXT) | instid1(VALU_DEP_1)
	v_cndmask_b32_e64 v29, v29, 0, s8
	v_add_nc_u32_e32 v28, v29, v28
	s_delay_alu instid0(VALU_DEP_1) | instskip(NEXT) | instid1(VALU_DEP_1)
	v_mov_b32_dpp v29, v28 row_shr:2 row_mask:0xf bank_mask:0xf
	v_cndmask_b32_e64 v29, 0, v29, s9
	s_delay_alu instid0(VALU_DEP_1) | instskip(NEXT) | instid1(VALU_DEP_1)
	v_add_nc_u32_e32 v28, v28, v29
	v_mov_b32_dpp v29, v28 row_shr:4 row_mask:0xf bank_mask:0xf
	s_delay_alu instid0(VALU_DEP_1) | instskip(NEXT) | instid1(VALU_DEP_1)
	v_cndmask_b32_e64 v29, 0, v29, s10
	v_add_nc_u32_e32 v28, v28, v29
	ds_store_b32 v23, v28
.LBB169_8:                              ;   in Loop: Header=BB169_2 Depth=1
	s_or_b32 exec_lo, exec_lo, s12
	v_mov_b32_e32 v28, 0
	s_waitcnt lgkmcnt(0)
	s_barrier
	buffer_gl0_inv
	s_and_saveexec_b32 s12, s6
	s_cbranch_execz .LBB169_10
; %bb.9:                                ;   in Loop: Header=BB169_2 Depth=1
	ds_load_b32 v28, v24
.LBB169_10:                             ;   in Loop: Header=BB169_2 Depth=1
	s_or_b32 exec_lo, exec_lo, s12
	s_waitcnt lgkmcnt(0)
	v_add_nc_u32_e32 v3, v28, v3
	ds_bpermute_b32 v3, v22, v3
	s_waitcnt lgkmcnt(0)
	v_cndmask_b32_e32 v3, v3, v28, vcc_lo
	s_delay_alu instid0(VALU_DEP_1) | instskip(NEXT) | instid1(VALU_DEP_1)
	v_cndmask_b32_e64 v3, v3, 0, s7
	v_add_nc_u32_e32 v4, v3, v4
	s_delay_alu instid0(VALU_DEP_1) | instskip(NEXT) | instid1(VALU_DEP_1)
	v_add_nc_u32_e32 v5, v4, v5
	v_add_nc_u32_e32 v6, v5, v6
	s_delay_alu instid0(VALU_DEP_1) | instskip(NEXT) | instid1(VALU_DEP_1)
	v_add_nc_u32_e32 v28, v6, v7
	;; [unrolled: 3-line block ×3, first 2 shown]
	v_add_nc_u32_e32 v1, v0, v2
	ds_store_2addr_b64 v19, v[3:4], v[5:6] offset0:4 offset1:5
	ds_store_2addr_b64 v20, v[28:29], v[0:1] offset0:2 offset1:3
	s_waitcnt lgkmcnt(0)
	s_barrier
	buffer_gl0_inv
	ds_load_b32 v0, v18
	v_lshlrev_b32_e32 v1, 3, v17
	s_waitcnt lgkmcnt(0)
	s_barrier
	buffer_gl0_inv
	v_lshl_add_u32 v0, v0, 3, v1
	ds_store_b64 v0, v[15:16]
	s_waitcnt lgkmcnt(0)
	s_barrier
	buffer_gl0_inv
	ds_load_b64 v[17:18], v25
	s_waitcnt lgkmcnt(0)
	s_barrier
	buffer_gl0_inv
	ds_store_b64 v0, v[13:14]
	s_waitcnt lgkmcnt(0)
	s_barrier
	buffer_gl0_inv
	v_bfe_u32 v1, v18, 8, 1
	v_lshrrev_b32_e32 v2, 8, v18
	s_delay_alu instid0(VALU_DEP_2) | instskip(NEXT) | instid1(VALU_DEP_1)
	v_add_co_u32 v1, s12, v1, -1
	v_cndmask_b32_e64 v3, 0, 1, s12
	s_delay_alu instid0(VALU_DEP_3)
	v_lshlrev_b32_e32 v4, 30, v2
	v_lshlrev_b32_e32 v5, 29, v2
	v_lshlrev_b32_e32 v6, 28, v2
	v_lshlrev_b32_e32 v7, 27, v2
	v_cmp_ne_u32_e64 s12, 0, v3
	v_not_b32_e32 v3, v4
	v_cmp_gt_i32_e64 s13, 0, v4
	v_not_b32_e32 v4, v5
	v_lshlrev_b32_e32 v15, 26, v2
	v_xor_b32_e32 v1, s12, v1
	v_ashrrev_i32_e32 v3, 31, v3
	v_cmp_gt_i32_e64 s12, 0, v5
	v_not_b32_e32 v5, v6
	v_ashrrev_i32_e32 v4, 31, v4
	v_and_b32_e32 v1, exec_lo, v1
	v_xor_b32_e32 v3, s13, v3
	v_cmp_gt_i32_e64 s13, 0, v6
	v_not_b32_e32 v6, v7
	v_ashrrev_i32_e32 v5, 31, v5
	v_xor_b32_e32 v4, s12, v4
	v_and_b32_e32 v1, v1, v3
	v_lshlrev_b32_e32 v16, 25, v2
	v_cmp_gt_i32_e64 s12, 0, v7
	v_not_b32_e32 v3, v15
	v_ashrrev_i32_e32 v6, 31, v6
	v_xor_b32_e32 v5, s13, v5
	v_and_b32_e32 v1, v1, v4
	v_lshlrev_b32_e32 v2, 24, v2
	v_cmp_gt_i32_e64 s13, 0, v15
	v_not_b32_e32 v4, v16
	v_ashrrev_i32_e32 v3, 31, v3
	v_xor_b32_e32 v6, s12, v6
	v_and_b32_e32 v1, v1, v5
	v_cmp_gt_i32_e64 s12, 0, v16
	v_not_b32_e32 v5, v2
	v_ashrrev_i32_e32 v4, 31, v4
	v_xor_b32_e32 v3, s13, v3
	v_and_b32_e32 v1, v1, v6
	v_cmp_gt_i32_e64 s13, 0, v2
	v_ashrrev_i32_e32 v2, 31, v5
	v_xor_b32_e32 v4, s12, v4
	ds_load_b64 v[15:16], v25
	v_and_b32_e32 v1, v1, v3
	s_waitcnt lgkmcnt(0)
	v_xor_b32_e32 v0, s13, v2
	v_lshrrev_b32_e32 v2, 5, v18
	s_barrier
	v_and_b32_e32 v1, v1, v4
	buffer_gl0_inv
	ds_store_2addr_b64 v19, v[11:12], v[9:10] offset0:4 offset1:5
	ds_store_2addr_b64 v20, v[11:12], v[9:10] offset0:2 offset1:3
	s_waitcnt lgkmcnt(0)
	s_barrier
	v_and_b32_e32 v0, v1, v0
	v_and_b32_e32 v1, 0x7f8, v2
	buffer_gl0_inv
	; wave barrier
	v_mbcnt_lo_u32_b32 v13, v0, 0
	v_add_nc_u32_e32 v1, v1, v26
	v_cmp_ne_u32_e64 s13, 0, v0
	s_delay_alu instid0(VALU_DEP_3) | instskip(NEXT) | instid1(VALU_DEP_3)
	v_cmp_eq_u32_e64 s12, 0, v13
	v_lshl_add_u32 v14, v1, 2, 32
	s_delay_alu instid0(VALU_DEP_2) | instskip(NEXT) | instid1(SALU_CYCLE_1)
	s_and_b32 s13, s13, s12
	s_and_saveexec_b32 s12, s13
	s_cbranch_execz .LBB169_12
; %bb.11:                               ;   in Loop: Header=BB169_2 Depth=1
	v_bcnt_u32_b32 v0, v0, 0
	ds_store_b32 v14, v0
.LBB169_12:                             ;   in Loop: Header=BB169_2 Depth=1
	s_or_b32 exec_lo, exec_lo, s12
	; wave barrier
	s_waitcnt lgkmcnt(0)
	s_barrier
	buffer_gl0_inv
	ds_load_2addr_b64 v[4:7], v19 offset0:4 offset1:5
	ds_load_2addr_b64 v[0:3], v20 offset0:2 offset1:3
	s_waitcnt lgkmcnt(1)
	v_add_nc_u32_e32 v28, v5, v4
	s_delay_alu instid0(VALU_DEP_1) | instskip(SKIP_1) | instid1(VALU_DEP_1)
	v_add3_u32 v28, v28, v6, v7
	s_waitcnt lgkmcnt(0)
	v_add3_u32 v28, v28, v0, v1
	s_delay_alu instid0(VALU_DEP_1) | instskip(NEXT) | instid1(VALU_DEP_1)
	v_add3_u32 v3, v28, v2, v3
	v_mov_b32_dpp v28, v3 row_shr:1 row_mask:0xf bank_mask:0xf
	s_delay_alu instid0(VALU_DEP_1) | instskip(NEXT) | instid1(VALU_DEP_1)
	v_cndmask_b32_e64 v28, v28, 0, s0
	v_add_nc_u32_e32 v3, v28, v3
	s_delay_alu instid0(VALU_DEP_1) | instskip(NEXT) | instid1(VALU_DEP_1)
	v_mov_b32_dpp v28, v3 row_shr:2 row_mask:0xf bank_mask:0xf
	v_cndmask_b32_e64 v28, 0, v28, s1
	s_delay_alu instid0(VALU_DEP_1) | instskip(NEXT) | instid1(VALU_DEP_1)
	v_add_nc_u32_e32 v3, v3, v28
	v_mov_b32_dpp v28, v3 row_shr:4 row_mask:0xf bank_mask:0xf
	s_delay_alu instid0(VALU_DEP_1) | instskip(NEXT) | instid1(VALU_DEP_1)
	v_cndmask_b32_e64 v28, 0, v28, s2
	v_add_nc_u32_e32 v3, v3, v28
	s_delay_alu instid0(VALU_DEP_1) | instskip(NEXT) | instid1(VALU_DEP_1)
	v_mov_b32_dpp v28, v3 row_shr:8 row_mask:0xf bank_mask:0xf
	v_cndmask_b32_e64 v28, 0, v28, s3
	s_delay_alu instid0(VALU_DEP_1) | instskip(SKIP_3) | instid1(VALU_DEP_1)
	v_add_nc_u32_e32 v3, v3, v28
	ds_swizzle_b32 v28, v3 offset:swizzle(BROADCAST,32,15)
	s_waitcnt lgkmcnt(0)
	v_cndmask_b32_e64 v28, v28, 0, s4
	v_add_nc_u32_e32 v3, v3, v28
	s_and_saveexec_b32 s12, s11
	s_cbranch_execz .LBB169_14
; %bb.13:                               ;   in Loop: Header=BB169_2 Depth=1
	ds_store_b32 v21, v3
.LBB169_14:                             ;   in Loop: Header=BB169_2 Depth=1
	s_or_b32 exec_lo, exec_lo, s12
	s_waitcnt lgkmcnt(0)
	s_barrier
	buffer_gl0_inv
	s_and_saveexec_b32 s12, s5
	s_cbranch_execz .LBB169_16
; %bb.15:                               ;   in Loop: Header=BB169_2 Depth=1
	ds_load_b32 v28, v23
	s_waitcnt lgkmcnt(0)
	v_mov_b32_dpp v29, v28 row_shr:1 row_mask:0xf bank_mask:0xf
	s_delay_alu instid0(VALU_DEP_1) | instskip(NEXT) | instid1(VALU_DEP_1)
	v_cndmask_b32_e64 v29, v29, 0, s8
	v_add_nc_u32_e32 v28, v29, v28
	s_delay_alu instid0(VALU_DEP_1) | instskip(NEXT) | instid1(VALU_DEP_1)
	v_mov_b32_dpp v29, v28 row_shr:2 row_mask:0xf bank_mask:0xf
	v_cndmask_b32_e64 v29, 0, v29, s9
	s_delay_alu instid0(VALU_DEP_1) | instskip(NEXT) | instid1(VALU_DEP_1)
	v_add_nc_u32_e32 v28, v28, v29
	v_mov_b32_dpp v29, v28 row_shr:4 row_mask:0xf bank_mask:0xf
	s_delay_alu instid0(VALU_DEP_1) | instskip(NEXT) | instid1(VALU_DEP_1)
	v_cndmask_b32_e64 v29, 0, v29, s10
	v_add_nc_u32_e32 v28, v28, v29
	ds_store_b32 v23, v28
.LBB169_16:                             ;   in Loop: Header=BB169_2 Depth=1
	s_or_b32 exec_lo, exec_lo, s12
	v_mov_b32_e32 v28, 0
	s_waitcnt lgkmcnt(0)
	s_barrier
	buffer_gl0_inv
	s_and_saveexec_b32 s12, s6
	s_cbranch_execz .LBB169_18
; %bb.17:                               ;   in Loop: Header=BB169_2 Depth=1
	ds_load_b32 v28, v24
.LBB169_18:                             ;   in Loop: Header=BB169_2 Depth=1
	s_or_b32 exec_lo, exec_lo, s12
	s_waitcnt lgkmcnt(0)
	v_add_nc_u32_e32 v3, v28, v3
	ds_bpermute_b32 v3, v22, v3
	s_waitcnt lgkmcnt(0)
	v_cndmask_b32_e32 v3, v3, v28, vcc_lo
	s_delay_alu instid0(VALU_DEP_1) | instskip(NEXT) | instid1(VALU_DEP_1)
	v_cndmask_b32_e64 v3, v3, 0, s7
	v_add_nc_u32_e32 v4, v3, v4
	s_delay_alu instid0(VALU_DEP_1) | instskip(NEXT) | instid1(VALU_DEP_1)
	v_add_nc_u32_e32 v5, v4, v5
	v_add_nc_u32_e32 v6, v5, v6
	s_delay_alu instid0(VALU_DEP_1) | instskip(NEXT) | instid1(VALU_DEP_1)
	v_add_nc_u32_e32 v28, v6, v7
	;; [unrolled: 3-line block ×3, first 2 shown]
	v_add_nc_u32_e32 v1, v0, v2
	ds_store_2addr_b64 v19, v[3:4], v[5:6] offset0:4 offset1:5
	ds_store_2addr_b64 v20, v[28:29], v[0:1] offset0:2 offset1:3
	s_waitcnt lgkmcnt(0)
	s_barrier
	buffer_gl0_inv
	ds_load_b32 v0, v14
	v_lshlrev_b32_e32 v1, 3, v13
	s_waitcnt lgkmcnt(0)
	s_barrier
	buffer_gl0_inv
	v_lshl_add_u32 v0, v0, 3, v1
	v_dual_mov_b32 v1, s22 :: v_dual_mov_b32 v2, s23
	ds_store_b64 v0, v[17:18]
	s_waitcnt lgkmcnt(0)
	s_barrier
	buffer_gl0_inv
	ds_load_b64 v[13:14], v25
	s_waitcnt lgkmcnt(0)
	s_barrier
	buffer_gl0_inv
	ds_store_b64 v0, v[15:16]
	s_waitcnt lgkmcnt(0)
	s_barrier
	buffer_gl0_inv
	ds_load_b64 v[15:16], v25
	s_waitcnt lgkmcnt(0)
	s_barrier
	buffer_gl0_inv
	v_bfe_u32 v3, v14, 16, 1
	v_lshrrev_b32_e32 v4, 16, v14
	s_delay_alu instid0(VALU_DEP_2) | instskip(NEXT) | instid1(VALU_DEP_1)
	v_add_co_u32 v3, s12, v3, -1
	v_cndmask_b32_e64 v5, 0, 1, s12
	s_delay_alu instid0(VALU_DEP_3)
	v_lshlrev_b32_e32 v6, 30, v4
	v_lshlrev_b32_e32 v7, 29, v4
	;; [unrolled: 1-line block ×4, first 2 shown]
	v_cmp_ne_u32_e64 s12, 0, v5
	v_not_b32_e32 v5, v6
	v_cmp_gt_i32_e64 s13, 0, v6
	v_not_b32_e32 v6, v7
	v_lshlrev_b32_e32 v28, 26, v4
	v_xor_b32_e32 v3, s12, v3
	v_ashrrev_i32_e32 v5, 31, v5
	v_cmp_gt_i32_e64 s12, 0, v7
	v_not_b32_e32 v7, v17
	v_ashrrev_i32_e32 v6, 31, v6
	v_and_b32_e32 v3, exec_lo, v3
	v_xor_b32_e32 v5, s13, v5
	v_cmp_gt_i32_e64 s13, 0, v17
	v_not_b32_e32 v17, v18
	v_ashrrev_i32_e32 v7, 31, v7
	v_xor_b32_e32 v6, s12, v6
	v_and_b32_e32 v3, v3, v5
	v_lshlrev_b32_e32 v29, 25, v4
	v_cmp_gt_i32_e64 s12, 0, v18
	v_not_b32_e32 v5, v28
	v_ashrrev_i32_e32 v17, 31, v17
	v_xor_b32_e32 v7, s13, v7
	v_and_b32_e32 v3, v3, v6
	v_lshlrev_b32_e32 v4, 24, v4
	v_cmp_gt_i32_e64 s13, 0, v28
	v_not_b32_e32 v6, v29
	v_ashrrev_i32_e32 v5, 31, v5
	v_xor_b32_e32 v17, s12, v17
	v_and_b32_e32 v3, v3, v7
	v_cmp_gt_i32_e64 s12, 0, v29
	v_not_b32_e32 v7, v4
	v_ashrrev_i32_e32 v6, 31, v6
	v_xor_b32_e32 v5, s13, v5
	v_and_b32_e32 v3, v3, v17
	v_cmp_gt_i32_e64 s13, 0, v4
	v_ashrrev_i32_e32 v4, 31, v7
	v_xor_b32_e32 v6, s12, v6
	s_delay_alu instid0(VALU_DEP_4) | instskip(NEXT) | instid1(VALU_DEP_3)
	v_and_b32_e32 v3, v3, v5
	v_xor_b32_e32 v0, s13, v4
	s_delay_alu instid0(VALU_DEP_2)
	v_and_b32_e32 v5, v3, v6
	v_mov_b32_e32 v3, s16
	v_lshrrev_b32_e32 v6, 13, v14
	v_mov_b32_e32 v4, s17
	ds_store_2addr_b64 v19, v[1:2], v[3:4] offset0:4 offset1:5
	ds_store_2addr_b64 v20, v[1:2], v[3:4] offset0:2 offset1:3
	v_and_b32_e32 v0, v5, v0
	v_and_b32_e32 v5, 0x7f8, v6
	s_waitcnt lgkmcnt(0)
	s_barrier
	buffer_gl0_inv
	v_mbcnt_lo_u32_b32 v17, v0, 0
	v_add_nc_u32_e32 v1, v5, v26
	v_cmp_ne_u32_e64 s13, 0, v0
	; wave barrier
	s_delay_alu instid0(VALU_DEP_3) | instskip(NEXT) | instid1(VALU_DEP_3)
	v_cmp_eq_u32_e64 s12, 0, v17
	v_lshl_add_u32 v18, v1, 2, 32
	s_delay_alu instid0(VALU_DEP_2) | instskip(NEXT) | instid1(SALU_CYCLE_1)
	s_and_b32 s13, s13, s12
	s_and_saveexec_b32 s12, s13
	s_cbranch_execz .LBB169_20
; %bb.19:                               ;   in Loop: Header=BB169_2 Depth=1
	v_bcnt_u32_b32 v0, v0, 0
	ds_store_b32 v18, v0
.LBB169_20:                             ;   in Loop: Header=BB169_2 Depth=1
	s_or_b32 exec_lo, exec_lo, s12
	; wave barrier
	s_waitcnt lgkmcnt(0)
	s_barrier
	buffer_gl0_inv
	ds_load_2addr_b64 v[4:7], v19 offset0:4 offset1:5
	ds_load_2addr_b64 v[0:3], v20 offset0:2 offset1:3
	s_waitcnt lgkmcnt(1)
	v_add_nc_u32_e32 v28, v5, v4
	s_delay_alu instid0(VALU_DEP_1) | instskip(SKIP_1) | instid1(VALU_DEP_1)
	v_add3_u32 v28, v28, v6, v7
	s_waitcnt lgkmcnt(0)
	v_add3_u32 v28, v28, v0, v1
	s_delay_alu instid0(VALU_DEP_1) | instskip(NEXT) | instid1(VALU_DEP_1)
	v_add3_u32 v3, v28, v2, v3
	v_mov_b32_dpp v28, v3 row_shr:1 row_mask:0xf bank_mask:0xf
	s_delay_alu instid0(VALU_DEP_1) | instskip(NEXT) | instid1(VALU_DEP_1)
	v_cndmask_b32_e64 v28, v28, 0, s0
	v_add_nc_u32_e32 v3, v28, v3
	s_delay_alu instid0(VALU_DEP_1) | instskip(NEXT) | instid1(VALU_DEP_1)
	v_mov_b32_dpp v28, v3 row_shr:2 row_mask:0xf bank_mask:0xf
	v_cndmask_b32_e64 v28, 0, v28, s1
	s_delay_alu instid0(VALU_DEP_1) | instskip(NEXT) | instid1(VALU_DEP_1)
	v_add_nc_u32_e32 v3, v3, v28
	v_mov_b32_dpp v28, v3 row_shr:4 row_mask:0xf bank_mask:0xf
	s_delay_alu instid0(VALU_DEP_1) | instskip(NEXT) | instid1(VALU_DEP_1)
	v_cndmask_b32_e64 v28, 0, v28, s2
	v_add_nc_u32_e32 v3, v3, v28
	s_delay_alu instid0(VALU_DEP_1) | instskip(NEXT) | instid1(VALU_DEP_1)
	v_mov_b32_dpp v28, v3 row_shr:8 row_mask:0xf bank_mask:0xf
	v_cndmask_b32_e64 v28, 0, v28, s3
	s_delay_alu instid0(VALU_DEP_1) | instskip(SKIP_3) | instid1(VALU_DEP_1)
	v_add_nc_u32_e32 v3, v3, v28
	ds_swizzle_b32 v28, v3 offset:swizzle(BROADCAST,32,15)
	s_waitcnt lgkmcnt(0)
	v_cndmask_b32_e64 v28, v28, 0, s4
	v_add_nc_u32_e32 v3, v3, v28
	s_and_saveexec_b32 s12, s11
	s_cbranch_execz .LBB169_22
; %bb.21:                               ;   in Loop: Header=BB169_2 Depth=1
	ds_store_b32 v21, v3
.LBB169_22:                             ;   in Loop: Header=BB169_2 Depth=1
	s_or_b32 exec_lo, exec_lo, s12
	s_waitcnt lgkmcnt(0)
	s_barrier
	buffer_gl0_inv
	s_and_saveexec_b32 s12, s5
	s_cbranch_execz .LBB169_24
; %bb.23:                               ;   in Loop: Header=BB169_2 Depth=1
	ds_load_b32 v28, v23
	s_waitcnt lgkmcnt(0)
	v_mov_b32_dpp v29, v28 row_shr:1 row_mask:0xf bank_mask:0xf
	s_delay_alu instid0(VALU_DEP_1) | instskip(NEXT) | instid1(VALU_DEP_1)
	v_cndmask_b32_e64 v29, v29, 0, s8
	v_add_nc_u32_e32 v28, v29, v28
	s_delay_alu instid0(VALU_DEP_1) | instskip(NEXT) | instid1(VALU_DEP_1)
	v_mov_b32_dpp v29, v28 row_shr:2 row_mask:0xf bank_mask:0xf
	v_cndmask_b32_e64 v29, 0, v29, s9
	s_delay_alu instid0(VALU_DEP_1) | instskip(NEXT) | instid1(VALU_DEP_1)
	v_add_nc_u32_e32 v28, v28, v29
	v_mov_b32_dpp v29, v28 row_shr:4 row_mask:0xf bank_mask:0xf
	s_delay_alu instid0(VALU_DEP_1) | instskip(NEXT) | instid1(VALU_DEP_1)
	v_cndmask_b32_e64 v29, 0, v29, s10
	v_add_nc_u32_e32 v28, v28, v29
	ds_store_b32 v23, v28
.LBB169_24:                             ;   in Loop: Header=BB169_2 Depth=1
	s_or_b32 exec_lo, exec_lo, s12
	v_mov_b32_e32 v28, 0
	s_waitcnt lgkmcnt(0)
	s_barrier
	buffer_gl0_inv
	s_and_saveexec_b32 s12, s6
	s_cbranch_execz .LBB169_26
; %bb.25:                               ;   in Loop: Header=BB169_2 Depth=1
	ds_load_b32 v28, v24
.LBB169_26:                             ;   in Loop: Header=BB169_2 Depth=1
	s_or_b32 exec_lo, exec_lo, s12
	s_waitcnt lgkmcnt(0)
	v_add_nc_u32_e32 v3, v28, v3
	ds_bpermute_b32 v3, v22, v3
	s_waitcnt lgkmcnt(0)
	v_cndmask_b32_e32 v3, v3, v28, vcc_lo
	s_delay_alu instid0(VALU_DEP_1) | instskip(NEXT) | instid1(VALU_DEP_1)
	v_cndmask_b32_e64 v3, v3, 0, s7
	v_add_nc_u32_e32 v4, v3, v4
	s_delay_alu instid0(VALU_DEP_1) | instskip(NEXT) | instid1(VALU_DEP_1)
	v_add_nc_u32_e32 v5, v4, v5
	v_add_nc_u32_e32 v6, v5, v6
	s_delay_alu instid0(VALU_DEP_1) | instskip(NEXT) | instid1(VALU_DEP_1)
	v_add_nc_u32_e32 v28, v6, v7
	;; [unrolled: 3-line block ×3, first 2 shown]
	v_add_nc_u32_e32 v1, v0, v2
	ds_store_2addr_b64 v19, v[3:4], v[5:6] offset0:4 offset1:5
	ds_store_2addr_b64 v20, v[28:29], v[0:1] offset0:2 offset1:3
	s_waitcnt lgkmcnt(0)
	s_barrier
	buffer_gl0_inv
	ds_load_b32 v0, v18
	v_lshlrev_b32_e32 v1, 3, v17
	s_waitcnt lgkmcnt(0)
	s_barrier
	buffer_gl0_inv
	v_lshl_add_u32 v0, v0, 3, v1
	ds_store_b64 v0, v[13:14]
	s_waitcnt lgkmcnt(0)
	s_barrier
	buffer_gl0_inv
	ds_load_b64 v[13:14], v25
	s_waitcnt lgkmcnt(0)
	s_barrier
	buffer_gl0_inv
	ds_store_b64 v0, v[15:16]
	s_waitcnt lgkmcnt(0)
	s_barrier
	buffer_gl0_inv
	ds_load_b64 v[15:16], v25
	s_waitcnt lgkmcnt(0)
	s_barrier
	buffer_gl0_inv
	v_bfe_u32 v1, v14, 24, 1
	v_lshrrev_b32_e32 v5, 24, v14
	s_delay_alu instid0(VALU_DEP_2) | instskip(NEXT) | instid1(VALU_DEP_1)
	v_add_co_u32 v1, s12, v1, -1
	v_cndmask_b32_e64 v2, 0, 1, s12
	s_delay_alu instid0(VALU_DEP_3)
	v_lshlrev_b32_e32 v3, 30, v5
	v_lshlrev_b32_e32 v4, 29, v5
	;; [unrolled: 1-line block ×4, first 2 shown]
	v_cmp_ne_u32_e64 s12, 0, v2
	v_not_b32_e32 v2, v3
	v_cmp_gt_i32_e64 s13, 0, v3
	v_not_b32_e32 v3, v4
	v_lshlrev_b32_e32 v17, 26, v5
	v_xor_b32_e32 v1, s12, v1
	v_ashrrev_i32_e32 v2, 31, v2
	v_cmp_gt_i32_e64 s12, 0, v4
	v_not_b32_e32 v4, v6
	v_ashrrev_i32_e32 v3, 31, v3
	v_and_b32_e32 v1, exec_lo, v1
	v_xor_b32_e32 v2, s13, v2
	v_cmp_gt_i32_e64 s13, 0, v6
	v_not_b32_e32 v6, v7
	v_ashrrev_i32_e32 v4, 31, v4
	v_xor_b32_e32 v3, s12, v3
	v_and_b32_e32 v1, v1, v2
	v_lshlrev_b32_e32 v18, 25, v5
	v_cmp_gt_i32_e64 s12, 0, v7
	v_not_b32_e32 v2, v17
	v_ashrrev_i32_e32 v6, 31, v6
	v_xor_b32_e32 v4, s13, v4
	v_and_b32_e32 v1, v1, v3
	v_cmp_gt_i32_e64 s13, 0, v17
	v_not_b32_e32 v3, v18
	v_ashrrev_i32_e32 v2, 31, v2
	v_xor_b32_e32 v6, s12, v6
	v_and_b32_e32 v1, v1, v4
	v_not_b32_e32 v4, v14
	v_cmp_gt_i32_e64 s12, 0, v18
	v_ashrrev_i32_e32 v3, 31, v3
	v_xor_b32_e32 v2, s13, v2
	v_and_b32_e32 v1, v1, v6
	v_cmp_gt_i32_e64 s13, 0, v14
	v_ashrrev_i32_e32 v4, 31, v4
	v_xor_b32_e32 v3, s12, v3
	s_delay_alu instid0(VALU_DEP_4) | instskip(NEXT) | instid1(VALU_DEP_3)
	v_and_b32_e32 v1, v1, v2
	v_xor_b32_e32 v0, s13, v4
	s_delay_alu instid0(VALU_DEP_2) | instskip(SKIP_1) | instid1(VALU_DEP_2)
	v_and_b32_e32 v3, v1, v3
	v_dual_mov_b32 v1, s22 :: v_dual_mov_b32 v2, s23
	v_dual_mov_b32 v3, s16 :: v_dual_and_b32 v0, v3, v0
	v_mov_b32_e32 v4, s17
	ds_store_2addr_b64 v19, v[1:2], v[3:4] offset0:4 offset1:5
	ds_store_2addr_b64 v20, v[1:2], v[3:4] offset0:2 offset1:3
	v_mbcnt_lo_u32_b32 v17, v0, 0
	v_lshl_add_u32 v1, v5, 3, v26
	v_cmp_ne_u32_e64 s13, 0, v0
	s_waitcnt lgkmcnt(0)
	s_barrier
	v_cmp_eq_u32_e64 s12, 0, v17
	v_lshl_add_u32 v18, v1, 2, 32
	buffer_gl0_inv
	; wave barrier
	s_and_b32 s13, s13, s12
	s_delay_alu instid0(SALU_CYCLE_1)
	s_and_saveexec_b32 s12, s13
	s_cbranch_execz .LBB169_28
; %bb.27:                               ;   in Loop: Header=BB169_2 Depth=1
	v_bcnt_u32_b32 v0, v0, 0
	ds_store_b32 v18, v0
.LBB169_28:                             ;   in Loop: Header=BB169_2 Depth=1
	s_or_b32 exec_lo, exec_lo, s12
	; wave barrier
	s_waitcnt lgkmcnt(0)
	s_barrier
	buffer_gl0_inv
	ds_load_2addr_b64 v[4:7], v19 offset0:4 offset1:5
	ds_load_2addr_b64 v[0:3], v20 offset0:2 offset1:3
	s_waitcnt lgkmcnt(1)
	v_add_nc_u32_e32 v28, v5, v4
	s_delay_alu instid0(VALU_DEP_1) | instskip(SKIP_1) | instid1(VALU_DEP_1)
	v_add3_u32 v28, v28, v6, v7
	s_waitcnt lgkmcnt(0)
	v_add3_u32 v28, v28, v0, v1
	s_delay_alu instid0(VALU_DEP_1) | instskip(NEXT) | instid1(VALU_DEP_1)
	v_add3_u32 v3, v28, v2, v3
	v_mov_b32_dpp v28, v3 row_shr:1 row_mask:0xf bank_mask:0xf
	s_delay_alu instid0(VALU_DEP_1) | instskip(NEXT) | instid1(VALU_DEP_1)
	v_cndmask_b32_e64 v28, v28, 0, s0
	v_add_nc_u32_e32 v3, v28, v3
	s_delay_alu instid0(VALU_DEP_1) | instskip(NEXT) | instid1(VALU_DEP_1)
	v_mov_b32_dpp v28, v3 row_shr:2 row_mask:0xf bank_mask:0xf
	v_cndmask_b32_e64 v28, 0, v28, s1
	s_delay_alu instid0(VALU_DEP_1) | instskip(NEXT) | instid1(VALU_DEP_1)
	v_add_nc_u32_e32 v3, v3, v28
	v_mov_b32_dpp v28, v3 row_shr:4 row_mask:0xf bank_mask:0xf
	s_delay_alu instid0(VALU_DEP_1) | instskip(NEXT) | instid1(VALU_DEP_1)
	v_cndmask_b32_e64 v28, 0, v28, s2
	v_add_nc_u32_e32 v3, v3, v28
	s_delay_alu instid0(VALU_DEP_1) | instskip(NEXT) | instid1(VALU_DEP_1)
	v_mov_b32_dpp v28, v3 row_shr:8 row_mask:0xf bank_mask:0xf
	v_cndmask_b32_e64 v28, 0, v28, s3
	s_delay_alu instid0(VALU_DEP_1) | instskip(SKIP_3) | instid1(VALU_DEP_1)
	v_add_nc_u32_e32 v3, v3, v28
	ds_swizzle_b32 v28, v3 offset:swizzle(BROADCAST,32,15)
	s_waitcnt lgkmcnt(0)
	v_cndmask_b32_e64 v28, v28, 0, s4
	v_add_nc_u32_e32 v3, v3, v28
	s_and_saveexec_b32 s12, s11
	s_cbranch_execz .LBB169_30
; %bb.29:                               ;   in Loop: Header=BB169_2 Depth=1
	ds_store_b32 v21, v3
.LBB169_30:                             ;   in Loop: Header=BB169_2 Depth=1
	s_or_b32 exec_lo, exec_lo, s12
	s_waitcnt lgkmcnt(0)
	s_barrier
	buffer_gl0_inv
	s_and_saveexec_b32 s12, s5
	s_cbranch_execz .LBB169_32
; %bb.31:                               ;   in Loop: Header=BB169_2 Depth=1
	ds_load_b32 v28, v23
	s_waitcnt lgkmcnt(0)
	v_mov_b32_dpp v29, v28 row_shr:1 row_mask:0xf bank_mask:0xf
	s_delay_alu instid0(VALU_DEP_1) | instskip(NEXT) | instid1(VALU_DEP_1)
	v_cndmask_b32_e64 v29, v29, 0, s8
	v_add_nc_u32_e32 v28, v29, v28
	s_delay_alu instid0(VALU_DEP_1) | instskip(NEXT) | instid1(VALU_DEP_1)
	v_mov_b32_dpp v29, v28 row_shr:2 row_mask:0xf bank_mask:0xf
	v_cndmask_b32_e64 v29, 0, v29, s9
	s_delay_alu instid0(VALU_DEP_1) | instskip(NEXT) | instid1(VALU_DEP_1)
	v_add_nc_u32_e32 v28, v28, v29
	v_mov_b32_dpp v29, v28 row_shr:4 row_mask:0xf bank_mask:0xf
	s_delay_alu instid0(VALU_DEP_1) | instskip(NEXT) | instid1(VALU_DEP_1)
	v_cndmask_b32_e64 v29, 0, v29, s10
	v_add_nc_u32_e32 v28, v28, v29
	ds_store_b32 v23, v28
.LBB169_32:                             ;   in Loop: Header=BB169_2 Depth=1
	s_or_b32 exec_lo, exec_lo, s12
	v_mov_b32_e32 v28, 0
	s_waitcnt lgkmcnt(0)
	s_barrier
	buffer_gl0_inv
	s_and_saveexec_b32 s12, s6
	s_cbranch_execz .LBB169_34
; %bb.33:                               ;   in Loop: Header=BB169_2 Depth=1
	ds_load_b32 v28, v24
.LBB169_34:                             ;   in Loop: Header=BB169_2 Depth=1
	s_or_b32 exec_lo, exec_lo, s12
	s_waitcnt lgkmcnt(0)
	v_add_nc_u32_e32 v3, v28, v3
	ds_bpermute_b32 v3, v22, v3
	s_waitcnt lgkmcnt(0)
	v_cndmask_b32_e32 v3, v3, v28, vcc_lo
	s_delay_alu instid0(VALU_DEP_1) | instskip(NEXT) | instid1(VALU_DEP_1)
	v_cndmask_b32_e64 v3, v3, 0, s7
	v_add_nc_u32_e32 v4, v3, v4
	s_delay_alu instid0(VALU_DEP_1) | instskip(NEXT) | instid1(VALU_DEP_1)
	v_add_nc_u32_e32 v5, v4, v5
	v_add_nc_u32_e32 v6, v5, v6
	s_delay_alu instid0(VALU_DEP_1) | instskip(NEXT) | instid1(VALU_DEP_1)
	v_add_nc_u32_e32 v28, v6, v7
	;; [unrolled: 3-line block ×3, first 2 shown]
	v_add_nc_u32_e32 v1, v0, v2
	ds_store_2addr_b64 v19, v[3:4], v[5:6] offset0:4 offset1:5
	ds_store_2addr_b64 v20, v[28:29], v[0:1] offset0:2 offset1:3
	s_waitcnt lgkmcnt(0)
	s_barrier
	buffer_gl0_inv
	ds_load_b32 v0, v18
	v_lshlrev_b32_e32 v1, 3, v17
	s_waitcnt lgkmcnt(0)
	s_barrier
	buffer_gl0_inv
	v_lshl_add_u32 v0, v0, 3, v1
	v_dual_mov_b32 v1, s22 :: v_dual_mov_b32 v2, s23
	ds_store_b64 v0, v[13:14]
	s_waitcnt lgkmcnt(0)
	s_barrier
	buffer_gl0_inv
	ds_load_b64 v[13:14], v25
	s_waitcnt lgkmcnt(0)
	s_barrier
	buffer_gl0_inv
	ds_store_b64 v0, v[15:16]
	s_waitcnt lgkmcnt(0)
	s_barrier
	buffer_gl0_inv
	ds_load_b64 v[15:16], v25
	s_waitcnt lgkmcnt(0)
	s_barrier
	buffer_gl0_inv
	v_and_b32_e32 v3, 1, v13
	v_lshlrev_b32_e32 v4, 30, v13
	v_lshlrev_b32_e32 v5, 29, v13
	;; [unrolled: 1-line block ×4, first 2 shown]
	v_add_co_u32 v3, s12, v3, -1
	s_delay_alu instid0(VALU_DEP_1)
	v_cndmask_b32_e64 v7, 0, 1, s12
	v_not_b32_e32 v29, v4
	v_cmp_gt_i32_e64 s13, 0, v4
	v_not_b32_e32 v4, v5
	v_lshlrev_b32_e32 v18, 26, v13
	v_cmp_ne_u32_e64 s12, 0, v7
	v_ashrrev_i32_e32 v29, 31, v29
	v_lshlrev_b32_e32 v28, 25, v13
	v_ashrrev_i32_e32 v4, 31, v4
	v_lshlrev_b32_e32 v7, 24, v13
	v_xor_b32_e32 v3, s12, v3
	v_cmp_gt_i32_e64 s12, 0, v5
	v_not_b32_e32 v5, v6
	v_xor_b32_e32 v29, s13, v29
	v_cmp_gt_i32_e64 s13, 0, v6
	v_and_b32_e32 v3, exec_lo, v3
	v_not_b32_e32 v6, v17
	v_ashrrev_i32_e32 v5, 31, v5
	v_xor_b32_e32 v4, s12, v4
	v_cmp_gt_i32_e64 s12, 0, v17
	v_and_b32_e32 v3, v3, v29
	v_not_b32_e32 v17, v18
	v_ashrrev_i32_e32 v6, 31, v6
	v_xor_b32_e32 v5, s13, v5
	v_cmp_gt_i32_e64 s13, 0, v18
	v_and_b32_e32 v3, v3, v4
	;; [unrolled: 5-line block ×4, first 2 shown]
	v_ashrrev_i32_e32 v5, 31, v5
	v_xor_b32_e32 v4, s12, v4
	s_delay_alu instid0(VALU_DEP_3) | instskip(NEXT) | instid1(VALU_DEP_3)
	v_and_b32_e32 v3, v3, v17
	v_xor_b32_e32 v0, s13, v5
	s_delay_alu instid0(VALU_DEP_2)
	v_and_b32_e32 v5, v3, v4
	v_dual_mov_b32 v3, s16 :: v_dual_mov_b32 v4, s17
	ds_store_2addr_b64 v19, v[1:2], v[3:4] offset0:4 offset1:5
	ds_store_2addr_b64 v20, v[1:2], v[3:4] offset0:2 offset1:3
	v_and_b32_e32 v0, v5, v0
	v_and_b32_e32 v5, 0xff, v13
	s_waitcnt lgkmcnt(0)
	s_barrier
	buffer_gl0_inv
	v_mbcnt_lo_u32_b32 v17, v0, 0
	v_lshl_add_u32 v1, v5, 3, v26
	v_cmp_ne_u32_e64 s13, 0, v0
	; wave barrier
	s_delay_alu instid0(VALU_DEP_3) | instskip(NEXT) | instid1(VALU_DEP_3)
	v_cmp_eq_u32_e64 s12, 0, v17
	v_lshl_add_u32 v18, v1, 2, 32
	s_delay_alu instid0(VALU_DEP_2) | instskip(NEXT) | instid1(SALU_CYCLE_1)
	s_and_b32 s13, s13, s12
	s_and_saveexec_b32 s12, s13
	s_cbranch_execz .LBB169_36
; %bb.35:                               ;   in Loop: Header=BB169_2 Depth=1
	v_bcnt_u32_b32 v0, v0, 0
	ds_store_b32 v18, v0
.LBB169_36:                             ;   in Loop: Header=BB169_2 Depth=1
	s_or_b32 exec_lo, exec_lo, s12
	; wave barrier
	s_waitcnt lgkmcnt(0)
	s_barrier
	buffer_gl0_inv
	ds_load_2addr_b64 v[4:7], v19 offset0:4 offset1:5
	ds_load_2addr_b64 v[0:3], v20 offset0:2 offset1:3
	s_waitcnt lgkmcnt(1)
	v_add_nc_u32_e32 v28, v5, v4
	s_delay_alu instid0(VALU_DEP_1) | instskip(SKIP_1) | instid1(VALU_DEP_1)
	v_add3_u32 v28, v28, v6, v7
	s_waitcnt lgkmcnt(0)
	v_add3_u32 v28, v28, v0, v1
	s_delay_alu instid0(VALU_DEP_1) | instskip(NEXT) | instid1(VALU_DEP_1)
	v_add3_u32 v3, v28, v2, v3
	v_mov_b32_dpp v28, v3 row_shr:1 row_mask:0xf bank_mask:0xf
	s_delay_alu instid0(VALU_DEP_1) | instskip(NEXT) | instid1(VALU_DEP_1)
	v_cndmask_b32_e64 v28, v28, 0, s0
	v_add_nc_u32_e32 v3, v28, v3
	s_delay_alu instid0(VALU_DEP_1) | instskip(NEXT) | instid1(VALU_DEP_1)
	v_mov_b32_dpp v28, v3 row_shr:2 row_mask:0xf bank_mask:0xf
	v_cndmask_b32_e64 v28, 0, v28, s1
	s_delay_alu instid0(VALU_DEP_1) | instskip(NEXT) | instid1(VALU_DEP_1)
	v_add_nc_u32_e32 v3, v3, v28
	v_mov_b32_dpp v28, v3 row_shr:4 row_mask:0xf bank_mask:0xf
	s_delay_alu instid0(VALU_DEP_1) | instskip(NEXT) | instid1(VALU_DEP_1)
	v_cndmask_b32_e64 v28, 0, v28, s2
	v_add_nc_u32_e32 v3, v3, v28
	s_delay_alu instid0(VALU_DEP_1) | instskip(NEXT) | instid1(VALU_DEP_1)
	v_mov_b32_dpp v28, v3 row_shr:8 row_mask:0xf bank_mask:0xf
	v_cndmask_b32_e64 v28, 0, v28, s3
	s_delay_alu instid0(VALU_DEP_1) | instskip(SKIP_3) | instid1(VALU_DEP_1)
	v_add_nc_u32_e32 v3, v3, v28
	ds_swizzle_b32 v28, v3 offset:swizzle(BROADCAST,32,15)
	s_waitcnt lgkmcnt(0)
	v_cndmask_b32_e64 v28, v28, 0, s4
	v_add_nc_u32_e32 v3, v3, v28
	s_and_saveexec_b32 s12, s11
	s_cbranch_execz .LBB169_38
; %bb.37:                               ;   in Loop: Header=BB169_2 Depth=1
	ds_store_b32 v21, v3
.LBB169_38:                             ;   in Loop: Header=BB169_2 Depth=1
	s_or_b32 exec_lo, exec_lo, s12
	s_waitcnt lgkmcnt(0)
	s_barrier
	buffer_gl0_inv
	s_and_saveexec_b32 s12, s5
	s_cbranch_execz .LBB169_40
; %bb.39:                               ;   in Loop: Header=BB169_2 Depth=1
	ds_load_b32 v28, v23
	s_waitcnt lgkmcnt(0)
	v_mov_b32_dpp v29, v28 row_shr:1 row_mask:0xf bank_mask:0xf
	s_delay_alu instid0(VALU_DEP_1) | instskip(NEXT) | instid1(VALU_DEP_1)
	v_cndmask_b32_e64 v29, v29, 0, s8
	v_add_nc_u32_e32 v28, v29, v28
	s_delay_alu instid0(VALU_DEP_1) | instskip(NEXT) | instid1(VALU_DEP_1)
	v_mov_b32_dpp v29, v28 row_shr:2 row_mask:0xf bank_mask:0xf
	v_cndmask_b32_e64 v29, 0, v29, s9
	s_delay_alu instid0(VALU_DEP_1) | instskip(NEXT) | instid1(VALU_DEP_1)
	v_add_nc_u32_e32 v28, v28, v29
	v_mov_b32_dpp v29, v28 row_shr:4 row_mask:0xf bank_mask:0xf
	s_delay_alu instid0(VALU_DEP_1) | instskip(NEXT) | instid1(VALU_DEP_1)
	v_cndmask_b32_e64 v29, 0, v29, s10
	v_add_nc_u32_e32 v28, v28, v29
	ds_store_b32 v23, v28
.LBB169_40:                             ;   in Loop: Header=BB169_2 Depth=1
	s_or_b32 exec_lo, exec_lo, s12
	v_mov_b32_e32 v28, 0
	s_waitcnt lgkmcnt(0)
	s_barrier
	buffer_gl0_inv
	s_and_saveexec_b32 s12, s6
	s_cbranch_execz .LBB169_42
; %bb.41:                               ;   in Loop: Header=BB169_2 Depth=1
	ds_load_b32 v28, v24
.LBB169_42:                             ;   in Loop: Header=BB169_2 Depth=1
	s_or_b32 exec_lo, exec_lo, s12
	s_waitcnt lgkmcnt(0)
	v_add_nc_u32_e32 v3, v28, v3
	ds_bpermute_b32 v3, v22, v3
	s_waitcnt lgkmcnt(0)
	v_cndmask_b32_e32 v3, v3, v28, vcc_lo
	s_delay_alu instid0(VALU_DEP_1) | instskip(NEXT) | instid1(VALU_DEP_1)
	v_cndmask_b32_e64 v3, v3, 0, s7
	v_add_nc_u32_e32 v4, v3, v4
	s_delay_alu instid0(VALU_DEP_1) | instskip(NEXT) | instid1(VALU_DEP_1)
	v_add_nc_u32_e32 v5, v4, v5
	v_add_nc_u32_e32 v6, v5, v6
	s_delay_alu instid0(VALU_DEP_1) | instskip(NEXT) | instid1(VALU_DEP_1)
	v_add_nc_u32_e32 v28, v6, v7
	;; [unrolled: 3-line block ×3, first 2 shown]
	v_add_nc_u32_e32 v1, v0, v2
	ds_store_2addr_b64 v19, v[3:4], v[5:6] offset0:4 offset1:5
	ds_store_2addr_b64 v20, v[28:29], v[0:1] offset0:2 offset1:3
	s_waitcnt lgkmcnt(0)
	s_barrier
	buffer_gl0_inv
	ds_load_b32 v0, v18
	v_lshlrev_b32_e32 v1, 3, v17
	s_waitcnt lgkmcnt(0)
	s_barrier
	buffer_gl0_inv
	v_lshl_add_u32 v0, v0, 3, v1
	v_dual_mov_b32 v1, s22 :: v_dual_mov_b32 v2, s23
	ds_store_b64 v0, v[13:14]
	s_waitcnt lgkmcnt(0)
	s_barrier
	buffer_gl0_inv
	ds_load_b64 v[13:14], v25
	s_waitcnt lgkmcnt(0)
	s_barrier
	buffer_gl0_inv
	ds_store_b64 v0, v[15:16]
	s_waitcnt lgkmcnt(0)
	s_barrier
	buffer_gl0_inv
	ds_load_b64 v[15:16], v25
	s_waitcnt lgkmcnt(0)
	s_barrier
	buffer_gl0_inv
	v_bfe_u32 v3, v13, 8, 1
	v_lshrrev_b32_e32 v4, 8, v13
	s_delay_alu instid0(VALU_DEP_2) | instskip(NEXT) | instid1(VALU_DEP_1)
	v_add_co_u32 v3, s12, v3, -1
	v_cndmask_b32_e64 v5, 0, 1, s12
	s_delay_alu instid0(VALU_DEP_3)
	v_lshlrev_b32_e32 v6, 30, v4
	v_lshlrev_b32_e32 v7, 29, v4
	;; [unrolled: 1-line block ×4, first 2 shown]
	v_cmp_ne_u32_e64 s12, 0, v5
	v_not_b32_e32 v5, v6
	v_cmp_gt_i32_e64 s13, 0, v6
	v_not_b32_e32 v6, v7
	v_lshlrev_b32_e32 v28, 26, v4
	v_xor_b32_e32 v3, s12, v3
	v_ashrrev_i32_e32 v5, 31, v5
	v_cmp_gt_i32_e64 s12, 0, v7
	v_not_b32_e32 v7, v17
	v_ashrrev_i32_e32 v6, 31, v6
	v_and_b32_e32 v3, exec_lo, v3
	v_xor_b32_e32 v5, s13, v5
	v_cmp_gt_i32_e64 s13, 0, v17
	v_not_b32_e32 v17, v18
	v_ashrrev_i32_e32 v7, 31, v7
	v_xor_b32_e32 v6, s12, v6
	v_and_b32_e32 v3, v3, v5
	v_lshlrev_b32_e32 v29, 25, v4
	v_cmp_gt_i32_e64 s12, 0, v18
	v_not_b32_e32 v5, v28
	v_ashrrev_i32_e32 v17, 31, v17
	v_xor_b32_e32 v7, s13, v7
	v_and_b32_e32 v3, v3, v6
	v_lshlrev_b32_e32 v4, 24, v4
	v_cmp_gt_i32_e64 s13, 0, v28
	v_not_b32_e32 v6, v29
	v_ashrrev_i32_e32 v5, 31, v5
	v_xor_b32_e32 v17, s12, v17
	v_and_b32_e32 v3, v3, v7
	v_cmp_gt_i32_e64 s12, 0, v29
	v_not_b32_e32 v7, v4
	v_ashrrev_i32_e32 v6, 31, v6
	v_xor_b32_e32 v5, s13, v5
	v_and_b32_e32 v3, v3, v17
	v_cmp_gt_i32_e64 s13, 0, v4
	v_ashrrev_i32_e32 v4, 31, v7
	v_xor_b32_e32 v6, s12, v6
	s_delay_alu instid0(VALU_DEP_4) | instskip(NEXT) | instid1(VALU_DEP_3)
	v_and_b32_e32 v3, v3, v5
	v_xor_b32_e32 v0, s13, v4
	s_delay_alu instid0(VALU_DEP_2)
	v_and_b32_e32 v5, v3, v6
	v_mov_b32_e32 v3, s16
	v_lshrrev_b32_e32 v6, 5, v13
	v_mov_b32_e32 v4, s17
	ds_store_2addr_b64 v19, v[1:2], v[3:4] offset0:4 offset1:5
	ds_store_2addr_b64 v20, v[1:2], v[3:4] offset0:2 offset1:3
	v_and_b32_e32 v0, v5, v0
	v_and_b32_e32 v5, 0x7f8, v6
	s_waitcnt lgkmcnt(0)
	s_barrier
	buffer_gl0_inv
	v_mbcnt_lo_u32_b32 v17, v0, 0
	v_add_nc_u32_e32 v1, v5, v26
	v_cmp_ne_u32_e64 s13, 0, v0
	; wave barrier
	s_delay_alu instid0(VALU_DEP_3) | instskip(NEXT) | instid1(VALU_DEP_3)
	v_cmp_eq_u32_e64 s12, 0, v17
	v_lshl_add_u32 v18, v1, 2, 32
	s_delay_alu instid0(VALU_DEP_2) | instskip(NEXT) | instid1(SALU_CYCLE_1)
	s_and_b32 s13, s13, s12
	s_and_saveexec_b32 s12, s13
	s_cbranch_execz .LBB169_44
; %bb.43:                               ;   in Loop: Header=BB169_2 Depth=1
	v_bcnt_u32_b32 v0, v0, 0
	ds_store_b32 v18, v0
.LBB169_44:                             ;   in Loop: Header=BB169_2 Depth=1
	s_or_b32 exec_lo, exec_lo, s12
	; wave barrier
	s_waitcnt lgkmcnt(0)
	s_barrier
	buffer_gl0_inv
	ds_load_2addr_b64 v[4:7], v19 offset0:4 offset1:5
	ds_load_2addr_b64 v[0:3], v20 offset0:2 offset1:3
	s_waitcnt lgkmcnt(1)
	v_add_nc_u32_e32 v28, v5, v4
	s_delay_alu instid0(VALU_DEP_1) | instskip(SKIP_1) | instid1(VALU_DEP_1)
	v_add3_u32 v28, v28, v6, v7
	s_waitcnt lgkmcnt(0)
	v_add3_u32 v28, v28, v0, v1
	s_delay_alu instid0(VALU_DEP_1) | instskip(NEXT) | instid1(VALU_DEP_1)
	v_add3_u32 v3, v28, v2, v3
	v_mov_b32_dpp v28, v3 row_shr:1 row_mask:0xf bank_mask:0xf
	s_delay_alu instid0(VALU_DEP_1) | instskip(NEXT) | instid1(VALU_DEP_1)
	v_cndmask_b32_e64 v28, v28, 0, s0
	v_add_nc_u32_e32 v3, v28, v3
	s_delay_alu instid0(VALU_DEP_1) | instskip(NEXT) | instid1(VALU_DEP_1)
	v_mov_b32_dpp v28, v3 row_shr:2 row_mask:0xf bank_mask:0xf
	v_cndmask_b32_e64 v28, 0, v28, s1
	s_delay_alu instid0(VALU_DEP_1) | instskip(NEXT) | instid1(VALU_DEP_1)
	v_add_nc_u32_e32 v3, v3, v28
	v_mov_b32_dpp v28, v3 row_shr:4 row_mask:0xf bank_mask:0xf
	s_delay_alu instid0(VALU_DEP_1) | instskip(NEXT) | instid1(VALU_DEP_1)
	v_cndmask_b32_e64 v28, 0, v28, s2
	v_add_nc_u32_e32 v3, v3, v28
	s_delay_alu instid0(VALU_DEP_1) | instskip(NEXT) | instid1(VALU_DEP_1)
	v_mov_b32_dpp v28, v3 row_shr:8 row_mask:0xf bank_mask:0xf
	v_cndmask_b32_e64 v28, 0, v28, s3
	s_delay_alu instid0(VALU_DEP_1) | instskip(SKIP_3) | instid1(VALU_DEP_1)
	v_add_nc_u32_e32 v3, v3, v28
	ds_swizzle_b32 v28, v3 offset:swizzle(BROADCAST,32,15)
	s_waitcnt lgkmcnt(0)
	v_cndmask_b32_e64 v28, v28, 0, s4
	v_add_nc_u32_e32 v3, v3, v28
	s_and_saveexec_b32 s12, s11
	s_cbranch_execz .LBB169_46
; %bb.45:                               ;   in Loop: Header=BB169_2 Depth=1
	ds_store_b32 v21, v3
.LBB169_46:                             ;   in Loop: Header=BB169_2 Depth=1
	s_or_b32 exec_lo, exec_lo, s12
	s_waitcnt lgkmcnt(0)
	s_barrier
	buffer_gl0_inv
	s_and_saveexec_b32 s12, s5
	s_cbranch_execz .LBB169_48
; %bb.47:                               ;   in Loop: Header=BB169_2 Depth=1
	ds_load_b32 v28, v23
	s_waitcnt lgkmcnt(0)
	v_mov_b32_dpp v29, v28 row_shr:1 row_mask:0xf bank_mask:0xf
	s_delay_alu instid0(VALU_DEP_1) | instskip(NEXT) | instid1(VALU_DEP_1)
	v_cndmask_b32_e64 v29, v29, 0, s8
	v_add_nc_u32_e32 v28, v29, v28
	s_delay_alu instid0(VALU_DEP_1) | instskip(NEXT) | instid1(VALU_DEP_1)
	v_mov_b32_dpp v29, v28 row_shr:2 row_mask:0xf bank_mask:0xf
	v_cndmask_b32_e64 v29, 0, v29, s9
	s_delay_alu instid0(VALU_DEP_1) | instskip(NEXT) | instid1(VALU_DEP_1)
	v_add_nc_u32_e32 v28, v28, v29
	v_mov_b32_dpp v29, v28 row_shr:4 row_mask:0xf bank_mask:0xf
	s_delay_alu instid0(VALU_DEP_1) | instskip(NEXT) | instid1(VALU_DEP_1)
	v_cndmask_b32_e64 v29, 0, v29, s10
	v_add_nc_u32_e32 v28, v28, v29
	ds_store_b32 v23, v28
.LBB169_48:                             ;   in Loop: Header=BB169_2 Depth=1
	s_or_b32 exec_lo, exec_lo, s12
	v_mov_b32_e32 v28, 0
	s_waitcnt lgkmcnt(0)
	s_barrier
	buffer_gl0_inv
	s_and_saveexec_b32 s12, s6
	s_cbranch_execz .LBB169_50
; %bb.49:                               ;   in Loop: Header=BB169_2 Depth=1
	ds_load_b32 v28, v24
.LBB169_50:                             ;   in Loop: Header=BB169_2 Depth=1
	s_or_b32 exec_lo, exec_lo, s12
	s_waitcnt lgkmcnt(0)
	v_add_nc_u32_e32 v3, v28, v3
	ds_bpermute_b32 v3, v22, v3
	s_waitcnt lgkmcnt(0)
	v_cndmask_b32_e32 v3, v3, v28, vcc_lo
	s_delay_alu instid0(VALU_DEP_1) | instskip(NEXT) | instid1(VALU_DEP_1)
	v_cndmask_b32_e64 v3, v3, 0, s7
	v_add_nc_u32_e32 v4, v3, v4
	s_delay_alu instid0(VALU_DEP_1) | instskip(NEXT) | instid1(VALU_DEP_1)
	v_add_nc_u32_e32 v5, v4, v5
	v_add_nc_u32_e32 v6, v5, v6
	s_delay_alu instid0(VALU_DEP_1) | instskip(NEXT) | instid1(VALU_DEP_1)
	v_add_nc_u32_e32 v28, v6, v7
	;; [unrolled: 3-line block ×3, first 2 shown]
	v_add_nc_u32_e32 v1, v0, v2
	ds_store_2addr_b64 v19, v[3:4], v[5:6] offset0:4 offset1:5
	ds_store_2addr_b64 v20, v[28:29], v[0:1] offset0:2 offset1:3
	s_waitcnt lgkmcnt(0)
	s_barrier
	buffer_gl0_inv
	ds_load_b32 v0, v18
	v_lshlrev_b32_e32 v1, 3, v17
	s_waitcnt lgkmcnt(0)
	s_barrier
	buffer_gl0_inv
	v_lshl_add_u32 v0, v0, 3, v1
	v_dual_mov_b32 v1, s22 :: v_dual_mov_b32 v2, s23
	ds_store_b64 v0, v[13:14]
	s_waitcnt lgkmcnt(0)
	s_barrier
	buffer_gl0_inv
	ds_load_b64 v[13:14], v25
	s_waitcnt lgkmcnt(0)
	s_barrier
	buffer_gl0_inv
	ds_store_b64 v0, v[15:16]
	s_waitcnt lgkmcnt(0)
	s_barrier
	buffer_gl0_inv
	ds_load_b64 v[15:16], v25
	s_waitcnt lgkmcnt(0)
	s_barrier
	buffer_gl0_inv
	v_bfe_u32 v3, v13, 16, 1
	v_lshrrev_b32_e32 v4, 16, v13
	s_delay_alu instid0(VALU_DEP_2) | instskip(NEXT) | instid1(VALU_DEP_1)
	v_add_co_u32 v3, s12, v3, -1
	v_cndmask_b32_e64 v5, 0, 1, s12
	s_delay_alu instid0(VALU_DEP_3)
	v_lshlrev_b32_e32 v6, 30, v4
	v_lshlrev_b32_e32 v7, 29, v4
	;; [unrolled: 1-line block ×4, first 2 shown]
	v_cmp_ne_u32_e64 s12, 0, v5
	v_not_b32_e32 v5, v6
	v_cmp_gt_i32_e64 s13, 0, v6
	v_not_b32_e32 v6, v7
	v_lshlrev_b32_e32 v28, 26, v4
	v_xor_b32_e32 v3, s12, v3
	v_ashrrev_i32_e32 v5, 31, v5
	v_cmp_gt_i32_e64 s12, 0, v7
	v_not_b32_e32 v7, v17
	v_ashrrev_i32_e32 v6, 31, v6
	v_and_b32_e32 v3, exec_lo, v3
	v_xor_b32_e32 v5, s13, v5
	v_cmp_gt_i32_e64 s13, 0, v17
	v_not_b32_e32 v17, v18
	v_ashrrev_i32_e32 v7, 31, v7
	v_xor_b32_e32 v6, s12, v6
	v_and_b32_e32 v3, v3, v5
	v_lshlrev_b32_e32 v29, 25, v4
	v_cmp_gt_i32_e64 s12, 0, v18
	v_not_b32_e32 v5, v28
	v_ashrrev_i32_e32 v17, 31, v17
	v_xor_b32_e32 v7, s13, v7
	v_and_b32_e32 v3, v3, v6
	v_lshlrev_b32_e32 v4, 24, v4
	v_cmp_gt_i32_e64 s13, 0, v28
	v_not_b32_e32 v6, v29
	v_ashrrev_i32_e32 v5, 31, v5
	v_xor_b32_e32 v17, s12, v17
	v_and_b32_e32 v3, v3, v7
	v_cmp_gt_i32_e64 s12, 0, v29
	v_not_b32_e32 v7, v4
	v_ashrrev_i32_e32 v6, 31, v6
	v_xor_b32_e32 v5, s13, v5
	v_and_b32_e32 v3, v3, v17
	v_cmp_gt_i32_e64 s13, 0, v4
	v_ashrrev_i32_e32 v4, 31, v7
	v_xor_b32_e32 v6, s12, v6
	s_delay_alu instid0(VALU_DEP_4) | instskip(NEXT) | instid1(VALU_DEP_3)
	v_and_b32_e32 v3, v3, v5
	v_xor_b32_e32 v0, s13, v4
	s_delay_alu instid0(VALU_DEP_2)
	v_and_b32_e32 v5, v3, v6
	v_mov_b32_e32 v3, s16
	v_lshrrev_b32_e32 v6, 13, v13
	v_mov_b32_e32 v4, s17
	ds_store_2addr_b64 v19, v[1:2], v[3:4] offset0:4 offset1:5
	ds_store_2addr_b64 v20, v[1:2], v[3:4] offset0:2 offset1:3
	v_and_b32_e32 v0, v5, v0
	v_and_b32_e32 v5, 0x7f8, v6
	s_waitcnt lgkmcnt(0)
	s_barrier
	buffer_gl0_inv
	v_mbcnt_lo_u32_b32 v17, v0, 0
	v_add_nc_u32_e32 v1, v5, v26
	v_cmp_ne_u32_e64 s13, 0, v0
	; wave barrier
	s_delay_alu instid0(VALU_DEP_3) | instskip(NEXT) | instid1(VALU_DEP_3)
	v_cmp_eq_u32_e64 s12, 0, v17
	v_lshl_add_u32 v18, v1, 2, 32
	s_delay_alu instid0(VALU_DEP_2) | instskip(NEXT) | instid1(SALU_CYCLE_1)
	s_and_b32 s13, s13, s12
	s_and_saveexec_b32 s12, s13
	s_cbranch_execz .LBB169_52
; %bb.51:                               ;   in Loop: Header=BB169_2 Depth=1
	v_bcnt_u32_b32 v0, v0, 0
	ds_store_b32 v18, v0
.LBB169_52:                             ;   in Loop: Header=BB169_2 Depth=1
	s_or_b32 exec_lo, exec_lo, s12
	; wave barrier
	s_waitcnt lgkmcnt(0)
	s_barrier
	buffer_gl0_inv
	ds_load_2addr_b64 v[4:7], v19 offset0:4 offset1:5
	ds_load_2addr_b64 v[0:3], v20 offset0:2 offset1:3
	s_waitcnt lgkmcnt(1)
	v_add_nc_u32_e32 v28, v5, v4
	s_delay_alu instid0(VALU_DEP_1) | instskip(SKIP_1) | instid1(VALU_DEP_1)
	v_add3_u32 v28, v28, v6, v7
	s_waitcnt lgkmcnt(0)
	v_add3_u32 v28, v28, v0, v1
	s_delay_alu instid0(VALU_DEP_1) | instskip(NEXT) | instid1(VALU_DEP_1)
	v_add3_u32 v3, v28, v2, v3
	v_mov_b32_dpp v28, v3 row_shr:1 row_mask:0xf bank_mask:0xf
	s_delay_alu instid0(VALU_DEP_1) | instskip(NEXT) | instid1(VALU_DEP_1)
	v_cndmask_b32_e64 v28, v28, 0, s0
	v_add_nc_u32_e32 v3, v28, v3
	s_delay_alu instid0(VALU_DEP_1) | instskip(NEXT) | instid1(VALU_DEP_1)
	v_mov_b32_dpp v28, v3 row_shr:2 row_mask:0xf bank_mask:0xf
	v_cndmask_b32_e64 v28, 0, v28, s1
	s_delay_alu instid0(VALU_DEP_1) | instskip(NEXT) | instid1(VALU_DEP_1)
	v_add_nc_u32_e32 v3, v3, v28
	v_mov_b32_dpp v28, v3 row_shr:4 row_mask:0xf bank_mask:0xf
	s_delay_alu instid0(VALU_DEP_1) | instskip(NEXT) | instid1(VALU_DEP_1)
	v_cndmask_b32_e64 v28, 0, v28, s2
	v_add_nc_u32_e32 v3, v3, v28
	s_delay_alu instid0(VALU_DEP_1) | instskip(NEXT) | instid1(VALU_DEP_1)
	v_mov_b32_dpp v28, v3 row_shr:8 row_mask:0xf bank_mask:0xf
	v_cndmask_b32_e64 v28, 0, v28, s3
	s_delay_alu instid0(VALU_DEP_1) | instskip(SKIP_3) | instid1(VALU_DEP_1)
	v_add_nc_u32_e32 v3, v3, v28
	ds_swizzle_b32 v28, v3 offset:swizzle(BROADCAST,32,15)
	s_waitcnt lgkmcnt(0)
	v_cndmask_b32_e64 v28, v28, 0, s4
	v_add_nc_u32_e32 v3, v3, v28
	s_and_saveexec_b32 s12, s11
	s_cbranch_execz .LBB169_54
; %bb.53:                               ;   in Loop: Header=BB169_2 Depth=1
	ds_store_b32 v21, v3
.LBB169_54:                             ;   in Loop: Header=BB169_2 Depth=1
	s_or_b32 exec_lo, exec_lo, s12
	s_waitcnt lgkmcnt(0)
	s_barrier
	buffer_gl0_inv
	s_and_saveexec_b32 s12, s5
	s_cbranch_execz .LBB169_56
; %bb.55:                               ;   in Loop: Header=BB169_2 Depth=1
	ds_load_b32 v28, v23
	s_waitcnt lgkmcnt(0)
	v_mov_b32_dpp v29, v28 row_shr:1 row_mask:0xf bank_mask:0xf
	s_delay_alu instid0(VALU_DEP_1) | instskip(NEXT) | instid1(VALU_DEP_1)
	v_cndmask_b32_e64 v29, v29, 0, s8
	v_add_nc_u32_e32 v28, v29, v28
	s_delay_alu instid0(VALU_DEP_1) | instskip(NEXT) | instid1(VALU_DEP_1)
	v_mov_b32_dpp v29, v28 row_shr:2 row_mask:0xf bank_mask:0xf
	v_cndmask_b32_e64 v29, 0, v29, s9
	s_delay_alu instid0(VALU_DEP_1) | instskip(NEXT) | instid1(VALU_DEP_1)
	v_add_nc_u32_e32 v28, v28, v29
	v_mov_b32_dpp v29, v28 row_shr:4 row_mask:0xf bank_mask:0xf
	s_delay_alu instid0(VALU_DEP_1) | instskip(NEXT) | instid1(VALU_DEP_1)
	v_cndmask_b32_e64 v29, 0, v29, s10
	v_add_nc_u32_e32 v28, v28, v29
	ds_store_b32 v23, v28
.LBB169_56:                             ;   in Loop: Header=BB169_2 Depth=1
	s_or_b32 exec_lo, exec_lo, s12
	v_mov_b32_e32 v28, 0
	s_waitcnt lgkmcnt(0)
	s_barrier
	buffer_gl0_inv
	s_and_saveexec_b32 s12, s6
	s_cbranch_execz .LBB169_58
; %bb.57:                               ;   in Loop: Header=BB169_2 Depth=1
	ds_load_b32 v28, v24
.LBB169_58:                             ;   in Loop: Header=BB169_2 Depth=1
	s_or_b32 exec_lo, exec_lo, s12
	s_waitcnt lgkmcnt(0)
	v_add_nc_u32_e32 v3, v28, v3
	ds_bpermute_b32 v3, v22, v3
	s_waitcnt lgkmcnt(0)
	v_cndmask_b32_e32 v3, v3, v28, vcc_lo
	s_delay_alu instid0(VALU_DEP_1) | instskip(NEXT) | instid1(VALU_DEP_1)
	v_cndmask_b32_e64 v3, v3, 0, s7
	v_add_nc_u32_e32 v4, v3, v4
	s_delay_alu instid0(VALU_DEP_1) | instskip(NEXT) | instid1(VALU_DEP_1)
	v_add_nc_u32_e32 v5, v4, v5
	v_add_nc_u32_e32 v6, v5, v6
	s_delay_alu instid0(VALU_DEP_1) | instskip(NEXT) | instid1(VALU_DEP_1)
	v_add_nc_u32_e32 v28, v6, v7
	;; [unrolled: 3-line block ×3, first 2 shown]
	v_add_nc_u32_e32 v1, v0, v2
	ds_store_2addr_b64 v19, v[3:4], v[5:6] offset0:4 offset1:5
	ds_store_2addr_b64 v20, v[28:29], v[0:1] offset0:2 offset1:3
	s_waitcnt lgkmcnt(0)
	s_barrier
	buffer_gl0_inv
	ds_load_b32 v0, v18
	v_lshlrev_b32_e32 v1, 3, v17
	s_waitcnt lgkmcnt(0)
	s_barrier
	buffer_gl0_inv
	v_lshl_add_u32 v0, v0, 3, v1
	ds_store_b64 v0, v[13:14]
	s_waitcnt lgkmcnt(0)
	s_barrier
	buffer_gl0_inv
	ds_load_b64 v[13:14], v25
	s_waitcnt lgkmcnt(0)
	s_barrier
	buffer_gl0_inv
	ds_store_b64 v0, v[15:16]
	s_waitcnt lgkmcnt(0)
	s_barrier
	buffer_gl0_inv
	v_bfe_u32 v1, v13, 24, 1
	v_lshrrev_b32_e32 v5, 24, v13
	s_delay_alu instid0(VALU_DEP_2) | instskip(NEXT) | instid1(VALU_DEP_1)
	v_add_co_u32 v1, s12, v1, -1
	v_cndmask_b32_e64 v2, 0, 1, s12
	s_delay_alu instid0(VALU_DEP_3)
	v_lshlrev_b32_e32 v3, 30, v5
	v_lshlrev_b32_e32 v4, 29, v5
	v_lshlrev_b32_e32 v6, 28, v5
	v_lshlrev_b32_e32 v7, 27, v5
	v_cmp_ne_u32_e64 s12, 0, v2
	v_not_b32_e32 v2, v3
	v_cmp_gt_i32_e64 s13, 0, v3
	v_not_b32_e32 v3, v4
	v_lshlrev_b32_e32 v17, 26, v5
	v_xor_b32_e32 v1, s12, v1
	v_ashrrev_i32_e32 v2, 31, v2
	v_cmp_gt_i32_e64 s12, 0, v4
	v_not_b32_e32 v4, v6
	v_ashrrev_i32_e32 v3, 31, v3
	v_and_b32_e32 v1, exec_lo, v1
	v_xor_b32_e32 v2, s13, v2
	v_cmp_gt_i32_e64 s13, 0, v6
	v_not_b32_e32 v6, v7
	v_ashrrev_i32_e32 v4, 31, v4
	v_xor_b32_e32 v3, s12, v3
	v_and_b32_e32 v1, v1, v2
	v_lshlrev_b32_e32 v18, 25, v5
	v_cmp_gt_i32_e64 s12, 0, v7
	v_not_b32_e32 v2, v17
	v_ashrrev_i32_e32 v6, 31, v6
	v_xor_b32_e32 v4, s13, v4
	v_and_b32_e32 v1, v1, v3
	v_cmp_gt_i32_e64 s13, 0, v17
	v_not_b32_e32 v3, v18
	v_ashrrev_i32_e32 v2, 31, v2
	v_xor_b32_e32 v6, s12, v6
	v_and_b32_e32 v1, v1, v4
	v_not_b32_e32 v4, v13
	v_cmp_gt_i32_e64 s12, 0, v18
	v_ashrrev_i32_e32 v3, 31, v3
	v_xor_b32_e32 v2, s13, v2
	v_and_b32_e32 v1, v1, v6
	v_cmp_gt_i32_e64 s13, 0, v13
	v_ashrrev_i32_e32 v4, 31, v4
	v_xor_b32_e32 v3, s12, v3
	ds_load_b64 v[17:18], v25
	v_and_b32_e32 v1, v1, v2
	s_waitcnt lgkmcnt(0)
	v_xor_b32_e32 v0, s13, v4
	s_barrier
	buffer_gl0_inv
	v_and_b32_e32 v3, v1, v3
	v_dual_mov_b32 v1, s22 :: v_dual_mov_b32 v2, s23
	s_delay_alu instid0(VALU_DEP_2)
	v_dual_mov_b32 v3, s16 :: v_dual_and_b32 v0, v3, v0
	v_mov_b32_e32 v4, s17
	ds_store_2addr_b64 v19, v[1:2], v[3:4] offset0:4 offset1:5
	ds_store_2addr_b64 v20, v[1:2], v[3:4] offset0:2 offset1:3
	v_mbcnt_lo_u32_b32 v15, v0, 0
	v_lshl_add_u32 v1, v5, 3, v26
	v_cmp_ne_u32_e64 s13, 0, v0
	s_waitcnt lgkmcnt(0)
	s_barrier
	v_cmp_eq_u32_e64 s12, 0, v15
	v_lshl_add_u32 v16, v1, 2, 32
	buffer_gl0_inv
	; wave barrier
	s_and_b32 s13, s13, s12
	s_delay_alu instid0(SALU_CYCLE_1)
	s_and_saveexec_b32 s12, s13
	s_cbranch_execz .LBB169_60
; %bb.59:                               ;   in Loop: Header=BB169_2 Depth=1
	v_bcnt_u32_b32 v0, v0, 0
	ds_store_b32 v16, v0
.LBB169_60:                             ;   in Loop: Header=BB169_2 Depth=1
	s_or_b32 exec_lo, exec_lo, s12
	; wave barrier
	s_waitcnt lgkmcnt(0)
	s_barrier
	buffer_gl0_inv
	ds_load_2addr_b64 v[4:7], v19 offset0:4 offset1:5
	ds_load_2addr_b64 v[0:3], v20 offset0:2 offset1:3
	s_waitcnt lgkmcnt(1)
	v_add_nc_u32_e32 v28, v5, v4
	s_delay_alu instid0(VALU_DEP_1) | instskip(SKIP_1) | instid1(VALU_DEP_1)
	v_add3_u32 v28, v28, v6, v7
	s_waitcnt lgkmcnt(0)
	v_add3_u32 v28, v28, v0, v1
	s_delay_alu instid0(VALU_DEP_1) | instskip(NEXT) | instid1(VALU_DEP_1)
	v_add3_u32 v3, v28, v2, v3
	v_mov_b32_dpp v28, v3 row_shr:1 row_mask:0xf bank_mask:0xf
	s_delay_alu instid0(VALU_DEP_1) | instskip(NEXT) | instid1(VALU_DEP_1)
	v_cndmask_b32_e64 v28, v28, 0, s0
	v_add_nc_u32_e32 v3, v28, v3
	s_delay_alu instid0(VALU_DEP_1) | instskip(NEXT) | instid1(VALU_DEP_1)
	v_mov_b32_dpp v28, v3 row_shr:2 row_mask:0xf bank_mask:0xf
	v_cndmask_b32_e64 v28, 0, v28, s1
	s_delay_alu instid0(VALU_DEP_1) | instskip(NEXT) | instid1(VALU_DEP_1)
	v_add_nc_u32_e32 v3, v3, v28
	v_mov_b32_dpp v28, v3 row_shr:4 row_mask:0xf bank_mask:0xf
	s_delay_alu instid0(VALU_DEP_1) | instskip(NEXT) | instid1(VALU_DEP_1)
	v_cndmask_b32_e64 v28, 0, v28, s2
	v_add_nc_u32_e32 v3, v3, v28
	s_delay_alu instid0(VALU_DEP_1) | instskip(NEXT) | instid1(VALU_DEP_1)
	v_mov_b32_dpp v28, v3 row_shr:8 row_mask:0xf bank_mask:0xf
	v_cndmask_b32_e64 v28, 0, v28, s3
	s_delay_alu instid0(VALU_DEP_1) | instskip(SKIP_3) | instid1(VALU_DEP_1)
	v_add_nc_u32_e32 v3, v3, v28
	ds_swizzle_b32 v28, v3 offset:swizzle(BROADCAST,32,15)
	s_waitcnt lgkmcnt(0)
	v_cndmask_b32_e64 v28, v28, 0, s4
	v_add_nc_u32_e32 v3, v3, v28
	s_and_saveexec_b32 s12, s11
	s_cbranch_execz .LBB169_62
; %bb.61:                               ;   in Loop: Header=BB169_2 Depth=1
	ds_store_b32 v21, v3
.LBB169_62:                             ;   in Loop: Header=BB169_2 Depth=1
	s_or_b32 exec_lo, exec_lo, s12
	s_waitcnt lgkmcnt(0)
	s_barrier
	buffer_gl0_inv
	s_and_saveexec_b32 s12, s5
	s_cbranch_execz .LBB169_64
; %bb.63:                               ;   in Loop: Header=BB169_2 Depth=1
	ds_load_b32 v28, v23
	s_waitcnt lgkmcnt(0)
	v_mov_b32_dpp v29, v28 row_shr:1 row_mask:0xf bank_mask:0xf
	s_delay_alu instid0(VALU_DEP_1) | instskip(NEXT) | instid1(VALU_DEP_1)
	v_cndmask_b32_e64 v29, v29, 0, s8
	v_add_nc_u32_e32 v28, v29, v28
	s_delay_alu instid0(VALU_DEP_1) | instskip(NEXT) | instid1(VALU_DEP_1)
	v_mov_b32_dpp v29, v28 row_shr:2 row_mask:0xf bank_mask:0xf
	v_cndmask_b32_e64 v29, 0, v29, s9
	s_delay_alu instid0(VALU_DEP_1) | instskip(NEXT) | instid1(VALU_DEP_1)
	v_add_nc_u32_e32 v28, v28, v29
	v_mov_b32_dpp v29, v28 row_shr:4 row_mask:0xf bank_mask:0xf
	s_delay_alu instid0(VALU_DEP_1) | instskip(NEXT) | instid1(VALU_DEP_1)
	v_cndmask_b32_e64 v29, 0, v29, s10
	v_add_nc_u32_e32 v28, v28, v29
	ds_store_b32 v23, v28
.LBB169_64:                             ;   in Loop: Header=BB169_2 Depth=1
	s_or_b32 exec_lo, exec_lo, s12
	v_mov_b32_e32 v28, 0
	s_waitcnt lgkmcnt(0)
	s_barrier
	buffer_gl0_inv
	s_and_saveexec_b32 s12, s6
	s_cbranch_execz .LBB169_1
; %bb.65:                               ;   in Loop: Header=BB169_2 Depth=1
	ds_load_b32 v28, v24
	s_branch .LBB169_1
.LBB169_66:
	s_waitcnt lgkmcnt(0)
	v_add3_u32 v0, v13, v15, 0x80000000
	v_add3_u32 v1, v14, v16, 0x80000000
	v_lshlrev_b32_e32 v2, 3, v8
	s_add_u32 s0, s18, s20
	s_addc_u32 s1, s19, s21
	global_store_b64 v2, v[0:1], s[0:1]
	s_nop 0
	s_sendmsg sendmsg(MSG_DEALLOC_VGPRS)
	s_endpgm
	.section	.rodata,"a",@progbits
	.p2align	6, 0x0
	.amdhsa_kernel _Z17sort_pairs_kernelI22helper_blocked_blockedN15benchmark_utils11custom_typeIiiEELj256ELj1ELj10EEvPKT0_PS4_
		.amdhsa_group_segment_fixed_size 8224
		.amdhsa_private_segment_fixed_size 0
		.amdhsa_kernarg_size 272
		.amdhsa_user_sgpr_count 15
		.amdhsa_user_sgpr_dispatch_ptr 0
		.amdhsa_user_sgpr_queue_ptr 0
		.amdhsa_user_sgpr_kernarg_segment_ptr 1
		.amdhsa_user_sgpr_dispatch_id 0
		.amdhsa_user_sgpr_private_segment_size 0
		.amdhsa_wavefront_size32 1
		.amdhsa_uses_dynamic_stack 0
		.amdhsa_enable_private_segment 0
		.amdhsa_system_sgpr_workgroup_id_x 1
		.amdhsa_system_sgpr_workgroup_id_y 0
		.amdhsa_system_sgpr_workgroup_id_z 0
		.amdhsa_system_sgpr_workgroup_info 0
		.amdhsa_system_vgpr_workitem_id 2
		.amdhsa_next_free_vgpr 30
		.amdhsa_next_free_sgpr 24
		.amdhsa_reserve_vcc 1
		.amdhsa_float_round_mode_32 0
		.amdhsa_float_round_mode_16_64 0
		.amdhsa_float_denorm_mode_32 3
		.amdhsa_float_denorm_mode_16_64 3
		.amdhsa_dx10_clamp 1
		.amdhsa_ieee_mode 1
		.amdhsa_fp16_overflow 0
		.amdhsa_workgroup_processor_mode 1
		.amdhsa_memory_ordered 1
		.amdhsa_forward_progress 0
		.amdhsa_shared_vgpr_count 0
		.amdhsa_exception_fp_ieee_invalid_op 0
		.amdhsa_exception_fp_denorm_src 0
		.amdhsa_exception_fp_ieee_div_zero 0
		.amdhsa_exception_fp_ieee_overflow 0
		.amdhsa_exception_fp_ieee_underflow 0
		.amdhsa_exception_fp_ieee_inexact 0
		.amdhsa_exception_int_div_zero 0
	.end_amdhsa_kernel
	.section	.text._Z17sort_pairs_kernelI22helper_blocked_blockedN15benchmark_utils11custom_typeIiiEELj256ELj1ELj10EEvPKT0_PS4_,"axG",@progbits,_Z17sort_pairs_kernelI22helper_blocked_blockedN15benchmark_utils11custom_typeIiiEELj256ELj1ELj10EEvPKT0_PS4_,comdat
.Lfunc_end169:
	.size	_Z17sort_pairs_kernelI22helper_blocked_blockedN15benchmark_utils11custom_typeIiiEELj256ELj1ELj10EEvPKT0_PS4_, .Lfunc_end169-_Z17sort_pairs_kernelI22helper_blocked_blockedN15benchmark_utils11custom_typeIiiEELj256ELj1ELj10EEvPKT0_PS4_
                                        ; -- End function
	.section	.AMDGPU.csdata,"",@progbits
; Kernel info:
; codeLenInByte = 8520
; NumSgprs: 26
; NumVgprs: 30
; ScratchSize: 0
; MemoryBound: 0
; FloatMode: 240
; IeeeMode: 1
; LDSByteSize: 8224 bytes/workgroup (compile time only)
; SGPRBlocks: 3
; VGPRBlocks: 3
; NumSGPRsForWavesPerEU: 26
; NumVGPRsForWavesPerEU: 30
; Occupancy: 16
; WaveLimiterHint : 0
; COMPUTE_PGM_RSRC2:SCRATCH_EN: 0
; COMPUTE_PGM_RSRC2:USER_SGPR: 15
; COMPUTE_PGM_RSRC2:TRAP_HANDLER: 0
; COMPUTE_PGM_RSRC2:TGID_X_EN: 1
; COMPUTE_PGM_RSRC2:TGID_Y_EN: 0
; COMPUTE_PGM_RSRC2:TGID_Z_EN: 0
; COMPUTE_PGM_RSRC2:TIDIG_COMP_CNT: 2
	.section	.text._Z16sort_keys_kernelI22helper_blocked_blockedN15benchmark_utils11custom_typeIiiEELj256ELj3ELj10EEvPKT0_PS4_,"axG",@progbits,_Z16sort_keys_kernelI22helper_blocked_blockedN15benchmark_utils11custom_typeIiiEELj256ELj3ELj10EEvPKT0_PS4_,comdat
	.protected	_Z16sort_keys_kernelI22helper_blocked_blockedN15benchmark_utils11custom_typeIiiEELj256ELj3ELj10EEvPKT0_PS4_ ; -- Begin function _Z16sort_keys_kernelI22helper_blocked_blockedN15benchmark_utils11custom_typeIiiEELj256ELj3ELj10EEvPKT0_PS4_
	.globl	_Z16sort_keys_kernelI22helper_blocked_blockedN15benchmark_utils11custom_typeIiiEELj256ELj3ELj10EEvPKT0_PS4_
	.p2align	8
	.type	_Z16sort_keys_kernelI22helper_blocked_blockedN15benchmark_utils11custom_typeIiiEELj256ELj3ELj10EEvPKT0_PS4_,@function
_Z16sort_keys_kernelI22helper_blocked_blockedN15benchmark_utils11custom_typeIiiEELj256ELj3ELj10EEvPKT0_PS4_: ; @_Z16sort_keys_kernelI22helper_blocked_blockedN15benchmark_utils11custom_typeIiiEELj256ELj3ELj10EEvPKT0_PS4_
; %bb.0:
	s_clause 0x1
	s_load_b128 s[16:19], s[0:1], 0x0
	s_load_b32 s2, s[0:1], 0x1c
	s_mov_b32 s23, 0
	s_mul_i32 s22, s15, 0x300
	v_bfe_u32 v9, v0, 10, 10
	s_lshl_b64 s[20:21], s[22:23], 3
	s_mov_b32 s22, s23
	v_and_b32_e32 v8, 0x3ff, v0
	v_bfe_u32 v0, v0, 20, 10
	v_mbcnt_lo_u32_b32 v12, -1, 0
	s_mov_b32 s14, s23
	s_mov_b32 s15, s23
	v_lshlrev_b32_e32 v3, 3, v8
	s_delay_alu instid0(VALU_DEP_2) | instskip(SKIP_4) | instid1(VALU_DEP_1)
	v_cmp_eq_u32_e64 s8, 0, v12
	s_waitcnt lgkmcnt(0)
	s_add_u32 s0, s16, s20
	s_addc_u32 s1, s17, s21
	v_add_co_u32 v1, s3, s0, v3
	v_add_co_ci_u32_e64 v2, null, s1, 0, s3
	s_delay_alu instid0(VALU_DEP_2) | instskip(NEXT) | instid1(VALU_DEP_2)
	v_add_co_u32 v5, vcc_lo, 0x1000, v1
	v_add_co_ci_u32_e32 v6, vcc_lo, 0, v2, vcc_lo
	s_clause 0x2
	global_load_b64 v[1:2], v3, s[0:1]
	global_load_b64 v[3:4], v3, s[0:1] offset:2048
	global_load_b64 v[5:6], v[5:6], off
	s_lshr_b32 s0, s2, 16
	s_delay_alu instid0(SALU_CYCLE_1)
	v_mad_u32_u24 v0, v0, s0, v9
	s_and_b32 s0, s2, 0xffff
	s_delay_alu instid0(VALU_DEP_1) | instid1(SALU_CYCLE_1)
	v_mad_u64_u32 v[9:10], null, v0, s0, v[8:9]
	v_and_b32_e32 v10, 15, v12
	s_delay_alu instid0(VALU_DEP_1) | instskip(NEXT) | instid1(VALU_DEP_3)
	v_cmp_eq_u32_e64 s0, 0, v10
	v_lshrrev_b32_e32 v23, 5, v9
	v_add_nc_u32_e32 v9, -1, v12
	v_cmp_lt_u32_e64 s1, 1, v10
	v_cmp_lt_u32_e64 s2, 3, v10
	;; [unrolled: 1-line block ×3, first 2 shown]
	s_delay_alu instid0(VALU_DEP_4) | instskip(SKIP_1) | instid1(VALU_DEP_1)
	v_cmp_gt_i32_e32 vcc_lo, 0, v9
	v_cndmask_b32_e32 v9, v9, v12, vcc_lo
	v_lshlrev_b32_e32 v24, 2, v9
	v_and_b32_e32 v9, 7, v12
	s_delay_alu instid0(VALU_DEP_1)
	v_cmp_eq_u32_e64 s10, 0, v9
	v_cmp_lt_u32_e64 s11, 1, v9
	v_cmp_lt_u32_e64 s12, 3, v9
	v_mov_b32_e32 v9, s22
	v_lshrrev_b32_e32 v7, 5, v8
	v_lshlrev_b32_e32 v19, 5, v8
	v_cmp_gt_u32_e64 s6, 8, v8
	v_cmp_lt_u32_e64 s7, 31, v8
	v_cmp_eq_u32_e64 s9, 0, v8
	v_mul_u32_u24_e32 v11, 0x60, v7
	v_lshlrev_b32_e32 v25, 2, v7
	v_mad_i32_i24 v26, 0xffffffe4, v8, v19
	v_add_nc_u32_e32 v22, 32, v19
	v_mov_b32_e32 v10, s23
	v_or_b32_e32 v0, v12, v11
	v_lshlrev_b32_e32 v13, 3, v11
	v_and_b32_e32 v11, 16, v12
	v_add_nc_u32_e32 v27, -4, v25
	s_delay_alu instid0(VALU_DEP_4) | instskip(SKIP_3) | instid1(VALU_DEP_3)
	v_lshlrev_b32_e32 v21, 3, v0
	v_and_b32_e32 v0, 0xe0, v8
	v_mad_u32_u24 v20, v12, 24, v13
	v_cmp_eq_u32_e64 s4, 0, v11
	v_or_b32_e32 v13, 31, v0
	v_mul_u32_u24_e32 v0, 3, v0
	s_delay_alu instid0(VALU_DEP_2) | instskip(NEXT) | instid1(VALU_DEP_2)
	v_cmp_eq_u32_e64 s5, v13, v8
	v_or_b32_e32 v0, v12, v0
	v_dual_mov_b32 v11, s14 :: v_dual_mov_b32 v12, s15
	s_delay_alu instid0(VALU_DEP_2) | instskip(SKIP_1) | instid1(VALU_DEP_1)
	v_lshlrev_b32_e32 v28, 3, v0
	v_mul_u32_u24_e32 v0, 20, v8
	v_add_nc_u32_e32 v29, v26, v0
	s_branch .LBB170_2
.LBB170_1:                              ;   in Loop: Header=BB170_2 Depth=1
	s_barrier
	buffer_gl0_inv
	ds_store_b64 v6, v[13:14]
	ds_store_b64 v7, v[17:18]
	;; [unrolled: 1-line block ×3, first 2 shown]
	s_waitcnt lgkmcnt(0)
	s_barrier
	buffer_gl0_inv
	ds_load_2addr_b64 v[1:4], v29 offset1:1
	ds_load_b64 v[5:6], v29 offset:16
	s_add_i32 s23, s23, 1
	s_delay_alu instid0(SALU_CYCLE_1)
	s_cmp_eq_u32 s23, 10
	s_waitcnt lgkmcnt(1)
	v_xor_b32_e32 v1, 0x80000000, v1
	v_xor_b32_e32 v2, 0x80000000, v2
	;; [unrolled: 1-line block ×4, first 2 shown]
	s_waitcnt lgkmcnt(0)
	v_xor_b32_e32 v5, 0x80000000, v5
	v_xor_b32_e32 v6, 0x80000000, v6
	s_cbranch_scc1 .LBB170_18
.LBB170_2:                              ; =>This Loop Header: Depth=1
                                        ;     Child Loop BB170_4 Depth 2
	s_waitcnt vmcnt(2)
	v_xor_b32_e32 v2, 0x80000000, v2
	v_xor_b32_e32 v1, 0x80000000, v1
	s_waitcnt vmcnt(1)
	v_xor_b32_e32 v4, 0x80000000, v4
	v_xor_b32_e32 v3, 0x80000000, v3
	;; [unrolled: 3-line block ×3, first 2 shown]
	ds_store_2addr_b64 v20, v[1:2], v[3:4] offset1:1
	ds_store_b64 v20, v[5:6] offset:16
	; wave barrier
	ds_load_2addr_b64 v[0:3], v21 offset1:32
	ds_load_b64 v[4:5], v21 offset:512
	s_mov_b32 s16, 8
	s_mov_b32 s17, 32
	;; [unrolled: 1-line block ×3, first 2 shown]
	s_waitcnt lgkmcnt(0)
	s_barrier
	buffer_gl0_inv
	; wave barrier
	s_barrier
	s_branch .LBB170_4
.LBB170_3:                              ;   in Loop: Header=BB170_4 Depth=2
	s_barrier
	buffer_gl0_inv
	ds_store_b64 v6, v[13:14]
	ds_store_b64 v7, v[17:18]
	;; [unrolled: 1-line block ×3, first 2 shown]
	s_waitcnt lgkmcnt(0)
	s_barrier
	buffer_gl0_inv
	ds_load_2addr_b64 v[0:3], v28 offset1:32
	ds_load_b64 v[4:5], v28 offset:512
	s_add_i32 s17, s17, -8
	s_add_i32 s16, s16, 8
	s_add_i32 s22, s22, 8
	s_waitcnt lgkmcnt(0)
	s_barrier
	s_cbranch_execz .LBB170_1
.LBB170_4:                              ;   Parent Loop BB170_2 Depth=1
                                        ; =>  This Inner Loop Header: Depth=2
	s_min_i32 s14, s16, 32
	s_cmp_lt_u32 s22, 32
	v_dual_mov_b32 v14, v1 :: v_dual_mov_b32 v13, v0
	s_cselect_b32 vcc_lo, -1, 0
	s_cmp_gt_u32 s22, 24
	buffer_gl0_inv
	s_cselect_b32 s13, -1, 0
	s_sub_i32 s14, s14, 32
	v_lshrrev_b32_e32 v1, s22, v14
	s_add_i32 s15, s14, s17
	ds_store_2addr_b64 v19, v[9:10], v[11:12] offset0:4 offset1:5
	ds_store_2addr_b64 v22, v[9:10], v[11:12] offset0:2 offset1:3
	s_lshl_b32 s15, -1, s15
	s_waitcnt lgkmcnt(0)
	s_not_b32 s15, s15
	s_cmp_lg_u32 s14, s22
	s_barrier
	s_cselect_b32 s24, s15, -1
	s_max_i32 s25, s17, 0
	s_max_i32 s14, s22, 32
	v_and_b32_e32 v1, s24, v1
	s_sub_i32 s15, s14, s25
	s_sub_i32 s26, s14, 32
	;; [unrolled: 1-line block ×3, first 2 shown]
	v_lshrrev_b32_e32 v0, s26, v13
	s_min_i32 s14, s15, 32
	buffer_gl0_inv
	s_sub_i32 s14, s14, s26
	s_delay_alu instid0(SALU_CYCLE_1) | instskip(NEXT) | instid1(SALU_CYCLE_1)
	s_lshl_b32 s15, -1, s14
	; wave barrier
	s_not_b32 s15, s15
	s_cmp_lg_u32 s14, 32
	v_cndmask_b32_e32 v1, 0, v1, vcc_lo
	s_cselect_b32 s27, s15, -1
	s_delay_alu instid0(SALU_CYCLE_1) | instskip(NEXT) | instid1(VALU_DEP_1)
	v_and_b32_e32 v0, s27, v0
	v_lshlrev_b32_e32 v0, s25, v0
	s_delay_alu instid0(VALU_DEP_1) | instskip(NEXT) | instid1(VALU_DEP_1)
	v_cndmask_b32_e64 v0, 0, v0, s13
	v_or_b32_e32 v1, v1, v0
	s_delay_alu instid0(VALU_DEP_1)
	v_and_b32_e32 v0, 1, v1
	v_lshlrev_b32_e32 v6, 30, v1
	v_lshlrev_b32_e32 v7, 29, v1
	;; [unrolled: 1-line block ×4, first 2 shown]
	v_add_co_u32 v0, s14, v0, -1
	s_delay_alu instid0(VALU_DEP_1)
	v_cndmask_b32_e64 v16, 0, 1, s14
	v_not_b32_e32 v31, v6
	v_cmp_gt_i32_e64 s15, 0, v6
	v_not_b32_e32 v6, v7
	v_lshlrev_b32_e32 v18, 26, v1
	v_cmp_ne_u32_e64 s14, 0, v16
	v_ashrrev_i32_e32 v31, 31, v31
	v_lshlrev_b32_e32 v30, 25, v1
	v_ashrrev_i32_e32 v6, 31, v6
	v_lshlrev_b32_e32 v16, 24, v1
	v_xor_b32_e32 v0, s14, v0
	v_cmp_gt_i32_e64 s14, 0, v7
	v_not_b32_e32 v7, v15
	v_xor_b32_e32 v31, s15, v31
	v_cmp_gt_i32_e64 s15, 0, v15
	v_and_b32_e32 v0, exec_lo, v0
	v_not_b32_e32 v15, v17
	v_ashrrev_i32_e32 v7, 31, v7
	v_xor_b32_e32 v6, s14, v6
	v_cmp_gt_i32_e64 s14, 0, v17
	v_and_b32_e32 v0, v0, v31
	v_not_b32_e32 v17, v18
	v_ashrrev_i32_e32 v15, 31, v15
	v_xor_b32_e32 v7, s15, v7
	v_cmp_gt_i32_e64 s15, 0, v18
	v_and_b32_e32 v0, v0, v6
	;; [unrolled: 5-line block ×4, first 2 shown]
	v_mov_b32_e32 v16, v5
	v_ashrrev_i32_e32 v7, 31, v7
	v_xor_b32_e32 v6, s14, v6
	v_lshl_add_u32 v1, v1, 3, v23
	v_and_b32_e32 v0, v0, v17
	v_mov_b32_e32 v18, v3
	v_xor_b32_e32 v7, s15, v7
	v_mov_b32_e32 v17, v2
	v_mov_b32_e32 v15, v4
	v_and_b32_e32 v0, v0, v6
	v_lshl_add_u32 v31, v1, 2, 32
	s_delay_alu instid0(VALU_DEP_2) | instskip(NEXT) | instid1(VALU_DEP_1)
	v_and_b32_e32 v0, v0, v7
	v_mbcnt_lo_u32_b32 v30, v0, 0
	v_cmp_ne_u32_e64 s15, 0, v0
	s_delay_alu instid0(VALU_DEP_2) | instskip(NEXT) | instid1(VALU_DEP_1)
	v_cmp_eq_u32_e64 s14, 0, v30
	s_and_b32 s15, s14, s15
	s_delay_alu instid0(SALU_CYCLE_1)
	s_and_saveexec_b32 s14, s15
	s_cbranch_execz .LBB170_6
; %bb.5:                                ;   in Loop: Header=BB170_4 Depth=2
	v_bcnt_u32_b32 v0, v0, 0
	ds_store_b32 v31, v0
.LBB170_6:                              ;   in Loop: Header=BB170_4 Depth=2
	s_or_b32 exec_lo, exec_lo, s14
	v_lshrrev_b32_e32 v0, s26, v17
	v_lshrrev_b32_e32 v1, s22, v18
	; wave barrier
	s_delay_alu instid0(VALU_DEP_1) | instskip(NEXT) | instid1(VALU_DEP_1)
	v_and_b32_e32 v1, s24, v1
	v_dual_cndmask_b32 v1, 0, v1 :: v_dual_and_b32 v0, s27, v0
	s_delay_alu instid0(VALU_DEP_1) | instskip(NEXT) | instid1(VALU_DEP_1)
	v_lshlrev_b32_e32 v0, s25, v0
	v_cndmask_b32_e64 v0, 0, v0, s13
	s_delay_alu instid0(VALU_DEP_1) | instskip(NEXT) | instid1(VALU_DEP_1)
	v_or_b32_e32 v0, v1, v0
	v_and_b32_e32 v1, 1, v0
	v_lshlrev_b32_e32 v2, 30, v0
	v_lshlrev_b32_e32 v3, 29, v0
	;; [unrolled: 1-line block ×4, first 2 shown]
	v_add_co_u32 v1, s14, v1, -1
	s_delay_alu instid0(VALU_DEP_1)
	v_cndmask_b32_e64 v5, 0, 1, s14
	v_not_b32_e32 v33, v2
	v_cmp_gt_i32_e64 s15, 0, v2
	v_not_b32_e32 v2, v3
	v_lshlrev_b32_e32 v7, 26, v0
	v_cmp_ne_u32_e64 s14, 0, v5
	v_ashrrev_i32_e32 v33, 31, v33
	v_lshlrev_b32_e32 v32, 25, v0
	v_ashrrev_i32_e32 v2, 31, v2
	v_lshlrev_b32_e32 v5, 24, v0
	v_xor_b32_e32 v1, s14, v1
	v_cmp_gt_i32_e64 s14, 0, v3
	v_not_b32_e32 v3, v4
	v_xor_b32_e32 v33, s15, v33
	v_cmp_gt_i32_e64 s15, 0, v4
	v_and_b32_e32 v1, exec_lo, v1
	v_not_b32_e32 v4, v6
	v_ashrrev_i32_e32 v3, 31, v3
	v_xor_b32_e32 v2, s14, v2
	v_cmp_gt_i32_e64 s14, 0, v6
	v_and_b32_e32 v1, v1, v33
	v_not_b32_e32 v6, v7
	v_ashrrev_i32_e32 v4, 31, v4
	v_xor_b32_e32 v3, s15, v3
	v_cmp_gt_i32_e64 s15, 0, v7
	v_and_b32_e32 v1, v1, v2
	;; [unrolled: 5-line block ×3, first 2 shown]
	v_not_b32_e32 v3, v5
	v_ashrrev_i32_e32 v2, 31, v2
	v_xor_b32_e32 v6, s15, v6
	v_lshlrev_b32_e32 v0, 3, v0
	v_and_b32_e32 v1, v1, v4
	v_cmp_gt_i32_e64 s15, 0, v5
	v_ashrrev_i32_e32 v3, 31, v3
	v_xor_b32_e32 v2, s14, v2
	v_add_lshl_u32 v4, v0, v23, 2
	v_and_b32_e32 v1, v1, v6
	s_delay_alu instid0(VALU_DEP_4) | instskip(SKIP_3) | instid1(VALU_DEP_2)
	v_xor_b32_e32 v0, s15, v3
	ds_load_b32 v32, v4 offset:32
	v_and_b32_e32 v1, v1, v2
	v_add_nc_u32_e32 v34, 32, v4
	; wave barrier
	v_and_b32_e32 v0, v1, v0
	s_delay_alu instid0(VALU_DEP_1) | instskip(SKIP_1) | instid1(VALU_DEP_2)
	v_mbcnt_lo_u32_b32 v33, v0, 0
	v_cmp_ne_u32_e64 s15, 0, v0
	v_cmp_eq_u32_e64 s14, 0, v33
	s_delay_alu instid0(VALU_DEP_1) | instskip(NEXT) | instid1(SALU_CYCLE_1)
	s_and_b32 s15, s14, s15
	s_and_saveexec_b32 s14, s15
	s_cbranch_execz .LBB170_8
; %bb.7:                                ;   in Loop: Header=BB170_4 Depth=2
	s_waitcnt lgkmcnt(0)
	v_bcnt_u32_b32 v0, v0, v32
	ds_store_b32 v34, v0
.LBB170_8:                              ;   in Loop: Header=BB170_4 Depth=2
	s_or_b32 exec_lo, exec_lo, s14
	v_lshrrev_b32_e32 v0, s26, v15
	v_lshrrev_b32_e32 v1, s22, v16
	; wave barrier
	s_delay_alu instid0(VALU_DEP_1) | instskip(NEXT) | instid1(VALU_DEP_1)
	v_and_b32_e32 v1, s24, v1
	v_dual_cndmask_b32 v1, 0, v1 :: v_dual_and_b32 v0, s27, v0
	s_delay_alu instid0(VALU_DEP_1) | instskip(NEXT) | instid1(VALU_DEP_1)
	v_lshlrev_b32_e32 v0, s25, v0
	v_cndmask_b32_e64 v0, 0, v0, s13
	s_delay_alu instid0(VALU_DEP_1) | instskip(NEXT) | instid1(VALU_DEP_1)
	v_or_b32_e32 v0, v1, v0
	v_and_b32_e32 v1, 1, v0
	v_lshlrev_b32_e32 v2, 30, v0
	v_lshlrev_b32_e32 v3, 29, v0
	;; [unrolled: 1-line block ×4, first 2 shown]
	v_add_co_u32 v1, s13, v1, -1
	s_delay_alu instid0(VALU_DEP_1)
	v_cndmask_b32_e64 v5, 0, 1, s13
	v_not_b32_e32 v36, v2
	v_cmp_gt_i32_e64 s13, 0, v2
	v_not_b32_e32 v2, v3
	v_lshlrev_b32_e32 v7, 26, v0
	v_cmp_ne_u32_e32 vcc_lo, 0, v5
	v_ashrrev_i32_e32 v36, 31, v36
	v_lshlrev_b32_e32 v35, 25, v0
	v_ashrrev_i32_e32 v2, 31, v2
	v_lshlrev_b32_e32 v5, 24, v0
	v_xor_b32_e32 v1, vcc_lo, v1
	v_cmp_gt_i32_e32 vcc_lo, 0, v3
	v_not_b32_e32 v3, v4
	v_xor_b32_e32 v36, s13, v36
	v_cmp_gt_i32_e64 s13, 0, v4
	v_and_b32_e32 v1, exec_lo, v1
	v_not_b32_e32 v4, v6
	v_ashrrev_i32_e32 v3, 31, v3
	v_xor_b32_e32 v2, vcc_lo, v2
	v_cmp_gt_i32_e32 vcc_lo, 0, v6
	v_and_b32_e32 v1, v1, v36
	v_not_b32_e32 v6, v7
	v_ashrrev_i32_e32 v4, 31, v4
	v_xor_b32_e32 v3, s13, v3
	v_cmp_gt_i32_e64 s13, 0, v7
	v_and_b32_e32 v1, v1, v2
	v_not_b32_e32 v2, v35
	v_ashrrev_i32_e32 v6, 31, v6
	v_xor_b32_e32 v4, vcc_lo, v4
	v_cmp_gt_i32_e32 vcc_lo, 0, v35
	v_and_b32_e32 v1, v1, v3
	v_not_b32_e32 v3, v5
	v_ashrrev_i32_e32 v2, 31, v2
	v_xor_b32_e32 v6, s13, v6
	v_lshlrev_b32_e32 v0, 3, v0
	v_and_b32_e32 v1, v1, v4
	v_cmp_gt_i32_e64 s13, 0, v5
	v_ashrrev_i32_e32 v3, 31, v3
	v_xor_b32_e32 v2, vcc_lo, v2
	v_add_lshl_u32 v4, v0, v23, 2
	v_and_b32_e32 v1, v1, v6
	s_delay_alu instid0(VALU_DEP_4) | instskip(SKIP_3) | instid1(VALU_DEP_2)
	v_xor_b32_e32 v0, s13, v3
	ds_load_b32 v35, v4 offset:32
	v_and_b32_e32 v1, v1, v2
	v_add_nc_u32_e32 v37, 32, v4
	; wave barrier
	v_and_b32_e32 v0, v1, v0
	s_delay_alu instid0(VALU_DEP_1) | instskip(SKIP_1) | instid1(VALU_DEP_2)
	v_mbcnt_lo_u32_b32 v36, v0, 0
	v_cmp_ne_u32_e64 s13, 0, v0
	v_cmp_eq_u32_e32 vcc_lo, 0, v36
	s_delay_alu instid0(VALU_DEP_2) | instskip(NEXT) | instid1(SALU_CYCLE_1)
	s_and_b32 s14, vcc_lo, s13
	s_and_saveexec_b32 s13, s14
	s_cbranch_execz .LBB170_10
; %bb.9:                                ;   in Loop: Header=BB170_4 Depth=2
	s_waitcnt lgkmcnt(0)
	v_bcnt_u32_b32 v0, v0, v35
	ds_store_b32 v37, v0
.LBB170_10:                             ;   in Loop: Header=BB170_4 Depth=2
	s_or_b32 exec_lo, exec_lo, s13
	; wave barrier
	s_waitcnt lgkmcnt(0)
	s_barrier
	buffer_gl0_inv
	ds_load_2addr_b64 v[4:7], v19 offset0:4 offset1:5
	ds_load_2addr_b64 v[0:3], v22 offset0:2 offset1:3
	s_waitcnt lgkmcnt(1)
	v_add_nc_u32_e32 v38, v5, v4
	s_delay_alu instid0(VALU_DEP_1) | instskip(SKIP_1) | instid1(VALU_DEP_1)
	v_add3_u32 v38, v38, v6, v7
	s_waitcnt lgkmcnt(0)
	v_add3_u32 v38, v38, v0, v1
	s_delay_alu instid0(VALU_DEP_1) | instskip(NEXT) | instid1(VALU_DEP_1)
	v_add3_u32 v3, v38, v2, v3
	v_mov_b32_dpp v38, v3 row_shr:1 row_mask:0xf bank_mask:0xf
	s_delay_alu instid0(VALU_DEP_1) | instskip(NEXT) | instid1(VALU_DEP_1)
	v_cndmask_b32_e64 v38, v38, 0, s0
	v_add_nc_u32_e32 v3, v38, v3
	s_delay_alu instid0(VALU_DEP_1) | instskip(NEXT) | instid1(VALU_DEP_1)
	v_mov_b32_dpp v38, v3 row_shr:2 row_mask:0xf bank_mask:0xf
	v_cndmask_b32_e64 v38, 0, v38, s1
	s_delay_alu instid0(VALU_DEP_1) | instskip(NEXT) | instid1(VALU_DEP_1)
	v_add_nc_u32_e32 v3, v3, v38
	v_mov_b32_dpp v38, v3 row_shr:4 row_mask:0xf bank_mask:0xf
	s_delay_alu instid0(VALU_DEP_1) | instskip(NEXT) | instid1(VALU_DEP_1)
	v_cndmask_b32_e64 v38, 0, v38, s2
	v_add_nc_u32_e32 v3, v3, v38
	s_delay_alu instid0(VALU_DEP_1) | instskip(NEXT) | instid1(VALU_DEP_1)
	v_mov_b32_dpp v38, v3 row_shr:8 row_mask:0xf bank_mask:0xf
	v_cndmask_b32_e64 v38, 0, v38, s3
	s_delay_alu instid0(VALU_DEP_1) | instskip(SKIP_3) | instid1(VALU_DEP_1)
	v_add_nc_u32_e32 v3, v3, v38
	ds_swizzle_b32 v38, v3 offset:swizzle(BROADCAST,32,15)
	s_waitcnt lgkmcnt(0)
	v_cndmask_b32_e64 v38, v38, 0, s4
	v_add_nc_u32_e32 v3, v3, v38
	s_and_saveexec_b32 s13, s5
	s_cbranch_execz .LBB170_12
; %bb.11:                               ;   in Loop: Header=BB170_4 Depth=2
	ds_store_b32 v25, v3
.LBB170_12:                             ;   in Loop: Header=BB170_4 Depth=2
	s_or_b32 exec_lo, exec_lo, s13
	s_waitcnt lgkmcnt(0)
	s_barrier
	buffer_gl0_inv
	s_and_saveexec_b32 s13, s6
	s_cbranch_execz .LBB170_14
; %bb.13:                               ;   in Loop: Header=BB170_4 Depth=2
	ds_load_b32 v38, v26
	s_waitcnt lgkmcnt(0)
	v_mov_b32_dpp v39, v38 row_shr:1 row_mask:0xf bank_mask:0xf
	s_delay_alu instid0(VALU_DEP_1) | instskip(NEXT) | instid1(VALU_DEP_1)
	v_cndmask_b32_e64 v39, v39, 0, s10
	v_add_nc_u32_e32 v38, v39, v38
	s_delay_alu instid0(VALU_DEP_1) | instskip(NEXT) | instid1(VALU_DEP_1)
	v_mov_b32_dpp v39, v38 row_shr:2 row_mask:0xf bank_mask:0xf
	v_cndmask_b32_e64 v39, 0, v39, s11
	s_delay_alu instid0(VALU_DEP_1) | instskip(NEXT) | instid1(VALU_DEP_1)
	v_add_nc_u32_e32 v38, v38, v39
	v_mov_b32_dpp v39, v38 row_shr:4 row_mask:0xf bank_mask:0xf
	s_delay_alu instid0(VALU_DEP_1) | instskip(NEXT) | instid1(VALU_DEP_1)
	v_cndmask_b32_e64 v39, 0, v39, s12
	v_add_nc_u32_e32 v38, v38, v39
	ds_store_b32 v26, v38
.LBB170_14:                             ;   in Loop: Header=BB170_4 Depth=2
	s_or_b32 exec_lo, exec_lo, s13
	v_mov_b32_e32 v38, 0
	s_waitcnt lgkmcnt(0)
	s_barrier
	buffer_gl0_inv
	s_and_saveexec_b32 s13, s7
	s_cbranch_execz .LBB170_16
; %bb.15:                               ;   in Loop: Header=BB170_4 Depth=2
	ds_load_b32 v38, v27
.LBB170_16:                             ;   in Loop: Header=BB170_4 Depth=2
	s_or_b32 exec_lo, exec_lo, s13
	s_waitcnt lgkmcnt(0)
	v_add_nc_u32_e32 v3, v38, v3
	s_cmp_gt_u32 s22, 55
	ds_bpermute_b32 v3, v24, v3
	s_waitcnt lgkmcnt(0)
	v_cndmask_b32_e64 v3, v3, v38, s8
	s_delay_alu instid0(VALU_DEP_1) | instskip(NEXT) | instid1(VALU_DEP_1)
	v_cndmask_b32_e64 v3, v3, 0, s9
	v_add_nc_u32_e32 v4, v3, v4
	s_delay_alu instid0(VALU_DEP_1) | instskip(NEXT) | instid1(VALU_DEP_1)
	v_add_nc_u32_e32 v5, v4, v5
	v_add_nc_u32_e32 v6, v5, v6
	s_delay_alu instid0(VALU_DEP_1) | instskip(NEXT) | instid1(VALU_DEP_1)
	v_add_nc_u32_e32 v38, v6, v7
	;; [unrolled: 3-line block ×3, first 2 shown]
	v_add_nc_u32_e32 v1, v0, v2
	ds_store_2addr_b64 v19, v[3:4], v[5:6] offset0:4 offset1:5
	ds_store_2addr_b64 v22, v[38:39], v[0:1] offset0:2 offset1:3
	s_waitcnt lgkmcnt(0)
	s_barrier
	buffer_gl0_inv
	ds_load_b32 v0, v34
	ds_load_b32 v1, v37
	ds_load_b32 v2, v31
	v_lshlrev_b32_e32 v3, 3, v30
	v_lshlrev_b32_e32 v4, 3, v33
	;; [unrolled: 1-line block ×5, first 2 shown]
	s_waitcnt lgkmcnt(0)
	v_lshlrev_b32_e32 v0, 3, v0
	v_lshlrev_b32_e32 v1, 3, v1
	v_lshl_add_u32 v6, v2, 3, v3
	s_delay_alu instid0(VALU_DEP_3) | instskip(NEXT) | instid1(VALU_DEP_3)
	v_add3_u32 v7, v4, v5, v0
	v_add3_u32 v30, v30, v31, v1
	s_cbranch_scc0 .LBB170_3
; %bb.17:                               ;   in Loop: Header=BB170_2 Depth=1
                                        ; implicit-def: $sgpr22
                                        ; implicit-def: $vgpr0_vgpr1
                                        ; implicit-def: $vgpr4_vgpr5
                                        ; implicit-def: $sgpr17
                                        ; implicit-def: $sgpr16
	s_branch .LBB170_1
.LBB170_18:
	v_lshlrev_b32_e32 v0, 3, v8
	s_add_u32 s0, s18, s20
	s_addc_u32 s1, s19, s21
	s_delay_alu instid0(VALU_DEP_1) | instskip(NEXT) | instid1(VALU_DEP_1)
	v_add_co_u32 v7, s2, s0, v0
	v_add_co_ci_u32_e64 v8, null, s1, 0, s2
	s_delay_alu instid0(VALU_DEP_2) | instskip(NEXT) | instid1(VALU_DEP_2)
	v_add_co_u32 v7, vcc_lo, 0x1000, v7
	v_add_co_ci_u32_e32 v8, vcc_lo, 0, v8, vcc_lo
	s_clause 0x2
	global_store_b64 v0, v[1:2], s[0:1]
	global_store_b64 v0, v[3:4], s[0:1] offset:2048
	global_store_b64 v[7:8], v[5:6], off
	s_nop 0
	s_sendmsg sendmsg(MSG_DEALLOC_VGPRS)
	s_endpgm
	.section	.rodata,"a",@progbits
	.p2align	6, 0x0
	.amdhsa_kernel _Z16sort_keys_kernelI22helper_blocked_blockedN15benchmark_utils11custom_typeIiiEELj256ELj3ELj10EEvPKT0_PS4_
		.amdhsa_group_segment_fixed_size 8224
		.amdhsa_private_segment_fixed_size 0
		.amdhsa_kernarg_size 272
		.amdhsa_user_sgpr_count 15
		.amdhsa_user_sgpr_dispatch_ptr 0
		.amdhsa_user_sgpr_queue_ptr 0
		.amdhsa_user_sgpr_kernarg_segment_ptr 1
		.amdhsa_user_sgpr_dispatch_id 0
		.amdhsa_user_sgpr_private_segment_size 0
		.amdhsa_wavefront_size32 1
		.amdhsa_uses_dynamic_stack 0
		.amdhsa_enable_private_segment 0
		.amdhsa_system_sgpr_workgroup_id_x 1
		.amdhsa_system_sgpr_workgroup_id_y 0
		.amdhsa_system_sgpr_workgroup_id_z 0
		.amdhsa_system_sgpr_workgroup_info 0
		.amdhsa_system_vgpr_workitem_id 2
		.amdhsa_next_free_vgpr 40
		.amdhsa_next_free_sgpr 28
		.amdhsa_reserve_vcc 1
		.amdhsa_float_round_mode_32 0
		.amdhsa_float_round_mode_16_64 0
		.amdhsa_float_denorm_mode_32 3
		.amdhsa_float_denorm_mode_16_64 3
		.amdhsa_dx10_clamp 1
		.amdhsa_ieee_mode 1
		.amdhsa_fp16_overflow 0
		.amdhsa_workgroup_processor_mode 1
		.amdhsa_memory_ordered 1
		.amdhsa_forward_progress 0
		.amdhsa_shared_vgpr_count 0
		.amdhsa_exception_fp_ieee_invalid_op 0
		.amdhsa_exception_fp_denorm_src 0
		.amdhsa_exception_fp_ieee_div_zero 0
		.amdhsa_exception_fp_ieee_overflow 0
		.amdhsa_exception_fp_ieee_underflow 0
		.amdhsa_exception_fp_ieee_inexact 0
		.amdhsa_exception_int_div_zero 0
	.end_amdhsa_kernel
	.section	.text._Z16sort_keys_kernelI22helper_blocked_blockedN15benchmark_utils11custom_typeIiiEELj256ELj3ELj10EEvPKT0_PS4_,"axG",@progbits,_Z16sort_keys_kernelI22helper_blocked_blockedN15benchmark_utils11custom_typeIiiEELj256ELj3ELj10EEvPKT0_PS4_,comdat
.Lfunc_end170:
	.size	_Z16sort_keys_kernelI22helper_blocked_blockedN15benchmark_utils11custom_typeIiiEELj256ELj3ELj10EEvPKT0_PS4_, .Lfunc_end170-_Z16sort_keys_kernelI22helper_blocked_blockedN15benchmark_utils11custom_typeIiiEELj256ELj3ELj10EEvPKT0_PS4_
                                        ; -- End function
	.section	.AMDGPU.csdata,"",@progbits
; Kernel info:
; codeLenInByte = 2784
; NumSgprs: 30
; NumVgprs: 40
; ScratchSize: 0
; MemoryBound: 0
; FloatMode: 240
; IeeeMode: 1
; LDSByteSize: 8224 bytes/workgroup (compile time only)
; SGPRBlocks: 3
; VGPRBlocks: 4
; NumSGPRsForWavesPerEU: 30
; NumVGPRsForWavesPerEU: 40
; Occupancy: 16
; WaveLimiterHint : 1
; COMPUTE_PGM_RSRC2:SCRATCH_EN: 0
; COMPUTE_PGM_RSRC2:USER_SGPR: 15
; COMPUTE_PGM_RSRC2:TRAP_HANDLER: 0
; COMPUTE_PGM_RSRC2:TGID_X_EN: 1
; COMPUTE_PGM_RSRC2:TGID_Y_EN: 0
; COMPUTE_PGM_RSRC2:TGID_Z_EN: 0
; COMPUTE_PGM_RSRC2:TIDIG_COMP_CNT: 2
	.section	.text._Z17sort_pairs_kernelI22helper_blocked_blockedN15benchmark_utils11custom_typeIiiEELj256ELj3ELj10EEvPKT0_PS4_,"axG",@progbits,_Z17sort_pairs_kernelI22helper_blocked_blockedN15benchmark_utils11custom_typeIiiEELj256ELj3ELj10EEvPKT0_PS4_,comdat
	.protected	_Z17sort_pairs_kernelI22helper_blocked_blockedN15benchmark_utils11custom_typeIiiEELj256ELj3ELj10EEvPKT0_PS4_ ; -- Begin function _Z17sort_pairs_kernelI22helper_blocked_blockedN15benchmark_utils11custom_typeIiiEELj256ELj3ELj10EEvPKT0_PS4_
	.globl	_Z17sort_pairs_kernelI22helper_blocked_blockedN15benchmark_utils11custom_typeIiiEELj256ELj3ELj10EEvPKT0_PS4_
	.p2align	8
	.type	_Z17sort_pairs_kernelI22helper_blocked_blockedN15benchmark_utils11custom_typeIiiEELj256ELj3ELj10EEvPKT0_PS4_,@function
_Z17sort_pairs_kernelI22helper_blocked_blockedN15benchmark_utils11custom_typeIiiEELj256ELj3ELj10EEvPKT0_PS4_: ; @_Z17sort_pairs_kernelI22helper_blocked_blockedN15benchmark_utils11custom_typeIiiEELj256ELj3ELj10EEvPKT0_PS4_
; %bb.0:
	s_clause 0x1
	s_load_b128 s[16:19], s[0:1], 0x0
	s_load_b32 s12, s[0:1], 0x1c
	s_mov_b32 s23, 0
	s_mul_i32 s22, s15, 0x300
	v_mbcnt_lo_u32_b32 v5, -1, 0
	s_lshl_b64 s[20:21], s[22:23], 3
	s_mov_b32 s22, s23
	s_delay_alu instid0(SALU_CYCLE_1) | instskip(NEXT) | instid1(VALU_DEP_2)
	v_dual_mov_b32 v9, s22 :: v_dual_and_b32 v8, 0x3ff, v0
	v_dual_mov_b32 v10, s23 :: v_dual_and_b32 v11, 7, v5
	s_mov_b32 s14, s23
	s_delay_alu instid0(VALU_DEP_2)
	v_lshlrev_b32_e32 v3, 3, v8
	v_lshrrev_b32_e32 v12, 5, v8
	s_mov_b32 s15, s23
	v_cmp_eq_u32_e64 s9, 0, v11
	v_cmp_lt_u32_e64 s10, 1, v11
	v_cmp_lt_u32_e64 s11, 3, v11
	v_mul_u32_u24_e32 v11, 0x60, v12
	v_lshlrev_b32_e32 v32, 2, v12
	s_waitcnt lgkmcnt(0)
	s_add_u32 s0, s16, s20
	s_addc_u32 s1, s17, s21
	v_add_co_u32 v1, s2, s0, v3
	s_delay_alu instid0(VALU_DEP_1) | instskip(SKIP_1) | instid1(VALU_DEP_3)
	v_add_co_ci_u32_e64 v2, null, s1, 0, s2
	v_lshlrev_b32_e32 v12, 3, v11
	v_add_co_u32 v1, vcc_lo, 0x1000, v1
	s_delay_alu instid0(VALU_DEP_3)
	v_add_co_ci_u32_e32 v2, vcc_lo, 0, v2, vcc_lo
	v_or_b32_e32 v11, v5, v11
	s_clause 0x2
	global_load_b64 v[13:14], v3, s[0:1]
	global_load_b64 v[15:16], v3, s[0:1] offset:2048
	global_load_b64 v[1:2], v[1:2], off
	v_add_nc_u32_e32 v7, -1, v5
	v_and_b32_e32 v4, 15, v5
	v_mad_u32_u24 v36, v5, 24, v12
	v_lshlrev_b32_e32 v37, 3, v11
	v_dual_mov_b32 v11, s14 :: v_dual_and_b32 v6, 16, v5
	v_mov_b32_e32 v12, s15
	v_cmp_gt_i32_e32 vcc_lo, 0, v7
	v_bfe_u32 v3, v0, 10, 10
	v_bfe_u32 v0, v0, 20, 10
	v_lshlrev_b32_e32 v29, 5, v8
	v_cmp_eq_u32_e64 s1, 0, v4
	v_cmp_lt_u32_e64 s2, 1, v4
	v_cmp_lt_u32_e64 s3, 3, v4
	;; [unrolled: 1-line block ×3, first 2 shown]
	v_cmp_eq_u32_e64 s5, 0, v6
	v_cndmask_b32_e32 v6, v7, v5, vcc_lo
	v_and_b32_e32 v4, 0xe0, v8
	s_lshr_b32 s13, s12, 16
	s_and_b32 s12, s12, 0xffff
	v_mad_u32_u24 v0, v0, s13, v3
	v_lshlrev_b32_e32 v31, 2, v6
	v_mul_u32_u24_e32 v6, 3, v4
	v_or_b32_e32 v17, 31, v4
	v_mul_u32_u24_e32 v7, 20, v8
	v_mad_u64_u32 v[3:4], null, v0, s12, v[8:9]
	v_mad_i32_i24 v33, 0xffffffe4, v8, v29
	v_or_b32_e32 v0, v5, v6
	v_cmp_eq_u32_e64 s0, 0, v5
	v_cmp_gt_u32_e64 s6, 8, v8
	v_cmp_lt_u32_e64 s7, 31, v8
	v_cmp_eq_u32_e64 s8, 0, v8
	v_add_nc_u32_e32 v30, 32, v29
	v_cmp_eq_u32_e64 s12, v17, v8
	v_add_nc_u32_e32 v34, -4, v32
	v_add_nc_u32_e32 v35, v33, v7
	v_lshlrev_b32_e32 v38, 3, v0
	v_lshrrev_b32_e32 v39, 5, v3
	s_waitcnt vmcnt(2)
	v_add_nc_u32_e32 v5, 1, v14
	v_add_nc_u32_e32 v4, 1, v13
	s_waitcnt vmcnt(1)
	v_add_nc_u32_e32 v7, 1, v16
	v_add_nc_u32_e32 v6, 1, v15
	s_waitcnt vmcnt(0)
	v_add_nc_u32_e32 v18, 1, v2
	v_add_nc_u32_e32 v17, 1, v1
	s_branch .LBB171_2
.LBB171_1:                              ;   in Loop: Header=BB171_2 Depth=1
	s_barrier
	buffer_gl0_inv
	ds_store_b64 v40, v[13:14]
	ds_store_b64 v41, v[23:24]
	;; [unrolled: 1-line block ×3, first 2 shown]
	s_waitcnt lgkmcnt(0)
	s_barrier
	buffer_gl0_inv
	ds_load_2addr_b64 v[0:3], v35 offset1:1
	ds_load_b64 v[21:22], v35 offset:16
	s_waitcnt lgkmcnt(0)
	s_barrier
	buffer_gl0_inv
	ds_store_b64 v40, v[17:18]
	ds_store_b64 v41, v[15:16]
	ds_store_b64 v42, v[19:20]
	s_waitcnt lgkmcnt(0)
	s_barrier
	buffer_gl0_inv
	ds_load_2addr_b64 v[4:7], v35 offset1:1
	ds_load_b64 v[17:18], v35 offset:16
	s_add_i32 s23, s23, 1
	s_delay_alu instid0(SALU_CYCLE_1)
	s_cmp_lg_u32 s23, 10
	v_xor_b32_e32 v13, 0x80000000, v0
	v_xor_b32_e32 v14, 0x80000000, v1
	;; [unrolled: 1-line block ×6, first 2 shown]
	s_cbranch_scc0 .LBB171_18
.LBB171_2:                              ; =>This Loop Header: Depth=1
                                        ;     Child Loop BB171_4 Depth 2
	v_xor_b32_e32 v14, 0x80000000, v14
	v_xor_b32_e32 v13, 0x80000000, v13
	;; [unrolled: 1-line block ×6, first 2 shown]
	ds_store_2addr_b64 v36, v[13:14], v[15:16] offset1:1
	ds_store_b64 v36, v[1:2] offset:16
	; wave barrier
	ds_load_2addr_b64 v[0:3], v37 offset1:32
	ds_load_b64 v[25:26], v37 offset:512
	; wave barrier
	s_waitcnt lgkmcnt(5)
	ds_store_2addr_b64 v36, v[4:5], v[6:7] offset1:1
	s_waitcnt lgkmcnt(5)
	ds_store_b64 v36, v[17:18] offset:16
	; wave barrier
	ds_load_2addr_b64 v[4:7], v37 offset1:32
	ds_load_b64 v[27:28], v37 offset:512
	s_mov_b32 s16, 8
	s_mov_b32 s17, 32
	;; [unrolled: 1-line block ×3, first 2 shown]
	s_waitcnt lgkmcnt(0)
	s_barrier
	s_branch .LBB171_4
.LBB171_3:                              ;   in Loop: Header=BB171_4 Depth=2
	s_barrier
	buffer_gl0_inv
	ds_store_b64 v40, v[13:14]
	ds_store_b64 v41, v[23:24]
	;; [unrolled: 1-line block ×3, first 2 shown]
	s_waitcnt lgkmcnt(0)
	s_barrier
	buffer_gl0_inv
	ds_load_2addr_b64 v[0:3], v38 offset1:32
	ds_load_b64 v[25:26], v38 offset:512
	s_waitcnt lgkmcnt(0)
	s_barrier
	buffer_gl0_inv
	ds_store_b64 v40, v[17:18]
	ds_store_b64 v41, v[15:16]
	;; [unrolled: 1-line block ×3, first 2 shown]
	s_waitcnt lgkmcnt(0)
	s_barrier
	buffer_gl0_inv
	ds_load_2addr_b64 v[4:7], v38 offset1:32
	ds_load_b64 v[27:28], v38 offset:512
	s_add_i32 s17, s17, -8
	s_add_i32 s16, s16, 8
	s_add_i32 s22, s22, 8
	s_waitcnt lgkmcnt(0)
	s_barrier
	s_cbranch_execz .LBB171_1
.LBB171_4:                              ;   Parent Loop BB171_2 Depth=1
                                        ; =>  This Inner Loop Header: Depth=2
	s_min_i32 s14, s16, 32
	s_cmp_lt_u32 s22, 32
	v_dual_mov_b32 v14, v1 :: v_dual_mov_b32 v13, v0
	s_cselect_b32 vcc_lo, -1, 0
	s_cmp_gt_u32 s22, 24
	buffer_gl0_inv
	s_cselect_b32 s13, -1, 0
	s_sub_i32 s14, s14, 32
	v_lshrrev_b32_e32 v1, s22, v14
	s_add_i32 s15, s14, s17
	ds_store_2addr_b64 v29, v[9:10], v[11:12] offset0:4 offset1:5
	ds_store_2addr_b64 v30, v[9:10], v[11:12] offset0:2 offset1:3
	s_lshl_b32 s15, -1, s15
	s_waitcnt lgkmcnt(0)
	s_not_b32 s15, s15
	s_cmp_lg_u32 s14, s22
	s_barrier
	s_cselect_b32 s24, s15, -1
	s_max_i32 s25, s17, 0
	s_max_i32 s14, s22, 32
	v_and_b32_e32 v1, s24, v1
	s_sub_i32 s15, s14, s25
	s_sub_i32 s26, s14, 32
	;; [unrolled: 1-line block ×3, first 2 shown]
	v_lshrrev_b32_e32 v0, s26, v13
	s_min_i32 s14, s15, 32
	buffer_gl0_inv
	s_sub_i32 s14, s14, s26
	s_delay_alu instid0(SALU_CYCLE_1) | instskip(NEXT) | instid1(SALU_CYCLE_1)
	s_lshl_b32 s15, -1, s14
	; wave barrier
	s_not_b32 s15, s15
	s_cmp_lg_u32 s14, 32
	v_cndmask_b32_e32 v1, 0, v1, vcc_lo
	s_cselect_b32 s27, s15, -1
	v_mov_b32_e32 v24, v3
	v_dual_mov_b32 v23, v2 :: v_dual_and_b32 v0, s27, v0
	s_delay_alu instid0(VALU_DEP_1) | instskip(NEXT) | instid1(VALU_DEP_1)
	v_lshlrev_b32_e32 v0, s25, v0
	v_cndmask_b32_e64 v0, 0, v0, s13
	s_delay_alu instid0(VALU_DEP_1) | instskip(NEXT) | instid1(VALU_DEP_1)
	v_or_b32_e32 v1, v1, v0
	v_and_b32_e32 v0, 1, v1
	v_lshlrev_b32_e32 v15, 30, v1
	v_lshlrev_b32_e32 v16, 29, v1
	;; [unrolled: 1-line block ×4, first 2 shown]
	v_add_co_u32 v0, s14, v0, -1
	s_delay_alu instid0(VALU_DEP_1)
	v_cndmask_b32_e64 v18, 0, 1, s14
	v_not_b32_e32 v22, v15
	v_cmp_gt_i32_e64 s15, 0, v15
	v_not_b32_e32 v15, v16
	v_lshlrev_b32_e32 v20, 26, v1
	v_cmp_ne_u32_e64 s14, 0, v18
	v_ashrrev_i32_e32 v22, 31, v22
	v_lshlrev_b32_e32 v21, 25, v1
	v_ashrrev_i32_e32 v15, 31, v15
	v_lshlrev_b32_e32 v18, 24, v1
	v_xor_b32_e32 v0, s14, v0
	v_cmp_gt_i32_e64 s14, 0, v16
	v_not_b32_e32 v16, v17
	v_xor_b32_e32 v22, s15, v22
	v_cmp_gt_i32_e64 s15, 0, v17
	v_and_b32_e32 v0, exec_lo, v0
	v_not_b32_e32 v17, v19
	v_ashrrev_i32_e32 v16, 31, v16
	v_xor_b32_e32 v15, s14, v15
	v_cmp_gt_i32_e64 s14, 0, v19
	v_and_b32_e32 v0, v0, v22
	v_not_b32_e32 v19, v20
	v_ashrrev_i32_e32 v17, 31, v17
	v_xor_b32_e32 v16, s15, v16
	v_cmp_gt_i32_e64 s15, 0, v20
	v_and_b32_e32 v0, v0, v15
	v_not_b32_e32 v15, v21
	v_ashrrev_i32_e32 v19, 31, v19
	v_xor_b32_e32 v17, s14, v17
	v_cmp_gt_i32_e64 s14, 0, v21
	v_dual_mov_b32 v21, v25 :: v_dual_and_b32 v0, v0, v16
	v_not_b32_e32 v16, v18
	v_ashrrev_i32_e32 v15, 31, v15
	v_xor_b32_e32 v19, s15, v19
	v_cmp_gt_i32_e64 s15, 0, v18
	v_and_b32_e32 v0, v0, v17
	v_ashrrev_i32_e32 v16, 31, v16
	v_xor_b32_e32 v15, s14, v15
	v_mov_b32_e32 v22, v26
	v_lshl_add_u32 v1, v1, 3, v39
	v_and_b32_e32 v0, v0, v19
	v_xor_b32_e32 v19, s15, v16
	v_dual_mov_b32 v18, v5 :: v_dual_mov_b32 v17, v4
	s_delay_alu instid0(VALU_DEP_4) | instskip(NEXT) | instid1(VALU_DEP_4)
	v_lshl_add_u32 v26, v1, 2, 32
	v_and_b32_e32 v0, v0, v15
	v_dual_mov_b32 v16, v7 :: v_dual_mov_b32 v15, v6
	s_delay_alu instid0(VALU_DEP_2) | instskip(SKIP_1) | instid1(VALU_DEP_2)
	v_dual_mov_b32 v19, v27 :: v_dual_and_b32 v0, v0, v19
	v_mov_b32_e32 v20, v28
	v_mbcnt_lo_u32_b32 v25, v0, 0
	v_cmp_ne_u32_e64 s15, 0, v0
	s_delay_alu instid0(VALU_DEP_2) | instskip(NEXT) | instid1(VALU_DEP_1)
	v_cmp_eq_u32_e64 s14, 0, v25
	s_and_b32 s15, s14, s15
	s_delay_alu instid0(SALU_CYCLE_1)
	s_and_saveexec_b32 s14, s15
	s_cbranch_execz .LBB171_6
; %bb.5:                                ;   in Loop: Header=BB171_4 Depth=2
	v_bcnt_u32_b32 v0, v0, 0
	ds_store_b32 v26, v0
.LBB171_6:                              ;   in Loop: Header=BB171_4 Depth=2
	s_or_b32 exec_lo, exec_lo, s14
	v_lshrrev_b32_e32 v0, s26, v23
	v_lshrrev_b32_e32 v1, s22, v24
	; wave barrier
	s_delay_alu instid0(VALU_DEP_1) | instskip(NEXT) | instid1(VALU_DEP_1)
	v_and_b32_e32 v1, s24, v1
	v_dual_cndmask_b32 v1, 0, v1 :: v_dual_and_b32 v0, s27, v0
	s_delay_alu instid0(VALU_DEP_1) | instskip(NEXT) | instid1(VALU_DEP_1)
	v_lshlrev_b32_e32 v0, s25, v0
	v_cndmask_b32_e64 v0, 0, v0, s13
	s_delay_alu instid0(VALU_DEP_1) | instskip(NEXT) | instid1(VALU_DEP_1)
	v_or_b32_e32 v0, v1, v0
	v_and_b32_e32 v1, 1, v0
	v_lshlrev_b32_e32 v2, 30, v0
	v_lshlrev_b32_e32 v3, 29, v0
	;; [unrolled: 1-line block ×4, first 2 shown]
	v_add_co_u32 v1, s14, v1, -1
	s_delay_alu instid0(VALU_DEP_1)
	v_cndmask_b32_e64 v5, 0, 1, s14
	v_not_b32_e32 v28, v2
	v_cmp_gt_i32_e64 s15, 0, v2
	v_not_b32_e32 v2, v3
	v_lshlrev_b32_e32 v7, 26, v0
	v_cmp_ne_u32_e64 s14, 0, v5
	v_ashrrev_i32_e32 v28, 31, v28
	v_lshlrev_b32_e32 v27, 25, v0
	v_ashrrev_i32_e32 v2, 31, v2
	v_lshlrev_b32_e32 v5, 24, v0
	v_xor_b32_e32 v1, s14, v1
	v_cmp_gt_i32_e64 s14, 0, v3
	v_not_b32_e32 v3, v4
	v_xor_b32_e32 v28, s15, v28
	v_cmp_gt_i32_e64 s15, 0, v4
	v_and_b32_e32 v1, exec_lo, v1
	v_not_b32_e32 v4, v6
	v_ashrrev_i32_e32 v3, 31, v3
	v_xor_b32_e32 v2, s14, v2
	v_cmp_gt_i32_e64 s14, 0, v6
	v_and_b32_e32 v1, v1, v28
	v_not_b32_e32 v6, v7
	v_ashrrev_i32_e32 v4, 31, v4
	v_xor_b32_e32 v3, s15, v3
	v_cmp_gt_i32_e64 s15, 0, v7
	v_and_b32_e32 v1, v1, v2
	;; [unrolled: 5-line block ×3, first 2 shown]
	v_not_b32_e32 v3, v5
	v_ashrrev_i32_e32 v2, 31, v2
	v_xor_b32_e32 v6, s15, v6
	v_lshlrev_b32_e32 v0, 3, v0
	v_and_b32_e32 v1, v1, v4
	v_cmp_gt_i32_e64 s15, 0, v5
	v_ashrrev_i32_e32 v3, 31, v3
	v_xor_b32_e32 v2, s14, v2
	v_add_lshl_u32 v4, v0, v39, 2
	v_and_b32_e32 v1, v1, v6
	s_delay_alu instid0(VALU_DEP_4) | instskip(SKIP_3) | instid1(VALU_DEP_2)
	v_xor_b32_e32 v0, s15, v3
	ds_load_b32 v27, v4 offset:32
	v_and_b32_e32 v1, v1, v2
	v_add_nc_u32_e32 v40, 32, v4
	; wave barrier
	v_and_b32_e32 v0, v1, v0
	s_delay_alu instid0(VALU_DEP_1) | instskip(SKIP_1) | instid1(VALU_DEP_2)
	v_mbcnt_lo_u32_b32 v28, v0, 0
	v_cmp_ne_u32_e64 s15, 0, v0
	v_cmp_eq_u32_e64 s14, 0, v28
	s_delay_alu instid0(VALU_DEP_1) | instskip(NEXT) | instid1(SALU_CYCLE_1)
	s_and_b32 s15, s14, s15
	s_and_saveexec_b32 s14, s15
	s_cbranch_execz .LBB171_8
; %bb.7:                                ;   in Loop: Header=BB171_4 Depth=2
	s_waitcnt lgkmcnt(0)
	v_bcnt_u32_b32 v0, v0, v27
	ds_store_b32 v40, v0
.LBB171_8:                              ;   in Loop: Header=BB171_4 Depth=2
	s_or_b32 exec_lo, exec_lo, s14
	v_lshrrev_b32_e32 v0, s26, v21
	v_lshrrev_b32_e32 v1, s22, v22
	; wave barrier
	s_delay_alu instid0(VALU_DEP_1) | instskip(NEXT) | instid1(VALU_DEP_1)
	v_and_b32_e32 v1, s24, v1
	v_dual_cndmask_b32 v1, 0, v1 :: v_dual_and_b32 v0, s27, v0
	s_delay_alu instid0(VALU_DEP_1) | instskip(NEXT) | instid1(VALU_DEP_1)
	v_lshlrev_b32_e32 v0, s25, v0
	v_cndmask_b32_e64 v0, 0, v0, s13
	s_delay_alu instid0(VALU_DEP_1) | instskip(NEXT) | instid1(VALU_DEP_1)
	v_or_b32_e32 v0, v1, v0
	v_and_b32_e32 v1, 1, v0
	v_lshlrev_b32_e32 v2, 30, v0
	v_lshlrev_b32_e32 v3, 29, v0
	;; [unrolled: 1-line block ×4, first 2 shown]
	v_add_co_u32 v1, s13, v1, -1
	s_delay_alu instid0(VALU_DEP_1)
	v_cndmask_b32_e64 v5, 0, 1, s13
	v_not_b32_e32 v42, v2
	v_cmp_gt_i32_e64 s13, 0, v2
	v_not_b32_e32 v2, v3
	v_lshlrev_b32_e32 v7, 26, v0
	v_cmp_ne_u32_e32 vcc_lo, 0, v5
	v_ashrrev_i32_e32 v42, 31, v42
	v_lshlrev_b32_e32 v41, 25, v0
	v_ashrrev_i32_e32 v2, 31, v2
	v_lshlrev_b32_e32 v5, 24, v0
	v_xor_b32_e32 v1, vcc_lo, v1
	v_cmp_gt_i32_e32 vcc_lo, 0, v3
	v_not_b32_e32 v3, v4
	v_xor_b32_e32 v42, s13, v42
	v_cmp_gt_i32_e64 s13, 0, v4
	v_and_b32_e32 v1, exec_lo, v1
	v_not_b32_e32 v4, v6
	v_ashrrev_i32_e32 v3, 31, v3
	v_xor_b32_e32 v2, vcc_lo, v2
	v_cmp_gt_i32_e32 vcc_lo, 0, v6
	v_and_b32_e32 v1, v1, v42
	v_not_b32_e32 v6, v7
	v_ashrrev_i32_e32 v4, 31, v4
	v_xor_b32_e32 v3, s13, v3
	v_cmp_gt_i32_e64 s13, 0, v7
	v_and_b32_e32 v1, v1, v2
	v_not_b32_e32 v2, v41
	v_ashrrev_i32_e32 v6, 31, v6
	v_xor_b32_e32 v4, vcc_lo, v4
	v_cmp_gt_i32_e32 vcc_lo, 0, v41
	v_and_b32_e32 v1, v1, v3
	v_not_b32_e32 v3, v5
	v_ashrrev_i32_e32 v2, 31, v2
	v_xor_b32_e32 v6, s13, v6
	v_lshlrev_b32_e32 v0, 3, v0
	v_and_b32_e32 v1, v1, v4
	v_cmp_gt_i32_e64 s13, 0, v5
	v_ashrrev_i32_e32 v3, 31, v3
	v_xor_b32_e32 v2, vcc_lo, v2
	v_add_lshl_u32 v4, v0, v39, 2
	v_and_b32_e32 v1, v1, v6
	s_delay_alu instid0(VALU_DEP_4) | instskip(SKIP_3) | instid1(VALU_DEP_2)
	v_xor_b32_e32 v0, s13, v3
	ds_load_b32 v41, v4 offset:32
	v_and_b32_e32 v1, v1, v2
	v_add_nc_u32_e32 v43, 32, v4
	; wave barrier
	v_and_b32_e32 v0, v1, v0
	s_delay_alu instid0(VALU_DEP_1) | instskip(SKIP_1) | instid1(VALU_DEP_2)
	v_mbcnt_lo_u32_b32 v42, v0, 0
	v_cmp_ne_u32_e64 s13, 0, v0
	v_cmp_eq_u32_e32 vcc_lo, 0, v42
	s_delay_alu instid0(VALU_DEP_2) | instskip(NEXT) | instid1(SALU_CYCLE_1)
	s_and_b32 s14, vcc_lo, s13
	s_and_saveexec_b32 s13, s14
	s_cbranch_execz .LBB171_10
; %bb.9:                                ;   in Loop: Header=BB171_4 Depth=2
	s_waitcnt lgkmcnt(0)
	v_bcnt_u32_b32 v0, v0, v41
	ds_store_b32 v43, v0
.LBB171_10:                             ;   in Loop: Header=BB171_4 Depth=2
	s_or_b32 exec_lo, exec_lo, s13
	; wave barrier
	s_waitcnt lgkmcnt(0)
	s_barrier
	buffer_gl0_inv
	ds_load_2addr_b64 v[4:7], v29 offset0:4 offset1:5
	ds_load_2addr_b64 v[0:3], v30 offset0:2 offset1:3
	s_waitcnt lgkmcnt(1)
	v_add_nc_u32_e32 v44, v5, v4
	s_delay_alu instid0(VALU_DEP_1) | instskip(SKIP_1) | instid1(VALU_DEP_1)
	v_add3_u32 v44, v44, v6, v7
	s_waitcnt lgkmcnt(0)
	v_add3_u32 v44, v44, v0, v1
	s_delay_alu instid0(VALU_DEP_1) | instskip(NEXT) | instid1(VALU_DEP_1)
	v_add3_u32 v3, v44, v2, v3
	v_mov_b32_dpp v44, v3 row_shr:1 row_mask:0xf bank_mask:0xf
	s_delay_alu instid0(VALU_DEP_1) | instskip(NEXT) | instid1(VALU_DEP_1)
	v_cndmask_b32_e64 v44, v44, 0, s1
	v_add_nc_u32_e32 v3, v44, v3
	s_delay_alu instid0(VALU_DEP_1) | instskip(NEXT) | instid1(VALU_DEP_1)
	v_mov_b32_dpp v44, v3 row_shr:2 row_mask:0xf bank_mask:0xf
	v_cndmask_b32_e64 v44, 0, v44, s2
	s_delay_alu instid0(VALU_DEP_1) | instskip(NEXT) | instid1(VALU_DEP_1)
	v_add_nc_u32_e32 v3, v3, v44
	v_mov_b32_dpp v44, v3 row_shr:4 row_mask:0xf bank_mask:0xf
	s_delay_alu instid0(VALU_DEP_1) | instskip(NEXT) | instid1(VALU_DEP_1)
	v_cndmask_b32_e64 v44, 0, v44, s3
	v_add_nc_u32_e32 v3, v3, v44
	s_delay_alu instid0(VALU_DEP_1) | instskip(NEXT) | instid1(VALU_DEP_1)
	v_mov_b32_dpp v44, v3 row_shr:8 row_mask:0xf bank_mask:0xf
	v_cndmask_b32_e64 v44, 0, v44, s4
	s_delay_alu instid0(VALU_DEP_1) | instskip(SKIP_3) | instid1(VALU_DEP_1)
	v_add_nc_u32_e32 v3, v3, v44
	ds_swizzle_b32 v44, v3 offset:swizzle(BROADCAST,32,15)
	s_waitcnt lgkmcnt(0)
	v_cndmask_b32_e64 v44, v44, 0, s5
	v_add_nc_u32_e32 v3, v3, v44
	s_and_saveexec_b32 s13, s12
	s_cbranch_execz .LBB171_12
; %bb.11:                               ;   in Loop: Header=BB171_4 Depth=2
	ds_store_b32 v32, v3
.LBB171_12:                             ;   in Loop: Header=BB171_4 Depth=2
	s_or_b32 exec_lo, exec_lo, s13
	s_waitcnt lgkmcnt(0)
	s_barrier
	buffer_gl0_inv
	s_and_saveexec_b32 s13, s6
	s_cbranch_execz .LBB171_14
; %bb.13:                               ;   in Loop: Header=BB171_4 Depth=2
	ds_load_b32 v44, v33
	s_waitcnt lgkmcnt(0)
	v_mov_b32_dpp v45, v44 row_shr:1 row_mask:0xf bank_mask:0xf
	s_delay_alu instid0(VALU_DEP_1) | instskip(NEXT) | instid1(VALU_DEP_1)
	v_cndmask_b32_e64 v45, v45, 0, s9
	v_add_nc_u32_e32 v44, v45, v44
	s_delay_alu instid0(VALU_DEP_1) | instskip(NEXT) | instid1(VALU_DEP_1)
	v_mov_b32_dpp v45, v44 row_shr:2 row_mask:0xf bank_mask:0xf
	v_cndmask_b32_e64 v45, 0, v45, s10
	s_delay_alu instid0(VALU_DEP_1) | instskip(NEXT) | instid1(VALU_DEP_1)
	v_add_nc_u32_e32 v44, v44, v45
	v_mov_b32_dpp v45, v44 row_shr:4 row_mask:0xf bank_mask:0xf
	s_delay_alu instid0(VALU_DEP_1) | instskip(NEXT) | instid1(VALU_DEP_1)
	v_cndmask_b32_e64 v45, 0, v45, s11
	v_add_nc_u32_e32 v44, v44, v45
	ds_store_b32 v33, v44
.LBB171_14:                             ;   in Loop: Header=BB171_4 Depth=2
	s_or_b32 exec_lo, exec_lo, s13
	v_mov_b32_e32 v44, 0
	s_waitcnt lgkmcnt(0)
	s_barrier
	buffer_gl0_inv
	s_and_saveexec_b32 s13, s7
	s_cbranch_execz .LBB171_16
; %bb.15:                               ;   in Loop: Header=BB171_4 Depth=2
	ds_load_b32 v44, v34
.LBB171_16:                             ;   in Loop: Header=BB171_4 Depth=2
	s_or_b32 exec_lo, exec_lo, s13
	s_waitcnt lgkmcnt(0)
	v_add_nc_u32_e32 v3, v44, v3
	s_cmp_gt_u32 s22, 55
	ds_bpermute_b32 v3, v31, v3
	s_waitcnt lgkmcnt(0)
	v_cndmask_b32_e64 v3, v3, v44, s0
	s_delay_alu instid0(VALU_DEP_1) | instskip(NEXT) | instid1(VALU_DEP_1)
	v_cndmask_b32_e64 v3, v3, 0, s8
	v_add_nc_u32_e32 v4, v3, v4
	s_delay_alu instid0(VALU_DEP_1) | instskip(NEXT) | instid1(VALU_DEP_1)
	v_add_nc_u32_e32 v5, v4, v5
	v_add_nc_u32_e32 v6, v5, v6
	s_delay_alu instid0(VALU_DEP_1) | instskip(SKIP_1) | instid1(VALU_DEP_2)
	v_add_nc_u32_e32 v44, v6, v7
	v_lshlrev_b32_e32 v7, 3, v41
	v_add_nc_u32_e32 v45, v44, v0
	s_delay_alu instid0(VALU_DEP_1) | instskip(NEXT) | instid1(VALU_DEP_1)
	v_add_nc_u32_e32 v0, v45, v1
	v_add_nc_u32_e32 v1, v0, v2
	ds_store_2addr_b64 v29, v[3:4], v[5:6] offset0:4 offset1:5
	ds_store_2addr_b64 v30, v[44:45], v[0:1] offset0:2 offset1:3
	s_waitcnt lgkmcnt(0)
	s_barrier
	buffer_gl0_inv
	ds_load_b32 v0, v40
	ds_load_b32 v1, v43
	;; [unrolled: 1-line block ×3, first 2 shown]
	v_lshlrev_b32_e32 v3, 3, v25
	v_lshlrev_b32_e32 v4, 3, v28
	;; [unrolled: 1-line block ×4, first 2 shown]
	s_waitcnt lgkmcnt(0)
	v_lshlrev_b32_e32 v0, 3, v0
	v_lshlrev_b32_e32 v1, 3, v1
	v_lshl_add_u32 v40, v2, 3, v3
	s_delay_alu instid0(VALU_DEP_3) | instskip(NEXT) | instid1(VALU_DEP_3)
	v_add3_u32 v41, v4, v5, v0
	v_add3_u32 v42, v6, v7, v1
	s_cbranch_scc0 .LBB171_3
; %bb.17:                               ;   in Loop: Header=BB171_2 Depth=1
                                        ; implicit-def: $sgpr22
                                        ; implicit-def: $vgpr4_vgpr5
                                        ; implicit-def: $vgpr27_vgpr28
                                        ; implicit-def: $vgpr0_vgpr1
                                        ; implicit-def: $vgpr25_vgpr26
                                        ; implicit-def: $sgpr17
                                        ; implicit-def: $sgpr16
	s_branch .LBB171_1
.LBB171_18:
	v_lshlrev_b32_e32 v9, 3, v8
	s_add_u32 s0, s18, s20
	s_waitcnt lgkmcnt(1)
	v_add_nc_u32_e32 v3, v13, v4
	v_add_nc_u32_e32 v4, v14, v5
	;; [unrolled: 1-line block ×4, first 2 shown]
	s_addc_u32 s1, s19, s21
	v_add_co_u32 v7, s2, s0, v9
	s_delay_alu instid0(VALU_DEP_1) | instskip(SKIP_2) | instid1(VALU_DEP_3)
	v_add_co_ci_u32_e64 v8, null, s1, 0, s2
	s_waitcnt lgkmcnt(0)
	v_add_nc_u32_e32 v0, v1, v17
	v_add_co_u32 v7, vcc_lo, 0x1000, v7
	v_add_nc_u32_e32 v1, v2, v18
	v_add_co_ci_u32_e32 v8, vcc_lo, 0, v8, vcc_lo
	s_clause 0x2
	global_store_b64 v9, v[3:4], s[0:1]
	global_store_b64 v9, v[5:6], s[0:1] offset:2048
	global_store_b64 v[7:8], v[0:1], off
	s_nop 0
	s_sendmsg sendmsg(MSG_DEALLOC_VGPRS)
	s_endpgm
	.section	.rodata,"a",@progbits
	.p2align	6, 0x0
	.amdhsa_kernel _Z17sort_pairs_kernelI22helper_blocked_blockedN15benchmark_utils11custom_typeIiiEELj256ELj3ELj10EEvPKT0_PS4_
		.amdhsa_group_segment_fixed_size 8224
		.amdhsa_private_segment_fixed_size 0
		.amdhsa_kernarg_size 272
		.amdhsa_user_sgpr_count 15
		.amdhsa_user_sgpr_dispatch_ptr 0
		.amdhsa_user_sgpr_queue_ptr 0
		.amdhsa_user_sgpr_kernarg_segment_ptr 1
		.amdhsa_user_sgpr_dispatch_id 0
		.amdhsa_user_sgpr_private_segment_size 0
		.amdhsa_wavefront_size32 1
		.amdhsa_uses_dynamic_stack 0
		.amdhsa_enable_private_segment 0
		.amdhsa_system_sgpr_workgroup_id_x 1
		.amdhsa_system_sgpr_workgroup_id_y 0
		.amdhsa_system_sgpr_workgroup_id_z 0
		.amdhsa_system_sgpr_workgroup_info 0
		.amdhsa_system_vgpr_workitem_id 2
		.amdhsa_next_free_vgpr 46
		.amdhsa_next_free_sgpr 28
		.amdhsa_reserve_vcc 1
		.amdhsa_float_round_mode_32 0
		.amdhsa_float_round_mode_16_64 0
		.amdhsa_float_denorm_mode_32 3
		.amdhsa_float_denorm_mode_16_64 3
		.amdhsa_dx10_clamp 1
		.amdhsa_ieee_mode 1
		.amdhsa_fp16_overflow 0
		.amdhsa_workgroup_processor_mode 1
		.amdhsa_memory_ordered 1
		.amdhsa_forward_progress 0
		.amdhsa_shared_vgpr_count 0
		.amdhsa_exception_fp_ieee_invalid_op 0
		.amdhsa_exception_fp_denorm_src 0
		.amdhsa_exception_fp_ieee_div_zero 0
		.amdhsa_exception_fp_ieee_overflow 0
		.amdhsa_exception_fp_ieee_underflow 0
		.amdhsa_exception_fp_ieee_inexact 0
		.amdhsa_exception_int_div_zero 0
	.end_amdhsa_kernel
	.section	.text._Z17sort_pairs_kernelI22helper_blocked_blockedN15benchmark_utils11custom_typeIiiEELj256ELj3ELj10EEvPKT0_PS4_,"axG",@progbits,_Z17sort_pairs_kernelI22helper_blocked_blockedN15benchmark_utils11custom_typeIiiEELj256ELj3ELj10EEvPKT0_PS4_,comdat
.Lfunc_end171:
	.size	_Z17sort_pairs_kernelI22helper_blocked_blockedN15benchmark_utils11custom_typeIiiEELj256ELj3ELj10EEvPKT0_PS4_, .Lfunc_end171-_Z17sort_pairs_kernelI22helper_blocked_blockedN15benchmark_utils11custom_typeIiiEELj256ELj3ELj10EEvPKT0_PS4_
                                        ; -- End function
	.section	.AMDGPU.csdata,"",@progbits
; Kernel info:
; codeLenInByte = 3000
; NumSgprs: 30
; NumVgprs: 46
; ScratchSize: 0
; MemoryBound: 0
; FloatMode: 240
; IeeeMode: 1
; LDSByteSize: 8224 bytes/workgroup (compile time only)
; SGPRBlocks: 3
; VGPRBlocks: 5
; NumSGPRsForWavesPerEU: 30
; NumVGPRsForWavesPerEU: 46
; Occupancy: 16
; WaveLimiterHint : 1
; COMPUTE_PGM_RSRC2:SCRATCH_EN: 0
; COMPUTE_PGM_RSRC2:USER_SGPR: 15
; COMPUTE_PGM_RSRC2:TRAP_HANDLER: 0
; COMPUTE_PGM_RSRC2:TGID_X_EN: 1
; COMPUTE_PGM_RSRC2:TGID_Y_EN: 0
; COMPUTE_PGM_RSRC2:TGID_Z_EN: 0
; COMPUTE_PGM_RSRC2:TIDIG_COMP_CNT: 2
	.section	.text._Z16sort_keys_kernelI22helper_blocked_blockedN15benchmark_utils11custom_typeIiiEELj256ELj4ELj10EEvPKT0_PS4_,"axG",@progbits,_Z16sort_keys_kernelI22helper_blocked_blockedN15benchmark_utils11custom_typeIiiEELj256ELj4ELj10EEvPKT0_PS4_,comdat
	.protected	_Z16sort_keys_kernelI22helper_blocked_blockedN15benchmark_utils11custom_typeIiiEELj256ELj4ELj10EEvPKT0_PS4_ ; -- Begin function _Z16sort_keys_kernelI22helper_blocked_blockedN15benchmark_utils11custom_typeIiiEELj256ELj4ELj10EEvPKT0_PS4_
	.globl	_Z16sort_keys_kernelI22helper_blocked_blockedN15benchmark_utils11custom_typeIiiEELj256ELj4ELj10EEvPKT0_PS4_
	.p2align	8
	.type	_Z16sort_keys_kernelI22helper_blocked_blockedN15benchmark_utils11custom_typeIiiEELj256ELj4ELj10EEvPKT0_PS4_,@function
_Z16sort_keys_kernelI22helper_blocked_blockedN15benchmark_utils11custom_typeIiiEELj256ELj4ELj10EEvPKT0_PS4_: ; @_Z16sort_keys_kernelI22helper_blocked_blockedN15benchmark_utils11custom_typeIiiEELj256ELj4ELj10EEvPKT0_PS4_
; %bb.0:
	s_clause 0x1
	s_load_b128 s[20:23], s[0:1], 0x0
	s_load_b32 s3, s[0:1], 0x1c
	s_mov_b32 s27, 0
	s_lshl_b32 s26, s15, 10
	v_mbcnt_lo_u32_b32 v7, -1, 0
	s_lshl_b64 s[24:25], s[26:27], 3
	s_mov_b32 s26, s27
	v_and_b32_e32 v8, 0x3ff, v0
	v_bfe_u32 v9, v0, 10, 10
	v_bfe_u32 v0, v0, 20, 10
	v_and_b32_e32 v11, 3, v7
	s_mov_b32 s18, s27
	v_lshlrev_b32_e32 v3, 3, v8
	s_mov_b32 s19, s27
	v_and_b32_e32 v21, 28, v7
	v_cmp_eq_u32_e64 s12, 0, v7
	s_waitcnt lgkmcnt(0)
	s_add_u32 s0, s20, s24
	s_addc_u32 s1, s21, s25
	v_add_co_u32 v1, s2, s0, v3
	s_delay_alu instid0(VALU_DEP_1) | instskip(NEXT) | instid1(VALU_DEP_2)
	v_add_co_ci_u32_e64 v2, null, s1, 0, s2
	v_add_co_u32 v1, vcc_lo, 0x1000, v1
	s_delay_alu instid0(VALU_DEP_2)
	v_add_co_ci_u32_e32 v2, vcc_lo, 0, v2, vcc_lo
	s_clause 0x3
	global_load_b64 v[5:6], v3, s[0:1]
	global_load_b64 v[13:14], v3, s[0:1] offset:2048
	global_load_b64 v[3:4], v[1:2], off
	global_load_b64 v[1:2], v[1:2], off offset:2048
	s_lshr_b32 s1, s3, 16
	s_and_b32 s3, s3, 0xffff
	v_mad_u32_u24 v0, v0, s1, v9
	s_delay_alu instid0(VALU_DEP_1) | instskip(SKIP_2) | instid1(VALU_DEP_2)
	v_mad_u64_u32 v[9:10], null, v0, s3, v[8:9]
	v_and_b32_e32 v0, 15, v7
	v_and_b32_e32 v10, 16, v7
	v_cmp_eq_u32_e64 s4, 0, v0
	s_delay_alu instid0(VALU_DEP_4)
	v_lshrrev_b32_e32 v27, 5, v9
	v_add_nc_u32_e32 v9, -1, v7
	v_cmp_lt_u32_e64 s5, 1, v0
	v_cmp_lt_u32_e64 s6, 3, v0
	;; [unrolled: 1-line block ×3, first 2 shown]
	v_cmp_eq_u32_e64 s8, 0, v10
	v_cmp_gt_i32_e32 vcc_lo, 0, v9
	v_and_b32_e32 v10, 7, v7
	v_dual_cndmask_b32 v0, v9, v7 :: v_dual_lshlrev_b32 v9, 2, v8
	s_delay_alu instid0(VALU_DEP_2) | instskip(SKIP_2) | instid1(VALU_DEP_4)
	v_cmp_eq_u32_e64 s14, 0, v10
	v_cmp_lt_u32_e64 s15, 1, v10
	v_cmp_lt_u32_e64 s16, 3, v10
	v_lshlrev_b32_e32 v28, 2, v0
	v_lshrrev_b32_e32 v0, 3, v8
	s_delay_alu instid0(VALU_DEP_1)
	v_and_b32_e32 v29, 28, v0
	v_and_or_b32 v0, 0x380, v9, v7
	v_dual_mov_b32 v9, s26 :: v_dual_lshlrev_b32 v22, 5, v8
	v_mov_b32_e32 v10, s27
	v_cmp_eq_u32_e64 s0, 0, v11
	v_cmp_eq_u32_e64 s1, 1, v11
	;; [unrolled: 1-line block ×4, first 2 shown]
	v_or_b32_e32 v11, 31, v8
	v_lshlrev_b32_e32 v32, 3, v0
	v_mul_u32_u24_e32 v0, 28, v8
	v_cmp_gt_u32_e64 s10, 8, v8
	v_cmp_lt_u32_e64 s11, 31, v8
	v_cmp_eq_u32_e64 s9, v11, v8
	v_mov_b32_e32 v11, s18
	v_mad_i32_i24 v30, 0xffffffe4, v8, v22
	v_add_nc_u32_e32 v26, 32, v22
	v_cmp_eq_u32_e64 s13, 0, v8
	v_dual_mov_b32 v12, s19 :: v_dual_add_nc_u32 v31, -4, v29
	v_or_b32_e32 v23, 32, v21
	v_or_b32_e32 v24, 64, v21
	;; [unrolled: 1-line block ×3, first 2 shown]
	v_add_nc_u32_e32 v33, v30, v0
	s_branch .LBB172_2
.LBB172_1:                              ;   in Loop: Header=BB172_2 Depth=1
	s_barrier
	buffer_gl0_inv
	ds_store_b64 v34, v[13:14]
	ds_store_b64 v35, v[19:20]
	;; [unrolled: 1-line block ×4, first 2 shown]
	s_waitcnt lgkmcnt(0)
	s_barrier
	buffer_gl0_inv
	ds_load_2addr_b64 v[0:3], v33 offset1:1
	ds_load_2addr_b64 v[15:18], v33 offset0:2 offset1:3
	s_add_i32 s27, s27, 1
	s_delay_alu instid0(SALU_CYCLE_1)
	s_cmp_eq_u32 s27, 10
	s_waitcnt lgkmcnt(1)
	v_xor_b32_e32 v5, 0x80000000, v0
	v_xor_b32_e32 v6, 0x80000000, v1
	;; [unrolled: 1-line block ×4, first 2 shown]
	s_waitcnt lgkmcnt(0)
	v_xor_b32_e32 v3, 0x80000000, v15
	v_xor_b32_e32 v4, 0x80000000, v16
	;; [unrolled: 1-line block ×4, first 2 shown]
	s_cbranch_scc1 .LBB172_20
.LBB172_2:                              ; =>This Loop Header: Depth=1
                                        ;     Child Loop BB172_4 Depth 2
	s_waitcnt vmcnt(3)
	v_xor_b32_e32 v0, 0x80000000, v6
	v_xor_b32_e32 v5, 0x80000000, v5
	s_waitcnt vmcnt(2)
	v_xor_b32_e32 v6, 0x80000000, v13
	v_xor_b32_e32 v7, 0x80000000, v14
	s_waitcnt vmcnt(1)
	v_xor_b32_e32 v3, 0x80000000, v3
	ds_bpermute_b32 v13, v21, v0
	ds_bpermute_b32 v14, v21, v5
	s_waitcnt vmcnt(0)
	v_xor_b32_e32 v15, 0x80000000, v1
	ds_bpermute_b32 v1, v21, v7
	ds_bpermute_b32 v16, v21, v6
	v_xor_b32_e32 v4, 0x80000000, v4
	ds_bpermute_b32 v17, v23, v0
	ds_bpermute_b32 v20, v21, v3
	;; [unrolled: 3-line block ×3, first 2 shown]
	ds_bpermute_b32 v34, v21, v15
	ds_bpermute_b32 v35, v23, v7
	;; [unrolled: 1-line block ×9, first 2 shown]
	s_waitcnt lgkmcnt(16)
	v_cndmask_b32_e64 v13, 0, v13, s0
	s_waitcnt lgkmcnt(15)
	v_cndmask_b32_e64 v14, 0, v14, s0
	ds_bpermute_b32 v42, v24, v6
	ds_bpermute_b32 v43, v24, v7
	;; [unrolled: 1-line block ×3, first 2 shown]
	s_waitcnt lgkmcnt(17)
	v_cndmask_b32_e64 v1, v13, v1, s1
	s_waitcnt lgkmcnt(16)
	v_cndmask_b32_e64 v13, v14, v16, s1
	ds_bpermute_b32 v14, v25, v0
	s_waitcnt lgkmcnt(16)
	v_cndmask_b32_e64 v0, 0, v17, s0
	ds_bpermute_b32 v6, v25, v6
	s_waitcnt lgkmcnt(15)
	v_cndmask_b32_e64 v16, 0, v18, s0
	v_cndmask_b32_e64 v13, v13, v20, s2
	s_waitcnt lgkmcnt(14)
	v_cndmask_b32_e64 v1, v1, v19, s2
	s_waitcnt lgkmcnt(12)
	v_cndmask_b32_e64 v17, v0, v35, s1
	ds_bpermute_b32 v18, v24, v4
	ds_bpermute_b32 v19, v24, v3
	v_cndmask_b32_e64 v0, v13, v34, s3
	ds_bpermute_b32 v13, v23, v2
	ds_bpermute_b32 v4, v25, v4
	;; [unrolled: 1-line block ×3, first 2 shown]
	s_waitcnt lgkmcnt(16)
	v_cndmask_b32_e64 v16, v16, v36, s1
	s_waitcnt lgkmcnt(15)
	v_cndmask_b32_e64 v1, v1, v37, s3
	ds_bpermute_b32 v34, v23, v15
	ds_bpermute_b32 v35, v24, v2
	;; [unrolled: 1-line block ×5, first 2 shown]
	s_waitcnt lgkmcnt(19)
	v_cndmask_b32_e64 v2, v17, v39, s2
	s_waitcnt lgkmcnt(17)
	v_cndmask_b32_e64 v3, 0, v41, s0
	v_cndmask_b32_e64 v17, 0, v40, s0
	s_waitcnt lgkmcnt(11)
	v_cndmask_b32_e64 v14, 0, v14, s0
	v_cndmask_b32_e64 v5, 0, v5, s0
	;; [unrolled: 1-line block ×6, first 2 shown]
	s_waitcnt lgkmcnt(10)
	v_cndmask_b32_e64 v5, v5, v6, s1
	s_waitcnt lgkmcnt(7)
	v_cndmask_b32_e64 v3, v2, v13, s3
	v_cndmask_b32_e64 v6, v38, v18, s2
	;; [unrolled: 1-line block ×3, first 2 shown]
	s_waitcnt lgkmcnt(6)
	v_cndmask_b32_e64 v7, v7, v4, s2
	s_waitcnt lgkmcnt(5)
	v_cndmask_b32_e64 v14, v5, v20, s2
	s_waitcnt lgkmcnt(4)
	v_cndmask_b32_e64 v2, v16, v34, s3
	s_waitcnt lgkmcnt(3)
	v_cndmask_b32_e64 v5, v6, v35, s3
	s_waitcnt lgkmcnt(2)
	v_cndmask_b32_e64 v4, v13, v36, s3
	s_waitcnt lgkmcnt(1)
	v_cndmask_b32_e64 v7, v7, v37, s3
	s_waitcnt lgkmcnt(0)
	v_cndmask_b32_e64 v6, v14, v15, s3
	s_mov_b32 s20, 8
	s_mov_b32 s21, 32
	;; [unrolled: 1-line block ×3, first 2 shown]
	s_barrier
	s_branch .LBB172_4
.LBB172_3:                              ;   in Loop: Header=BB172_4 Depth=2
	s_barrier
	buffer_gl0_inv
	ds_store_b64 v34, v[13:14]
	ds_store_b64 v35, v[19:20]
	;; [unrolled: 1-line block ×4, first 2 shown]
	s_waitcnt lgkmcnt(0)
	s_barrier
	buffer_gl0_inv
	ds_load_2addr_b64 v[0:3], v32 offset1:32
	ds_load_2addr_b64 v[4:7], v32 offset0:64 offset1:96
	s_add_i32 s21, s21, -8
	s_add_i32 s20, s20, 8
	s_add_i32 s26, s26, 8
	s_waitcnt lgkmcnt(0)
	s_barrier
	s_cbranch_execz .LBB172_1
.LBB172_4:                              ;   Parent Loop BB172_2 Depth=1
                                        ; =>  This Inner Loop Header: Depth=2
	s_min_i32 s18, s20, 32
	s_cmp_lt_u32 s26, 32
	v_dual_mov_b32 v14, v1 :: v_dual_mov_b32 v13, v0
	s_cselect_b32 vcc_lo, -1, 0
	s_cmp_gt_u32 s26, 24
	buffer_gl0_inv
	s_cselect_b32 s17, -1, 0
	s_sub_i32 s18, s18, 32
	v_lshrrev_b32_e32 v1, s26, v14
	s_add_i32 s19, s18, s21
	ds_store_2addr_b64 v22, v[9:10], v[11:12] offset0:4 offset1:5
	ds_store_2addr_b64 v26, v[9:10], v[11:12] offset0:2 offset1:3
	s_lshl_b32 s19, -1, s19
	s_waitcnt lgkmcnt(0)
	s_not_b32 s19, s19
	s_cmp_lg_u32 s18, s26
	s_barrier
	s_cselect_b32 s28, s19, -1
	s_max_i32 s29, s21, 0
	s_max_i32 s18, s26, 32
	v_and_b32_e32 v1, s28, v1
	s_sub_i32 s19, s18, s29
	s_sub_i32 s30, s18, 32
	;; [unrolled: 1-line block ×3, first 2 shown]
	v_lshrrev_b32_e32 v0, s30, v13
	s_min_i32 s18, s19, 32
	buffer_gl0_inv
	s_sub_i32 s18, s18, s30
	s_delay_alu instid0(SALU_CYCLE_1) | instskip(NEXT) | instid1(SALU_CYCLE_1)
	s_lshl_b32 s19, -1, s18
	; wave barrier
	s_not_b32 s19, s19
	s_cmp_lg_u32 s18, 32
	v_cndmask_b32_e32 v1, 0, v1, vcc_lo
	s_cselect_b32 s31, s19, -1
	s_delay_alu instid0(SALU_CYCLE_1) | instskip(NEXT) | instid1(VALU_DEP_1)
	v_and_b32_e32 v0, s31, v0
	v_lshlrev_b32_e32 v0, s29, v0
	s_delay_alu instid0(VALU_DEP_1) | instskip(NEXT) | instid1(VALU_DEP_1)
	v_cndmask_b32_e64 v0, 0, v0, s17
	v_or_b32_e32 v1, v1, v0
	s_delay_alu instid0(VALU_DEP_1)
	v_and_b32_e32 v0, 1, v1
	v_lshlrev_b32_e32 v15, 30, v1
	v_lshlrev_b32_e32 v16, 29, v1
	;; [unrolled: 1-line block ×4, first 2 shown]
	v_add_co_u32 v0, s18, v0, -1
	s_delay_alu instid0(VALU_DEP_1)
	v_cndmask_b32_e64 v18, 0, 1, s18
	v_not_b32_e32 v35, v15
	v_cmp_gt_i32_e64 s19, 0, v15
	v_not_b32_e32 v15, v16
	v_lshlrev_b32_e32 v20, 26, v1
	v_cmp_ne_u32_e64 s18, 0, v18
	v_ashrrev_i32_e32 v35, 31, v35
	v_lshlrev_b32_e32 v34, 25, v1
	v_ashrrev_i32_e32 v15, 31, v15
	v_lshlrev_b32_e32 v18, 24, v1
	v_xor_b32_e32 v0, s18, v0
	v_cmp_gt_i32_e64 s18, 0, v16
	v_not_b32_e32 v16, v17
	v_xor_b32_e32 v35, s19, v35
	v_cmp_gt_i32_e64 s19, 0, v17
	v_and_b32_e32 v0, exec_lo, v0
	v_not_b32_e32 v17, v19
	v_ashrrev_i32_e32 v16, 31, v16
	v_xor_b32_e32 v15, s18, v15
	v_cmp_gt_i32_e64 s18, 0, v19
	v_and_b32_e32 v0, v0, v35
	v_not_b32_e32 v19, v20
	v_ashrrev_i32_e32 v17, 31, v17
	v_xor_b32_e32 v16, s19, v16
	v_cmp_gt_i32_e64 s19, 0, v20
	v_and_b32_e32 v0, v0, v15
	;; [unrolled: 5-line block ×4, first 2 shown]
	v_ashrrev_i32_e32 v16, 31, v16
	v_xor_b32_e32 v15, s18, v15
	v_lshl_add_u32 v1, v1, 3, v27
	v_mov_b32_e32 v18, v5
	v_and_b32_e32 v0, v0, v19
	v_xor_b32_e32 v16, s19, v16
	v_dual_mov_b32 v20, v3 :: v_dual_mov_b32 v19, v2
	v_mov_b32_e32 v17, v4
	s_delay_alu instid0(VALU_DEP_4) | instskip(SKIP_1) | instid1(VALU_DEP_2)
	v_and_b32_e32 v0, v0, v15
	v_lshl_add_u32 v35, v1, 2, 32
	v_and_b32_e32 v0, v0, v16
	v_dual_mov_b32 v16, v7 :: v_dual_mov_b32 v15, v6
	s_delay_alu instid0(VALU_DEP_2) | instskip(SKIP_1) | instid1(VALU_DEP_2)
	v_mbcnt_lo_u32_b32 v34, v0, 0
	v_cmp_ne_u32_e64 s19, 0, v0
	v_cmp_eq_u32_e64 s18, 0, v34
	s_delay_alu instid0(VALU_DEP_1) | instskip(NEXT) | instid1(SALU_CYCLE_1)
	s_and_b32 s19, s18, s19
	s_and_saveexec_b32 s18, s19
	s_cbranch_execz .LBB172_6
; %bb.5:                                ;   in Loop: Header=BB172_4 Depth=2
	v_bcnt_u32_b32 v0, v0, 0
	ds_store_b32 v35, v0
.LBB172_6:                              ;   in Loop: Header=BB172_4 Depth=2
	s_or_b32 exec_lo, exec_lo, s18
	v_lshrrev_b32_e32 v0, s30, v19
	v_lshrrev_b32_e32 v1, s26, v20
	; wave barrier
	s_delay_alu instid0(VALU_DEP_1) | instskip(NEXT) | instid1(VALU_DEP_1)
	v_and_b32_e32 v1, s28, v1
	v_dual_cndmask_b32 v1, 0, v1 :: v_dual_and_b32 v0, s31, v0
	s_delay_alu instid0(VALU_DEP_1) | instskip(NEXT) | instid1(VALU_DEP_1)
	v_lshlrev_b32_e32 v0, s29, v0
	v_cndmask_b32_e64 v0, 0, v0, s17
	s_delay_alu instid0(VALU_DEP_1) | instskip(NEXT) | instid1(VALU_DEP_1)
	v_or_b32_e32 v0, v1, v0
	v_and_b32_e32 v1, 1, v0
	v_lshlrev_b32_e32 v2, 30, v0
	v_lshlrev_b32_e32 v3, 29, v0
	v_lshlrev_b32_e32 v4, 28, v0
	v_lshlrev_b32_e32 v6, 27, v0
	v_add_co_u32 v1, s18, v1, -1
	s_delay_alu instid0(VALU_DEP_1)
	v_cndmask_b32_e64 v5, 0, 1, s18
	v_not_b32_e32 v37, v2
	v_cmp_gt_i32_e64 s19, 0, v2
	v_not_b32_e32 v2, v3
	v_lshlrev_b32_e32 v7, 26, v0
	v_cmp_ne_u32_e64 s18, 0, v5
	v_ashrrev_i32_e32 v37, 31, v37
	v_lshlrev_b32_e32 v36, 25, v0
	v_ashrrev_i32_e32 v2, 31, v2
	v_lshlrev_b32_e32 v5, 24, v0
	v_xor_b32_e32 v1, s18, v1
	v_cmp_gt_i32_e64 s18, 0, v3
	v_not_b32_e32 v3, v4
	v_xor_b32_e32 v37, s19, v37
	v_cmp_gt_i32_e64 s19, 0, v4
	v_and_b32_e32 v1, exec_lo, v1
	v_not_b32_e32 v4, v6
	v_ashrrev_i32_e32 v3, 31, v3
	v_xor_b32_e32 v2, s18, v2
	v_cmp_gt_i32_e64 s18, 0, v6
	v_and_b32_e32 v1, v1, v37
	v_not_b32_e32 v6, v7
	v_ashrrev_i32_e32 v4, 31, v4
	v_xor_b32_e32 v3, s19, v3
	v_cmp_gt_i32_e64 s19, 0, v7
	v_and_b32_e32 v1, v1, v2
	;; [unrolled: 5-line block ×3, first 2 shown]
	v_not_b32_e32 v3, v5
	v_ashrrev_i32_e32 v2, 31, v2
	v_xor_b32_e32 v6, s19, v6
	v_lshlrev_b32_e32 v0, 3, v0
	v_and_b32_e32 v1, v1, v4
	v_cmp_gt_i32_e64 s19, 0, v5
	v_ashrrev_i32_e32 v3, 31, v3
	v_xor_b32_e32 v2, s18, v2
	v_add_lshl_u32 v4, v0, v27, 2
	v_and_b32_e32 v1, v1, v6
	s_delay_alu instid0(VALU_DEP_4) | instskip(SKIP_3) | instid1(VALU_DEP_2)
	v_xor_b32_e32 v0, s19, v3
	ds_load_b32 v36, v4 offset:32
	v_and_b32_e32 v1, v1, v2
	v_add_nc_u32_e32 v38, 32, v4
	; wave barrier
	v_and_b32_e32 v0, v1, v0
	s_delay_alu instid0(VALU_DEP_1) | instskip(SKIP_1) | instid1(VALU_DEP_2)
	v_mbcnt_lo_u32_b32 v37, v0, 0
	v_cmp_ne_u32_e64 s19, 0, v0
	v_cmp_eq_u32_e64 s18, 0, v37
	s_delay_alu instid0(VALU_DEP_1) | instskip(NEXT) | instid1(SALU_CYCLE_1)
	s_and_b32 s19, s18, s19
	s_and_saveexec_b32 s18, s19
	s_cbranch_execz .LBB172_8
; %bb.7:                                ;   in Loop: Header=BB172_4 Depth=2
	s_waitcnt lgkmcnt(0)
	v_bcnt_u32_b32 v0, v0, v36
	ds_store_b32 v38, v0
.LBB172_8:                              ;   in Loop: Header=BB172_4 Depth=2
	s_or_b32 exec_lo, exec_lo, s18
	v_lshrrev_b32_e32 v0, s30, v17
	v_lshrrev_b32_e32 v1, s26, v18
	; wave barrier
	s_delay_alu instid0(VALU_DEP_1) | instskip(NEXT) | instid1(VALU_DEP_1)
	v_and_b32_e32 v1, s28, v1
	v_dual_cndmask_b32 v1, 0, v1 :: v_dual_and_b32 v0, s31, v0
	s_delay_alu instid0(VALU_DEP_1) | instskip(NEXT) | instid1(VALU_DEP_1)
	v_lshlrev_b32_e32 v0, s29, v0
	v_cndmask_b32_e64 v0, 0, v0, s17
	s_delay_alu instid0(VALU_DEP_1) | instskip(NEXT) | instid1(VALU_DEP_1)
	v_or_b32_e32 v0, v1, v0
	v_and_b32_e32 v1, 1, v0
	v_lshlrev_b32_e32 v2, 30, v0
	v_lshlrev_b32_e32 v3, 29, v0
	;; [unrolled: 1-line block ×4, first 2 shown]
	v_add_co_u32 v1, s18, v1, -1
	s_delay_alu instid0(VALU_DEP_1)
	v_cndmask_b32_e64 v5, 0, 1, s18
	v_not_b32_e32 v40, v2
	v_cmp_gt_i32_e64 s19, 0, v2
	v_not_b32_e32 v2, v3
	v_lshlrev_b32_e32 v7, 26, v0
	v_cmp_ne_u32_e64 s18, 0, v5
	v_ashrrev_i32_e32 v40, 31, v40
	v_lshlrev_b32_e32 v39, 25, v0
	v_ashrrev_i32_e32 v2, 31, v2
	v_lshlrev_b32_e32 v5, 24, v0
	v_xor_b32_e32 v1, s18, v1
	v_cmp_gt_i32_e64 s18, 0, v3
	v_not_b32_e32 v3, v4
	v_xor_b32_e32 v40, s19, v40
	v_cmp_gt_i32_e64 s19, 0, v4
	v_and_b32_e32 v1, exec_lo, v1
	v_not_b32_e32 v4, v6
	v_ashrrev_i32_e32 v3, 31, v3
	v_xor_b32_e32 v2, s18, v2
	v_cmp_gt_i32_e64 s18, 0, v6
	v_and_b32_e32 v1, v1, v40
	v_not_b32_e32 v6, v7
	v_ashrrev_i32_e32 v4, 31, v4
	v_xor_b32_e32 v3, s19, v3
	v_cmp_gt_i32_e64 s19, 0, v7
	v_and_b32_e32 v1, v1, v2
	;; [unrolled: 5-line block ×3, first 2 shown]
	v_not_b32_e32 v3, v5
	v_ashrrev_i32_e32 v2, 31, v2
	v_xor_b32_e32 v6, s19, v6
	v_lshlrev_b32_e32 v0, 3, v0
	v_and_b32_e32 v1, v1, v4
	v_cmp_gt_i32_e64 s19, 0, v5
	v_ashrrev_i32_e32 v3, 31, v3
	v_xor_b32_e32 v2, s18, v2
	v_add_lshl_u32 v4, v0, v27, 2
	v_and_b32_e32 v1, v1, v6
	s_delay_alu instid0(VALU_DEP_4) | instskip(SKIP_3) | instid1(VALU_DEP_2)
	v_xor_b32_e32 v0, s19, v3
	ds_load_b32 v39, v4 offset:32
	v_and_b32_e32 v1, v1, v2
	v_add_nc_u32_e32 v41, 32, v4
	; wave barrier
	v_and_b32_e32 v0, v1, v0
	s_delay_alu instid0(VALU_DEP_1) | instskip(SKIP_1) | instid1(VALU_DEP_2)
	v_mbcnt_lo_u32_b32 v40, v0, 0
	v_cmp_ne_u32_e64 s19, 0, v0
	v_cmp_eq_u32_e64 s18, 0, v40
	s_delay_alu instid0(VALU_DEP_1) | instskip(NEXT) | instid1(SALU_CYCLE_1)
	s_and_b32 s19, s18, s19
	s_and_saveexec_b32 s18, s19
	s_cbranch_execz .LBB172_10
; %bb.9:                                ;   in Loop: Header=BB172_4 Depth=2
	s_waitcnt lgkmcnt(0)
	v_bcnt_u32_b32 v0, v0, v39
	ds_store_b32 v41, v0
.LBB172_10:                             ;   in Loop: Header=BB172_4 Depth=2
	s_or_b32 exec_lo, exec_lo, s18
	v_lshrrev_b32_e32 v0, s30, v15
	v_lshrrev_b32_e32 v1, s26, v16
	; wave barrier
	s_delay_alu instid0(VALU_DEP_1) | instskip(NEXT) | instid1(VALU_DEP_1)
	v_and_b32_e32 v1, s28, v1
	v_dual_cndmask_b32 v1, 0, v1 :: v_dual_and_b32 v0, s31, v0
	s_delay_alu instid0(VALU_DEP_1) | instskip(NEXT) | instid1(VALU_DEP_1)
	v_lshlrev_b32_e32 v0, s29, v0
	v_cndmask_b32_e64 v0, 0, v0, s17
	s_delay_alu instid0(VALU_DEP_1) | instskip(NEXT) | instid1(VALU_DEP_1)
	v_or_b32_e32 v0, v1, v0
	v_and_b32_e32 v1, 1, v0
	v_lshlrev_b32_e32 v2, 30, v0
	v_lshlrev_b32_e32 v3, 29, v0
	;; [unrolled: 1-line block ×4, first 2 shown]
	v_add_co_u32 v1, s17, v1, -1
	s_delay_alu instid0(VALU_DEP_1)
	v_cndmask_b32_e64 v5, 0, 1, s17
	v_not_b32_e32 v43, v2
	v_cmp_gt_i32_e64 s17, 0, v2
	v_not_b32_e32 v2, v3
	v_lshlrev_b32_e32 v7, 26, v0
	v_cmp_ne_u32_e32 vcc_lo, 0, v5
	v_ashrrev_i32_e32 v43, 31, v43
	v_lshlrev_b32_e32 v42, 25, v0
	v_ashrrev_i32_e32 v2, 31, v2
	v_lshlrev_b32_e32 v5, 24, v0
	v_xor_b32_e32 v1, vcc_lo, v1
	v_cmp_gt_i32_e32 vcc_lo, 0, v3
	v_not_b32_e32 v3, v4
	v_xor_b32_e32 v43, s17, v43
	v_cmp_gt_i32_e64 s17, 0, v4
	v_and_b32_e32 v1, exec_lo, v1
	v_not_b32_e32 v4, v6
	v_ashrrev_i32_e32 v3, 31, v3
	v_xor_b32_e32 v2, vcc_lo, v2
	v_cmp_gt_i32_e32 vcc_lo, 0, v6
	v_and_b32_e32 v1, v1, v43
	v_not_b32_e32 v6, v7
	v_ashrrev_i32_e32 v4, 31, v4
	v_xor_b32_e32 v3, s17, v3
	v_cmp_gt_i32_e64 s17, 0, v7
	v_and_b32_e32 v1, v1, v2
	v_not_b32_e32 v2, v42
	v_ashrrev_i32_e32 v6, 31, v6
	v_xor_b32_e32 v4, vcc_lo, v4
	v_cmp_gt_i32_e32 vcc_lo, 0, v42
	v_and_b32_e32 v1, v1, v3
	v_not_b32_e32 v3, v5
	v_ashrrev_i32_e32 v2, 31, v2
	v_xor_b32_e32 v6, s17, v6
	v_lshlrev_b32_e32 v0, 3, v0
	v_and_b32_e32 v1, v1, v4
	v_cmp_gt_i32_e64 s17, 0, v5
	v_ashrrev_i32_e32 v3, 31, v3
	v_xor_b32_e32 v2, vcc_lo, v2
	v_add_lshl_u32 v4, v0, v27, 2
	v_and_b32_e32 v1, v1, v6
	s_delay_alu instid0(VALU_DEP_4) | instskip(SKIP_3) | instid1(VALU_DEP_2)
	v_xor_b32_e32 v0, s17, v3
	ds_load_b32 v42, v4 offset:32
	v_and_b32_e32 v1, v1, v2
	v_add_nc_u32_e32 v44, 32, v4
	; wave barrier
	v_and_b32_e32 v0, v1, v0
	s_delay_alu instid0(VALU_DEP_1) | instskip(SKIP_1) | instid1(VALU_DEP_2)
	v_mbcnt_lo_u32_b32 v43, v0, 0
	v_cmp_ne_u32_e64 s17, 0, v0
	v_cmp_eq_u32_e32 vcc_lo, 0, v43
	s_delay_alu instid0(VALU_DEP_2) | instskip(NEXT) | instid1(SALU_CYCLE_1)
	s_and_b32 s18, vcc_lo, s17
	s_and_saveexec_b32 s17, s18
	s_cbranch_execz .LBB172_12
; %bb.11:                               ;   in Loop: Header=BB172_4 Depth=2
	s_waitcnt lgkmcnt(0)
	v_bcnt_u32_b32 v0, v0, v42
	ds_store_b32 v44, v0
.LBB172_12:                             ;   in Loop: Header=BB172_4 Depth=2
	s_or_b32 exec_lo, exec_lo, s17
	; wave barrier
	s_waitcnt lgkmcnt(0)
	s_barrier
	buffer_gl0_inv
	ds_load_2addr_b64 v[4:7], v22 offset0:4 offset1:5
	ds_load_2addr_b64 v[0:3], v26 offset0:2 offset1:3
	s_waitcnt lgkmcnt(1)
	v_add_nc_u32_e32 v45, v5, v4
	s_delay_alu instid0(VALU_DEP_1) | instskip(SKIP_1) | instid1(VALU_DEP_1)
	v_add3_u32 v45, v45, v6, v7
	s_waitcnt lgkmcnt(0)
	v_add3_u32 v45, v45, v0, v1
	s_delay_alu instid0(VALU_DEP_1) | instskip(NEXT) | instid1(VALU_DEP_1)
	v_add3_u32 v3, v45, v2, v3
	v_mov_b32_dpp v45, v3 row_shr:1 row_mask:0xf bank_mask:0xf
	s_delay_alu instid0(VALU_DEP_1) | instskip(NEXT) | instid1(VALU_DEP_1)
	v_cndmask_b32_e64 v45, v45, 0, s4
	v_add_nc_u32_e32 v3, v45, v3
	s_delay_alu instid0(VALU_DEP_1) | instskip(NEXT) | instid1(VALU_DEP_1)
	v_mov_b32_dpp v45, v3 row_shr:2 row_mask:0xf bank_mask:0xf
	v_cndmask_b32_e64 v45, 0, v45, s5
	s_delay_alu instid0(VALU_DEP_1) | instskip(NEXT) | instid1(VALU_DEP_1)
	v_add_nc_u32_e32 v3, v3, v45
	v_mov_b32_dpp v45, v3 row_shr:4 row_mask:0xf bank_mask:0xf
	s_delay_alu instid0(VALU_DEP_1) | instskip(NEXT) | instid1(VALU_DEP_1)
	v_cndmask_b32_e64 v45, 0, v45, s6
	v_add_nc_u32_e32 v3, v3, v45
	s_delay_alu instid0(VALU_DEP_1) | instskip(NEXT) | instid1(VALU_DEP_1)
	v_mov_b32_dpp v45, v3 row_shr:8 row_mask:0xf bank_mask:0xf
	v_cndmask_b32_e64 v45, 0, v45, s7
	s_delay_alu instid0(VALU_DEP_1) | instskip(SKIP_3) | instid1(VALU_DEP_1)
	v_add_nc_u32_e32 v3, v3, v45
	ds_swizzle_b32 v45, v3 offset:swizzle(BROADCAST,32,15)
	s_waitcnt lgkmcnt(0)
	v_cndmask_b32_e64 v45, v45, 0, s8
	v_add_nc_u32_e32 v3, v3, v45
	s_and_saveexec_b32 s17, s9
	s_cbranch_execz .LBB172_14
; %bb.13:                               ;   in Loop: Header=BB172_4 Depth=2
	ds_store_b32 v29, v3
.LBB172_14:                             ;   in Loop: Header=BB172_4 Depth=2
	s_or_b32 exec_lo, exec_lo, s17
	s_waitcnt lgkmcnt(0)
	s_barrier
	buffer_gl0_inv
	s_and_saveexec_b32 s17, s10
	s_cbranch_execz .LBB172_16
; %bb.15:                               ;   in Loop: Header=BB172_4 Depth=2
	ds_load_b32 v45, v30
	s_waitcnt lgkmcnt(0)
	v_mov_b32_dpp v46, v45 row_shr:1 row_mask:0xf bank_mask:0xf
	s_delay_alu instid0(VALU_DEP_1) | instskip(NEXT) | instid1(VALU_DEP_1)
	v_cndmask_b32_e64 v46, v46, 0, s14
	v_add_nc_u32_e32 v45, v46, v45
	s_delay_alu instid0(VALU_DEP_1) | instskip(NEXT) | instid1(VALU_DEP_1)
	v_mov_b32_dpp v46, v45 row_shr:2 row_mask:0xf bank_mask:0xf
	v_cndmask_b32_e64 v46, 0, v46, s15
	s_delay_alu instid0(VALU_DEP_1) | instskip(NEXT) | instid1(VALU_DEP_1)
	v_add_nc_u32_e32 v45, v45, v46
	v_mov_b32_dpp v46, v45 row_shr:4 row_mask:0xf bank_mask:0xf
	s_delay_alu instid0(VALU_DEP_1) | instskip(NEXT) | instid1(VALU_DEP_1)
	v_cndmask_b32_e64 v46, 0, v46, s16
	v_add_nc_u32_e32 v45, v45, v46
	ds_store_b32 v30, v45
.LBB172_16:                             ;   in Loop: Header=BB172_4 Depth=2
	s_or_b32 exec_lo, exec_lo, s17
	v_mov_b32_e32 v45, 0
	s_waitcnt lgkmcnt(0)
	s_barrier
	buffer_gl0_inv
	s_and_saveexec_b32 s17, s11
	s_cbranch_execz .LBB172_18
; %bb.17:                               ;   in Loop: Header=BB172_4 Depth=2
	ds_load_b32 v45, v31
.LBB172_18:                             ;   in Loop: Header=BB172_4 Depth=2
	s_or_b32 exec_lo, exec_lo, s17
	s_waitcnt lgkmcnt(0)
	v_add_nc_u32_e32 v3, v45, v3
	s_cmp_gt_u32 s26, 55
	ds_bpermute_b32 v3, v28, v3
	s_waitcnt lgkmcnt(0)
	v_cndmask_b32_e64 v3, v3, v45, s12
	s_delay_alu instid0(VALU_DEP_1) | instskip(NEXT) | instid1(VALU_DEP_1)
	v_cndmask_b32_e64 v3, v3, 0, s13
	v_add_nc_u32_e32 v4, v3, v4
	s_delay_alu instid0(VALU_DEP_1) | instskip(NEXT) | instid1(VALU_DEP_1)
	v_add_nc_u32_e32 v5, v4, v5
	v_add_nc_u32_e32 v6, v5, v6
	s_delay_alu instid0(VALU_DEP_1) | instskip(SKIP_1) | instid1(VALU_DEP_2)
	v_add_nc_u32_e32 v45, v6, v7
	v_lshlrev_b32_e32 v7, 3, v40
	v_add_nc_u32_e32 v46, v45, v0
	s_delay_alu instid0(VALU_DEP_1) | instskip(NEXT) | instid1(VALU_DEP_1)
	v_add_nc_u32_e32 v0, v46, v1
	v_add_nc_u32_e32 v1, v0, v2
	ds_store_2addr_b64 v22, v[3:4], v[5:6] offset0:4 offset1:5
	ds_store_2addr_b64 v26, v[45:46], v[0:1] offset0:2 offset1:3
	s_waitcnt lgkmcnt(0)
	s_barrier
	buffer_gl0_inv
	ds_load_b32 v0, v38
	ds_load_b32 v1, v41
	;; [unrolled: 1-line block ×4, first 2 shown]
	v_lshlrev_b32_e32 v4, 3, v34
	v_lshlrev_b32_e32 v5, 3, v37
	;; [unrolled: 1-line block ×6, first 2 shown]
	s_waitcnt lgkmcnt(0)
	v_lshlrev_b32_e32 v0, 3, v0
	v_lshlrev_b32_e32 v1, 3, v1
	;; [unrolled: 1-line block ×3, first 2 shown]
	v_lshl_add_u32 v34, v3, 3, v4
	s_delay_alu instid0(VALU_DEP_4) | instskip(NEXT) | instid1(VALU_DEP_4)
	v_add3_u32 v35, v5, v6, v0
	v_add3_u32 v36, v7, v36, v1
	s_delay_alu instid0(VALU_DEP_4)
	v_add3_u32 v37, v37, v38, v2
	s_cbranch_scc0 .LBB172_3
; %bb.19:                               ;   in Loop: Header=BB172_2 Depth=1
                                        ; implicit-def: $sgpr26
                                        ; implicit-def: $vgpr0_vgpr1
                                        ; implicit-def: $vgpr4_vgpr5
                                        ; implicit-def: $sgpr21
                                        ; implicit-def: $sgpr20
	s_branch .LBB172_1
.LBB172_20:
	v_lshlrev_b32_e32 v0, 3, v8
	s_add_u32 s0, s22, s24
	s_addc_u32 s1, s23, s25
	s_delay_alu instid0(VALU_DEP_1) | instskip(NEXT) | instid1(VALU_DEP_1)
	v_add_co_u32 v7, s2, s0, v0
	v_add_co_ci_u32_e64 v8, null, s1, 0, s2
	s_delay_alu instid0(VALU_DEP_2) | instskip(NEXT) | instid1(VALU_DEP_2)
	v_add_co_u32 v7, vcc_lo, 0x1000, v7
	v_add_co_ci_u32_e32 v8, vcc_lo, 0, v8, vcc_lo
	s_clause 0x3
	global_store_b64 v0, v[5:6], s[0:1]
	global_store_b64 v0, v[13:14], s[0:1] offset:2048
	global_store_b64 v[7:8], v[3:4], off
	global_store_b64 v[7:8], v[1:2], off offset:2048
	s_nop 0
	s_sendmsg sendmsg(MSG_DEALLOC_VGPRS)
	s_endpgm
	.section	.rodata,"a",@progbits
	.p2align	6, 0x0
	.amdhsa_kernel _Z16sort_keys_kernelI22helper_blocked_blockedN15benchmark_utils11custom_typeIiiEELj256ELj4ELj10EEvPKT0_PS4_
		.amdhsa_group_segment_fixed_size 8224
		.amdhsa_private_segment_fixed_size 0
		.amdhsa_kernarg_size 272
		.amdhsa_user_sgpr_count 15
		.amdhsa_user_sgpr_dispatch_ptr 0
		.amdhsa_user_sgpr_queue_ptr 0
		.amdhsa_user_sgpr_kernarg_segment_ptr 1
		.amdhsa_user_sgpr_dispatch_id 0
		.amdhsa_user_sgpr_private_segment_size 0
		.amdhsa_wavefront_size32 1
		.amdhsa_uses_dynamic_stack 0
		.amdhsa_enable_private_segment 0
		.amdhsa_system_sgpr_workgroup_id_x 1
		.amdhsa_system_sgpr_workgroup_id_y 0
		.amdhsa_system_sgpr_workgroup_id_z 0
		.amdhsa_system_sgpr_workgroup_info 0
		.amdhsa_system_vgpr_workitem_id 2
		.amdhsa_next_free_vgpr 47
		.amdhsa_next_free_sgpr 32
		.amdhsa_reserve_vcc 1
		.amdhsa_float_round_mode_32 0
		.amdhsa_float_round_mode_16_64 0
		.amdhsa_float_denorm_mode_32 3
		.amdhsa_float_denorm_mode_16_64 3
		.amdhsa_dx10_clamp 1
		.amdhsa_ieee_mode 1
		.amdhsa_fp16_overflow 0
		.amdhsa_workgroup_processor_mode 1
		.amdhsa_memory_ordered 1
		.amdhsa_forward_progress 0
		.amdhsa_shared_vgpr_count 0
		.amdhsa_exception_fp_ieee_invalid_op 0
		.amdhsa_exception_fp_denorm_src 0
		.amdhsa_exception_fp_ieee_div_zero 0
		.amdhsa_exception_fp_ieee_overflow 0
		.amdhsa_exception_fp_ieee_underflow 0
		.amdhsa_exception_fp_ieee_inexact 0
		.amdhsa_exception_int_div_zero 0
	.end_amdhsa_kernel
	.section	.text._Z16sort_keys_kernelI22helper_blocked_blockedN15benchmark_utils11custom_typeIiiEELj256ELj4ELj10EEvPKT0_PS4_,"axG",@progbits,_Z16sort_keys_kernelI22helper_blocked_blockedN15benchmark_utils11custom_typeIiiEELj256ELj4ELj10EEvPKT0_PS4_,comdat
.Lfunc_end172:
	.size	_Z16sort_keys_kernelI22helper_blocked_blockedN15benchmark_utils11custom_typeIiiEELj256ELj4ELj10EEvPKT0_PS4_, .Lfunc_end172-_Z16sort_keys_kernelI22helper_blocked_blockedN15benchmark_utils11custom_typeIiiEELj256ELj4ELj10EEvPKT0_PS4_
                                        ; -- End function
	.section	.AMDGPU.csdata,"",@progbits
; Kernel info:
; codeLenInByte = 3832
; NumSgprs: 34
; NumVgprs: 47
; ScratchSize: 0
; MemoryBound: 0
; FloatMode: 240
; IeeeMode: 1
; LDSByteSize: 8224 bytes/workgroup (compile time only)
; SGPRBlocks: 4
; VGPRBlocks: 5
; NumSGPRsForWavesPerEU: 34
; NumVGPRsForWavesPerEU: 47
; Occupancy: 16
; WaveLimiterHint : 1
; COMPUTE_PGM_RSRC2:SCRATCH_EN: 0
; COMPUTE_PGM_RSRC2:USER_SGPR: 15
; COMPUTE_PGM_RSRC2:TRAP_HANDLER: 0
; COMPUTE_PGM_RSRC2:TGID_X_EN: 1
; COMPUTE_PGM_RSRC2:TGID_Y_EN: 0
; COMPUTE_PGM_RSRC2:TGID_Z_EN: 0
; COMPUTE_PGM_RSRC2:TIDIG_COMP_CNT: 2
	.section	.text._Z17sort_pairs_kernelI22helper_blocked_blockedN15benchmark_utils11custom_typeIiiEELj256ELj4ELj10EEvPKT0_PS4_,"axG",@progbits,_Z17sort_pairs_kernelI22helper_blocked_blockedN15benchmark_utils11custom_typeIiiEELj256ELj4ELj10EEvPKT0_PS4_,comdat
	.protected	_Z17sort_pairs_kernelI22helper_blocked_blockedN15benchmark_utils11custom_typeIiiEELj256ELj4ELj10EEvPKT0_PS4_ ; -- Begin function _Z17sort_pairs_kernelI22helper_blocked_blockedN15benchmark_utils11custom_typeIiiEELj256ELj4ELj10EEvPKT0_PS4_
	.globl	_Z17sort_pairs_kernelI22helper_blocked_blockedN15benchmark_utils11custom_typeIiiEELj256ELj4ELj10EEvPKT0_PS4_
	.p2align	8
	.type	_Z17sort_pairs_kernelI22helper_blocked_blockedN15benchmark_utils11custom_typeIiiEELj256ELj4ELj10EEvPKT0_PS4_,@function
_Z17sort_pairs_kernelI22helper_blocked_blockedN15benchmark_utils11custom_typeIiiEELj256ELj4ELj10EEvPKT0_PS4_: ; @_Z17sort_pairs_kernelI22helper_blocked_blockedN15benchmark_utils11custom_typeIiiEELj256ELj4ELj10EEvPKT0_PS4_
; %bb.0:
	s_clause 0x1
	s_load_b128 s[20:23], s[0:1], 0x0
	s_load_b32 s16, s[0:1], 0x1c
	v_mbcnt_lo_u32_b32 v9, -1, 0
	s_mov_b32 s27, 0
	s_lshl_b32 s26, s15, 10
	v_bfe_u32 v8, v0, 10, 10
	s_lshl_b64 s[24:25], s[26:27], 3
	v_add_nc_u32_e32 v14, -1, v9
	v_and_b32_e32 v18, 0x3ff, v0
	v_bfe_u32 v0, v0, 20, 10
	v_and_b32_e32 v11, 16, v9
	v_and_b32_e32 v15, 7, v9
	;; [unrolled: 1-line block ×3, first 2 shown]
	v_lshlrev_b32_e32 v3, 3, v18
	v_and_b32_e32 v10, 15, v9
	v_cmp_eq_u32_e64 s9, 0, v11
	v_cmp_eq_u32_e64 s13, 0, v15
	v_cmp_lt_u32_e64 s14, 1, v15
	v_cmp_lt_u32_e64 s15, 3, v15
	v_cmp_eq_u32_e64 s3, 2, v7
	s_waitcnt lgkmcnt(0)
	s_add_u32 s0, s20, s24
	s_addc_u32 s1, s21, s25
	v_add_co_u32 v1, s2, s0, v3
	s_delay_alu instid0(VALU_DEP_1) | instskip(SKIP_1) | instid1(VALU_DEP_2)
	v_add_co_ci_u32_e64 v2, null, s1, 0, s2
	s_lshr_b32 s17, s16, 16
	v_add_co_u32 v1, vcc_lo, 0x1000, v1
	s_delay_alu instid0(VALU_DEP_2)
	v_add_co_ci_u32_e32 v2, vcc_lo, 0, v2, vcc_lo
	v_cmp_gt_i32_e32 vcc_lo, 0, v14
	s_clause 0x3
	global_load_b64 v[5:6], v3, s[0:1]
	global_load_b64 v[12:13], v3, s[0:1] offset:2048
	global_load_b64 v[3:4], v[1:2], off
	global_load_b64 v[1:2], v[1:2], off offset:2048
	v_mad_u32_u24 v0, v0, s17, v8
	s_and_b32 s16, s16, 0xffff
	v_cmp_eq_u32_e64 s1, 0, v7
	v_cndmask_b32_e32 v11, v14, v9, vcc_lo
	v_mul_u32_u24_e32 v19, 28, v18
	v_lshlrev_b32_e32 v37, 5, v18
	v_lshrrev_b32_e32 v14, 3, v18
	v_lshlrev_b32_e32 v15, 2, v18
	v_cmp_eq_u32_e64 s2, 1, v7
	v_cmp_eq_u32_e64 s4, 3, v7
	v_mad_u64_u32 v[7:8], null, v0, s16, v[18:19]
	v_and_b32_e32 v33, 28, v9
	v_cmp_eq_u32_e64 s5, 0, v10
	v_cmp_lt_u32_e64 s6, 1, v10
	v_cmp_lt_u32_e64 s7, 3, v10
	;; [unrolled: 1-line block ×3, first 2 shown]
	v_or_b32_e32 v10, 31, v18
	v_and_b32_e32 v39, 28, v14
	v_and_or_b32 v0, 0x380, v15, v9
	v_mad_i32_i24 v41, 0xffffffe4, v18, v37
	v_cmp_eq_u32_e64 s0, 0, v9
	v_or_b32_e32 v34, 32, v33
	v_or_b32_e32 v35, 64, v33
	;; [unrolled: 1-line block ×3, first 2 shown]
	v_cmp_gt_u32_e64 s10, 8, v18
	v_cmp_lt_u32_e64 s11, 31, v18
	v_cmp_eq_u32_e64 s12, 0, v18
	v_add_nc_u32_e32 v38, 32, v37
	v_cmp_eq_u32_e64 s16, v10, v18
	v_lshlrev_b32_e32 v40, 2, v11
	v_add_nc_u32_e32 v42, -4, v39
	v_lshlrev_b32_e32 v43, 3, v0
	v_lshrrev_b32_e32 v44, 5, v7
	v_add_nc_u32_e32 v45, v41, v19
	s_mov_b32 s26, s27
	s_mov_b32 s20, s27
	;; [unrolled: 1-line block ×4, first 2 shown]
	s_waitcnt vmcnt(3)
	v_add_nc_u32_e32 v15, 1, v6
	v_add_nc_u32_e32 v14, 1, v5
	s_waitcnt vmcnt(2)
	v_add_nc_u32_e32 v17, 1, v13
	v_add_nc_u32_e32 v16, 1, v12
	;; [unrolled: 3-line block ×4, first 2 shown]
	s_branch .LBB173_2
.LBB173_1:                              ;   in Loop: Header=BB173_2 Depth=1
	s_barrier
	buffer_gl0_inv
	ds_store_b64 v46, v[16:17]
	ds_store_b64 v47, v[27:28]
	;; [unrolled: 1-line block ×4, first 2 shown]
	s_waitcnt lgkmcnt(0)
	s_barrier
	buffer_gl0_inv
	ds_load_2addr_b64 v[0:3], v45 offset1:1
	ds_load_2addr_b64 v[27:30], v45 offset0:2 offset1:3
	s_waitcnt lgkmcnt(0)
	s_barrier
	buffer_gl0_inv
	ds_store_b64 v46, v[21:22]
	ds_store_b64 v47, v[19:20]
	;; [unrolled: 1-line block ×4, first 2 shown]
	s_waitcnt lgkmcnt(0)
	s_barrier
	buffer_gl0_inv
	ds_load_2addr_b64 v[14:17], v45 offset1:1
	ds_load_2addr_b64 v[8:11], v45 offset0:2 offset1:3
	s_add_i32 s28, s28, 1
	s_delay_alu instid0(SALU_CYCLE_1)
	s_cmp_lg_u32 s28, 10
	v_xor_b32_e32 v5, 0x80000000, v0
	v_xor_b32_e32 v6, 0x80000000, v1
	;; [unrolled: 1-line block ×8, first 2 shown]
	s_cbranch_scc0 .LBB173_20
.LBB173_2:                              ; =>This Loop Header: Depth=1
                                        ;     Child Loop BB173_4 Depth 2
	v_xor_b32_e32 v0, 0x80000000, v6
	v_xor_b32_e32 v5, 0x80000000, v5
	;; [unrolled: 1-line block ×5, first 2 shown]
	ds_bpermute_b32 v3, v33, v0
	v_xor_b32_e32 v4, 0x80000000, v4
	v_xor_b32_e32 v13, 0x80000000, v1
	;; [unrolled: 1-line block ×3, first 2 shown]
	ds_bpermute_b32 v1, v33, v5
	ds_bpermute_b32 v2, v33, v7
	;; [unrolled: 1-line block ×16, first 2 shown]
	s_waitcnt lgkmcnt(16)
	v_cndmask_b32_e64 v3, 0, v3, s1
	ds_bpermute_b32 v47, v34, v19
	ds_bpermute_b32 v49, v35, v6
	;; [unrolled: 1-line block ×3, first 2 shown]
	s_waitcnt lgkmcnt(18)
	v_cndmask_b32_e64 v1, 0, v1, s1
	s_waitcnt lgkmcnt(17)
	v_cndmask_b32_e64 v2, v3, v2, s2
	ds_bpermute_b32 v50, v35, v12
	s_waitcnt lgkmcnt(16)
	v_cndmask_b32_e64 v3, 0, v22, s1
	ds_bpermute_b32 v22, v36, v0
	v_cndmask_b32_e64 v1, v1, v20, s2
	s_waitcnt lgkmcnt(16)
	v_cndmask_b32_e64 v2, v2, v23, s3
	s_waitcnt lgkmcnt(15)
	v_cndmask_b32_e64 v20, 0, v25, s1
	ds_bpermute_b32 v51, v35, v4
	s_waitcnt lgkmcnt(13)
	v_cndmask_b32_e64 v0, v3, v27, s2
	v_cndmask_b32_e64 v3, v1, v21, s3
	;; [unrolled: 1-line block ×3, first 2 shown]
	s_waitcnt lgkmcnt(12)
	v_cndmask_b32_e64 v2, v20, v28, s2
	ds_bpermute_b32 v5, v36, v5
	ds_bpermute_b32 v7, v36, v7
	;; [unrolled: 1-line block ×4, first 2 shown]
	s_waitcnt lgkmcnt(12)
	v_cndmask_b32_e64 v21, 0, v32, s1
	v_cndmask_b32_e64 v23, v0, v30, s3
	;; [unrolled: 1-line block ×4, first 2 shown]
	ds_bpermute_b32 v24, v35, v19
	ds_bpermute_b32 v6, v36, v6
	ds_bpermute_b32 v4, v36, v4
	ds_bpermute_b32 v27, v33, v17
	ds_bpermute_b32 v28, v33, v16
	s_waitcnt lgkmcnt(16)
	v_cndmask_b32_e64 v20, 0, v31, s1
	s_waitcnt lgkmcnt(13)
	v_cndmask_b32_e64 v21, v21, v49, s2
	v_cndmask_b32_e64 v3, v23, v47, s4
	;; [unrolled: 1-line block ×3, first 2 shown]
	ds_bpermute_b32 v23, v35, v13
	ds_bpermute_b32 v12, v36, v12
	;; [unrolled: 1-line block ×7, first 2 shown]
	s_waitcnt lgkmcnt(19)
	v_cndmask_b32_e64 v20, v20, v48, s2
	s_waitcnt lgkmcnt(18)
	v_cndmask_b32_e64 v21, v21, v50, s3
	;; [unrolled: 2-line block ×3, first 2 shown]
	ds_bpermute_b32 v13, v36, v13
	ds_bpermute_b32 v47, v33, v11
	;; [unrolled: 1-line block ×5, first 2 shown]
	s_waitcnt lgkmcnt(21)
	v_cndmask_b32_e64 v20, v20, v51, s3
	s_waitcnt lgkmcnt(20)
	v_cndmask_b32_e64 v29, 0, v5, s1
	;; [unrolled: 2-line block ×22, first 2 shown]
	ds_bpermute_b32 v21, v34, v9
	ds_bpermute_b32 v22, v35, v15
	;; [unrolled: 1-line block ×20, first 2 shown]
	s_waitcnt lgkmcnt(19)
	v_cndmask_b32_e64 v19, v19, v21, s3
	s_waitcnt lgkmcnt(18)
	v_cndmask_b32_e64 v21, 0, v22, s1
	;; [unrolled: 2-line block ×5, first 2 shown]
	s_mov_b32 s29, 8
	s_waitcnt lgkmcnt(14)
	v_cndmask_b32_e64 v21, v21, v25, s2
	s_waitcnt lgkmcnt(13)
	v_cndmask_b32_e64 v22, v22, v26, s2
	;; [unrolled: 2-line block ×15, first 2 shown]
	s_mov_b32 s30, 32
	s_mov_b32 s31, 0
	s_barrier
	s_branch .LBB173_4
.LBB173_3:                              ;   in Loop: Header=BB173_4 Depth=2
	s_barrier
	buffer_gl0_inv
	ds_store_b64 v46, v[16:17]
	ds_store_b64 v47, v[27:28]
	;; [unrolled: 1-line block ×4, first 2 shown]
	s_waitcnt lgkmcnt(0)
	s_barrier
	buffer_gl0_inv
	ds_load_2addr_b64 v[0:3], v43 offset1:32
	ds_load_2addr_b64 v[4:7], v43 offset0:64 offset1:96
	s_waitcnt lgkmcnt(0)
	s_barrier
	buffer_gl0_inv
	ds_store_b64 v46, v[21:22]
	ds_store_b64 v47, v[19:20]
	;; [unrolled: 1-line block ×4, first 2 shown]
	s_waitcnt lgkmcnt(0)
	s_barrier
	buffer_gl0_inv
	ds_load_2addr_b64 v[12:15], v43 offset1:32
	ds_load_2addr_b64 v[8:11], v43 offset0:64 offset1:96
	s_add_i32 s30, s30, -8
	s_add_i32 s29, s29, 8
	s_add_i32 s31, s31, 8
	s_waitcnt lgkmcnt(0)
	s_barrier
	s_cbranch_execz .LBB173_1
.LBB173_4:                              ;   Parent Loop BB173_2 Depth=1
                                        ; =>  This Inner Loop Header: Depth=2
	s_min_i32 s18, s29, 32
	s_cmp_lt_u32 s31, 32
	v_dual_mov_b32 v17, v1 :: v_dual_mov_b32 v16, v0
	s_cselect_b32 vcc_lo, -1, 0
	s_cmp_gt_u32 s31, 24
	v_mov_b32_e32 v30, v7
	s_cselect_b32 s17, -1, 0
	s_sub_i32 s18, s18, 32
	v_lshrrev_b32_e32 v1, s31, v17
	s_add_i32 s19, s18, s30
	v_mov_b32_e32 v32, v5
	s_lshl_b32 s19, -1, s19
	buffer_gl0_inv
	s_not_b32 s19, s19
	s_cmp_lg_u32 s18, s31
	v_mov_b32_e32 v28, v3
	s_cselect_b32 s33, s19, -1
	s_max_i32 s34, s30, 0
	s_max_i32 s18, s31, 32
	v_and_b32_e32 v1, s33, v1
	s_sub_i32 s19, s18, s34
	s_sub_i32 s35, s18, 32
	;; [unrolled: 1-line block ×3, first 2 shown]
	v_lshrrev_b32_e32 v0, s35, v16
	s_min_i32 s18, s19, 32
	v_cndmask_b32_e32 v1, 0, v1, vcc_lo
	s_sub_i32 s18, s18, s35
	v_mov_b32_e32 v27, v2
	s_lshl_b32 s19, -1, s18
	v_mov_b32_e32 v29, v6
	s_not_b32 s19, s19
	s_cmp_lg_u32 s18, 32
	v_mov_b32_e32 v31, v4
	s_cselect_b32 s36, s19, -1
	s_delay_alu instid0(SALU_CYCLE_1) | instskip(NEXT) | instid1(VALU_DEP_1)
	v_and_b32_e32 v0, s36, v0
	v_lshlrev_b32_e32 v0, s34, v0
	s_delay_alu instid0(VALU_DEP_1) | instskip(NEXT) | instid1(VALU_DEP_1)
	v_cndmask_b32_e64 v0, 0, v0, s17
	v_or_b32_e32 v46, v1, v0
	s_delay_alu instid0(VALU_DEP_1)
	v_and_b32_e32 v0, 1, v46
	v_lshlrev_b32_e32 v1, 30, v46
	v_lshlrev_b32_e32 v19, 29, v46
	v_lshlrev_b32_e32 v20, 28, v46
	v_lshlrev_b32_e32 v22, 27, v46
	v_add_co_u32 v0, s18, v0, -1
	s_delay_alu instid0(VALU_DEP_1)
	v_cndmask_b32_e64 v21, 0, 1, s18
	v_not_b32_e32 v25, v1
	v_cmp_gt_i32_e64 s19, 0, v1
	v_lshlrev_b32_e32 v23, 26, v46
	v_lshlrev_b32_e32 v24, 25, v46
	v_cmp_ne_u32_e64 s18, 0, v21
	v_ashrrev_i32_e32 v25, 31, v25
	v_lshlrev_b32_e32 v21, 24, v46
	s_delay_alu instid0(VALU_DEP_3) | instskip(NEXT) | instid1(VALU_DEP_3)
	v_xor_b32_e32 v0, s18, v0
	v_xor_b32_e32 v25, s19, v25
	s_delay_alu instid0(VALU_DEP_2) | instskip(NEXT) | instid1(VALU_DEP_1)
	v_and_b32_e32 v0, exec_lo, v0
	v_and_b32_e32 v0, v0, v25
	v_mov_b32_e32 v26, v9
	v_not_b32_e32 v1, v19
	v_cmp_gt_i32_e64 s18, 0, v19
	v_mov_b32_e32 v25, v8
	v_not_b32_e32 v19, v20
	v_cmp_gt_i32_e64 s19, 0, v20
	v_ashrrev_i32_e32 v1, 31, v1
	v_not_b32_e32 v20, v22
	s_delay_alu instid0(VALU_DEP_4) | instskip(NEXT) | instid1(VALU_DEP_3)
	v_ashrrev_i32_e32 v19, 31, v19
	v_xor_b32_e32 v1, s18, v1
	v_cmp_gt_i32_e64 s18, 0, v22
	v_not_b32_e32 v22, v23
	v_ashrrev_i32_e32 v20, 31, v20
	v_xor_b32_e32 v19, s19, v19
	v_and_b32_e32 v0, v0, v1
	v_cmp_gt_i32_e64 s19, 0, v23
	v_not_b32_e32 v1, v24
	v_ashrrev_i32_e32 v22, 31, v22
	v_xor_b32_e32 v20, s18, v20
	v_and_b32_e32 v0, v0, v19
	v_cmp_gt_i32_e64 s18, 0, v24
	v_not_b32_e32 v19, v21
	v_ashrrev_i32_e32 v1, 31, v1
	v_xor_b32_e32 v22, s19, v22
	v_and_b32_e32 v0, v0, v20
	v_cmp_gt_i32_e64 s19, 0, v21
	v_ashrrev_i32_e32 v23, 31, v19
	v_xor_b32_e32 v1, s18, v1
	v_mov_b32_e32 v20, v15
	v_and_b32_e32 v0, v0, v22
	v_dual_mov_b32 v22, v13 :: v_dual_mov_b32 v21, v12
	v_xor_b32_e32 v12, s19, v23
	v_mov_b32_e32 v24, v11
	s_delay_alu instid0(VALU_DEP_4) | instskip(SKIP_2) | instid1(VALU_DEP_3)
	v_dual_mov_b32 v23, v10 :: v_dual_and_b32 v0, v0, v1
	v_mov_b32_e32 v1, s26
	v_dual_mov_b32 v9, s20 :: v_dual_mov_b32 v2, s27
	v_and_b32_e32 v0, v0, v12
	v_mov_b32_e32 v10, s21
	ds_store_2addr_b64 v37, v[1:2], v[9:10] offset0:4 offset1:5
	ds_store_2addr_b64 v38, v[1:2], v[9:10] offset0:2 offset1:3
	v_mbcnt_lo_u32_b32 v8, v0, 0
	v_lshl_add_u32 v1, v46, 3, v44
	v_cmp_ne_u32_e64 s19, 0, v0
	v_mov_b32_e32 v19, v14
	s_waitcnt lgkmcnt(0)
	v_cmp_eq_u32_e64 s18, 0, v8
	v_lshl_add_u32 v9, v1, 2, 32
	s_barrier
	buffer_gl0_inv
	s_and_b32 s19, s18, s19
	; wave barrier
	s_delay_alu instid0(SALU_CYCLE_1)
	s_and_saveexec_b32 s18, s19
	s_cbranch_execz .LBB173_6
; %bb.5:                                ;   in Loop: Header=BB173_4 Depth=2
	v_bcnt_u32_b32 v0, v0, 0
	ds_store_b32 v9, v0
.LBB173_6:                              ;   in Loop: Header=BB173_4 Depth=2
	s_or_b32 exec_lo, exec_lo, s18
	v_lshrrev_b32_e32 v0, s35, v27
	v_lshrrev_b32_e32 v1, s31, v28
	; wave barrier
	s_delay_alu instid0(VALU_DEP_1) | instskip(NEXT) | instid1(VALU_DEP_1)
	v_and_b32_e32 v1, s33, v1
	v_dual_cndmask_b32 v1, 0, v1 :: v_dual_and_b32 v0, s36, v0
	s_delay_alu instid0(VALU_DEP_1) | instskip(NEXT) | instid1(VALU_DEP_1)
	v_lshlrev_b32_e32 v0, s34, v0
	v_cndmask_b32_e64 v0, 0, v0, s17
	s_delay_alu instid0(VALU_DEP_1) | instskip(NEXT) | instid1(VALU_DEP_1)
	v_or_b32_e32 v0, v1, v0
	v_and_b32_e32 v1, 1, v0
	v_lshlrev_b32_e32 v2, 30, v0
	v_lshlrev_b32_e32 v3, 29, v0
	;; [unrolled: 1-line block ×4, first 2 shown]
	v_add_co_u32 v1, s18, v1, -1
	s_delay_alu instid0(VALU_DEP_1)
	v_cndmask_b32_e64 v5, 0, 1, s18
	v_not_b32_e32 v11, v2
	v_cmp_gt_i32_e64 s19, 0, v2
	v_not_b32_e32 v2, v3
	v_lshlrev_b32_e32 v7, 26, v0
	v_cmp_ne_u32_e64 s18, 0, v5
	v_ashrrev_i32_e32 v11, 31, v11
	v_lshlrev_b32_e32 v10, 25, v0
	v_ashrrev_i32_e32 v2, 31, v2
	v_lshlrev_b32_e32 v5, 24, v0
	v_xor_b32_e32 v1, s18, v1
	v_cmp_gt_i32_e64 s18, 0, v3
	v_not_b32_e32 v3, v4
	v_xor_b32_e32 v11, s19, v11
	v_cmp_gt_i32_e64 s19, 0, v4
	v_and_b32_e32 v1, exec_lo, v1
	v_not_b32_e32 v4, v6
	v_ashrrev_i32_e32 v3, 31, v3
	v_xor_b32_e32 v2, s18, v2
	v_cmp_gt_i32_e64 s18, 0, v6
	v_and_b32_e32 v1, v1, v11
	v_not_b32_e32 v6, v7
	v_ashrrev_i32_e32 v4, 31, v4
	v_xor_b32_e32 v3, s19, v3
	v_cmp_gt_i32_e64 s19, 0, v7
	v_and_b32_e32 v1, v1, v2
	;; [unrolled: 5-line block ×3, first 2 shown]
	v_not_b32_e32 v3, v5
	v_ashrrev_i32_e32 v2, 31, v2
	v_xor_b32_e32 v6, s19, v6
	v_lshlrev_b32_e32 v0, 3, v0
	v_and_b32_e32 v1, v1, v4
	v_cmp_gt_i32_e64 s19, 0, v5
	v_ashrrev_i32_e32 v3, 31, v3
	v_xor_b32_e32 v2, s18, v2
	v_add_lshl_u32 v4, v0, v44, 2
	v_and_b32_e32 v1, v1, v6
	s_delay_alu instid0(VALU_DEP_4) | instskip(SKIP_3) | instid1(VALU_DEP_2)
	v_xor_b32_e32 v0, s19, v3
	ds_load_b32 v10, v4 offset:32
	v_and_b32_e32 v1, v1, v2
	v_add_nc_u32_e32 v12, 32, v4
	; wave barrier
	v_and_b32_e32 v0, v1, v0
	s_delay_alu instid0(VALU_DEP_1) | instskip(SKIP_1) | instid1(VALU_DEP_2)
	v_mbcnt_lo_u32_b32 v11, v0, 0
	v_cmp_ne_u32_e64 s19, 0, v0
	v_cmp_eq_u32_e64 s18, 0, v11
	s_delay_alu instid0(VALU_DEP_1) | instskip(NEXT) | instid1(SALU_CYCLE_1)
	s_and_b32 s19, s18, s19
	s_and_saveexec_b32 s18, s19
	s_cbranch_execz .LBB173_8
; %bb.7:                                ;   in Loop: Header=BB173_4 Depth=2
	s_waitcnt lgkmcnt(0)
	v_bcnt_u32_b32 v0, v0, v10
	ds_store_b32 v12, v0
.LBB173_8:                              ;   in Loop: Header=BB173_4 Depth=2
	s_or_b32 exec_lo, exec_lo, s18
	v_lshrrev_b32_e32 v0, s35, v31
	v_lshrrev_b32_e32 v1, s31, v32
	; wave barrier
	s_delay_alu instid0(VALU_DEP_1) | instskip(NEXT) | instid1(VALU_DEP_1)
	v_and_b32_e32 v1, s33, v1
	v_dual_cndmask_b32 v1, 0, v1 :: v_dual_and_b32 v0, s36, v0
	s_delay_alu instid0(VALU_DEP_1) | instskip(NEXT) | instid1(VALU_DEP_1)
	v_lshlrev_b32_e32 v0, s34, v0
	v_cndmask_b32_e64 v0, 0, v0, s17
	s_delay_alu instid0(VALU_DEP_1) | instskip(NEXT) | instid1(VALU_DEP_1)
	v_or_b32_e32 v0, v1, v0
	v_and_b32_e32 v1, 1, v0
	v_lshlrev_b32_e32 v2, 30, v0
	v_lshlrev_b32_e32 v3, 29, v0
	;; [unrolled: 1-line block ×4, first 2 shown]
	v_add_co_u32 v1, s18, v1, -1
	s_delay_alu instid0(VALU_DEP_1)
	v_cndmask_b32_e64 v5, 0, 1, s18
	v_not_b32_e32 v14, v2
	v_cmp_gt_i32_e64 s19, 0, v2
	v_not_b32_e32 v2, v3
	v_lshlrev_b32_e32 v7, 26, v0
	v_cmp_ne_u32_e64 s18, 0, v5
	v_ashrrev_i32_e32 v14, 31, v14
	v_lshlrev_b32_e32 v13, 25, v0
	v_ashrrev_i32_e32 v2, 31, v2
	v_lshlrev_b32_e32 v5, 24, v0
	v_xor_b32_e32 v1, s18, v1
	v_cmp_gt_i32_e64 s18, 0, v3
	v_not_b32_e32 v3, v4
	v_xor_b32_e32 v14, s19, v14
	v_cmp_gt_i32_e64 s19, 0, v4
	v_and_b32_e32 v1, exec_lo, v1
	v_not_b32_e32 v4, v6
	v_ashrrev_i32_e32 v3, 31, v3
	v_xor_b32_e32 v2, s18, v2
	v_cmp_gt_i32_e64 s18, 0, v6
	v_and_b32_e32 v1, v1, v14
	v_not_b32_e32 v6, v7
	v_ashrrev_i32_e32 v4, 31, v4
	v_xor_b32_e32 v3, s19, v3
	v_cmp_gt_i32_e64 s19, 0, v7
	v_and_b32_e32 v1, v1, v2
	;; [unrolled: 5-line block ×3, first 2 shown]
	v_not_b32_e32 v3, v5
	v_ashrrev_i32_e32 v2, 31, v2
	v_xor_b32_e32 v6, s19, v6
	v_lshlrev_b32_e32 v0, 3, v0
	v_and_b32_e32 v1, v1, v4
	v_cmp_gt_i32_e64 s19, 0, v5
	v_ashrrev_i32_e32 v3, 31, v3
	v_xor_b32_e32 v2, s18, v2
	v_add_lshl_u32 v4, v0, v44, 2
	v_and_b32_e32 v1, v1, v6
	s_delay_alu instid0(VALU_DEP_4) | instskip(SKIP_3) | instid1(VALU_DEP_2)
	v_xor_b32_e32 v0, s19, v3
	ds_load_b32 v13, v4 offset:32
	v_and_b32_e32 v1, v1, v2
	v_add_nc_u32_e32 v15, 32, v4
	; wave barrier
	v_and_b32_e32 v0, v1, v0
	s_delay_alu instid0(VALU_DEP_1) | instskip(SKIP_1) | instid1(VALU_DEP_2)
	v_mbcnt_lo_u32_b32 v14, v0, 0
	v_cmp_ne_u32_e64 s19, 0, v0
	v_cmp_eq_u32_e64 s18, 0, v14
	s_delay_alu instid0(VALU_DEP_1) | instskip(NEXT) | instid1(SALU_CYCLE_1)
	s_and_b32 s19, s18, s19
	s_and_saveexec_b32 s18, s19
	s_cbranch_execz .LBB173_10
; %bb.9:                                ;   in Loop: Header=BB173_4 Depth=2
	s_waitcnt lgkmcnt(0)
	v_bcnt_u32_b32 v0, v0, v13
	ds_store_b32 v15, v0
.LBB173_10:                             ;   in Loop: Header=BB173_4 Depth=2
	s_or_b32 exec_lo, exec_lo, s18
	v_lshrrev_b32_e32 v0, s35, v29
	v_lshrrev_b32_e32 v1, s31, v30
	; wave barrier
	s_delay_alu instid0(VALU_DEP_1) | instskip(NEXT) | instid1(VALU_DEP_1)
	v_and_b32_e32 v1, s33, v1
	v_dual_cndmask_b32 v1, 0, v1 :: v_dual_and_b32 v0, s36, v0
	s_delay_alu instid0(VALU_DEP_1) | instskip(NEXT) | instid1(VALU_DEP_1)
	v_lshlrev_b32_e32 v0, s34, v0
	v_cndmask_b32_e64 v0, 0, v0, s17
	s_delay_alu instid0(VALU_DEP_1) | instskip(NEXT) | instid1(VALU_DEP_1)
	v_or_b32_e32 v0, v1, v0
	v_and_b32_e32 v1, 1, v0
	v_lshlrev_b32_e32 v2, 30, v0
	v_lshlrev_b32_e32 v3, 29, v0
	;; [unrolled: 1-line block ×4, first 2 shown]
	v_add_co_u32 v1, s17, v1, -1
	s_delay_alu instid0(VALU_DEP_1)
	v_cndmask_b32_e64 v5, 0, 1, s17
	v_not_b32_e32 v47, v2
	v_cmp_gt_i32_e64 s17, 0, v2
	v_not_b32_e32 v2, v3
	v_lshlrev_b32_e32 v7, 26, v0
	v_cmp_ne_u32_e32 vcc_lo, 0, v5
	v_ashrrev_i32_e32 v47, 31, v47
	v_lshlrev_b32_e32 v46, 25, v0
	v_ashrrev_i32_e32 v2, 31, v2
	v_lshlrev_b32_e32 v5, 24, v0
	v_xor_b32_e32 v1, vcc_lo, v1
	v_cmp_gt_i32_e32 vcc_lo, 0, v3
	v_not_b32_e32 v3, v4
	v_xor_b32_e32 v47, s17, v47
	v_cmp_gt_i32_e64 s17, 0, v4
	v_and_b32_e32 v1, exec_lo, v1
	v_not_b32_e32 v4, v6
	v_ashrrev_i32_e32 v3, 31, v3
	v_xor_b32_e32 v2, vcc_lo, v2
	v_cmp_gt_i32_e32 vcc_lo, 0, v6
	v_and_b32_e32 v1, v1, v47
	v_not_b32_e32 v6, v7
	v_ashrrev_i32_e32 v4, 31, v4
	v_xor_b32_e32 v3, s17, v3
	v_cmp_gt_i32_e64 s17, 0, v7
	v_and_b32_e32 v1, v1, v2
	v_not_b32_e32 v2, v46
	v_ashrrev_i32_e32 v6, 31, v6
	v_xor_b32_e32 v4, vcc_lo, v4
	v_cmp_gt_i32_e32 vcc_lo, 0, v46
	v_and_b32_e32 v1, v1, v3
	v_not_b32_e32 v3, v5
	v_ashrrev_i32_e32 v2, 31, v2
	v_xor_b32_e32 v6, s17, v6
	v_lshlrev_b32_e32 v0, 3, v0
	v_and_b32_e32 v1, v1, v4
	v_cmp_gt_i32_e64 s17, 0, v5
	v_ashrrev_i32_e32 v3, 31, v3
	v_xor_b32_e32 v2, vcc_lo, v2
	v_add_lshl_u32 v4, v0, v44, 2
	v_and_b32_e32 v1, v1, v6
	s_delay_alu instid0(VALU_DEP_4) | instskip(SKIP_3) | instid1(VALU_DEP_2)
	v_xor_b32_e32 v0, s17, v3
	ds_load_b32 v46, v4 offset:32
	v_and_b32_e32 v1, v1, v2
	v_add_nc_u32_e32 v48, 32, v4
	; wave barrier
	v_and_b32_e32 v0, v1, v0
	s_delay_alu instid0(VALU_DEP_1) | instskip(SKIP_1) | instid1(VALU_DEP_2)
	v_mbcnt_lo_u32_b32 v47, v0, 0
	v_cmp_ne_u32_e64 s17, 0, v0
	v_cmp_eq_u32_e32 vcc_lo, 0, v47
	s_delay_alu instid0(VALU_DEP_2) | instskip(NEXT) | instid1(SALU_CYCLE_1)
	s_and_b32 s18, vcc_lo, s17
	s_and_saveexec_b32 s17, s18
	s_cbranch_execz .LBB173_12
; %bb.11:                               ;   in Loop: Header=BB173_4 Depth=2
	s_waitcnt lgkmcnt(0)
	v_bcnt_u32_b32 v0, v0, v46
	ds_store_b32 v48, v0
.LBB173_12:                             ;   in Loop: Header=BB173_4 Depth=2
	s_or_b32 exec_lo, exec_lo, s17
	; wave barrier
	s_waitcnt lgkmcnt(0)
	s_barrier
	buffer_gl0_inv
	ds_load_2addr_b64 v[4:7], v37 offset0:4 offset1:5
	ds_load_2addr_b64 v[0:3], v38 offset0:2 offset1:3
	s_waitcnt lgkmcnt(1)
	v_add_nc_u32_e32 v49, v5, v4
	s_delay_alu instid0(VALU_DEP_1) | instskip(SKIP_1) | instid1(VALU_DEP_1)
	v_add3_u32 v49, v49, v6, v7
	s_waitcnt lgkmcnt(0)
	v_add3_u32 v49, v49, v0, v1
	s_delay_alu instid0(VALU_DEP_1) | instskip(NEXT) | instid1(VALU_DEP_1)
	v_add3_u32 v3, v49, v2, v3
	v_mov_b32_dpp v49, v3 row_shr:1 row_mask:0xf bank_mask:0xf
	s_delay_alu instid0(VALU_DEP_1) | instskip(NEXT) | instid1(VALU_DEP_1)
	v_cndmask_b32_e64 v49, v49, 0, s5
	v_add_nc_u32_e32 v3, v49, v3
	s_delay_alu instid0(VALU_DEP_1) | instskip(NEXT) | instid1(VALU_DEP_1)
	v_mov_b32_dpp v49, v3 row_shr:2 row_mask:0xf bank_mask:0xf
	v_cndmask_b32_e64 v49, 0, v49, s6
	s_delay_alu instid0(VALU_DEP_1) | instskip(NEXT) | instid1(VALU_DEP_1)
	v_add_nc_u32_e32 v3, v3, v49
	v_mov_b32_dpp v49, v3 row_shr:4 row_mask:0xf bank_mask:0xf
	s_delay_alu instid0(VALU_DEP_1) | instskip(NEXT) | instid1(VALU_DEP_1)
	v_cndmask_b32_e64 v49, 0, v49, s7
	v_add_nc_u32_e32 v3, v3, v49
	s_delay_alu instid0(VALU_DEP_1) | instskip(NEXT) | instid1(VALU_DEP_1)
	v_mov_b32_dpp v49, v3 row_shr:8 row_mask:0xf bank_mask:0xf
	v_cndmask_b32_e64 v49, 0, v49, s8
	s_delay_alu instid0(VALU_DEP_1) | instskip(SKIP_3) | instid1(VALU_DEP_1)
	v_add_nc_u32_e32 v3, v3, v49
	ds_swizzle_b32 v49, v3 offset:swizzle(BROADCAST,32,15)
	s_waitcnt lgkmcnt(0)
	v_cndmask_b32_e64 v49, v49, 0, s9
	v_add_nc_u32_e32 v3, v3, v49
	s_and_saveexec_b32 s17, s16
	s_cbranch_execz .LBB173_14
; %bb.13:                               ;   in Loop: Header=BB173_4 Depth=2
	ds_store_b32 v39, v3
.LBB173_14:                             ;   in Loop: Header=BB173_4 Depth=2
	s_or_b32 exec_lo, exec_lo, s17
	s_waitcnt lgkmcnt(0)
	s_barrier
	buffer_gl0_inv
	s_and_saveexec_b32 s17, s10
	s_cbranch_execz .LBB173_16
; %bb.15:                               ;   in Loop: Header=BB173_4 Depth=2
	ds_load_b32 v49, v41
	s_waitcnt lgkmcnt(0)
	v_mov_b32_dpp v50, v49 row_shr:1 row_mask:0xf bank_mask:0xf
	s_delay_alu instid0(VALU_DEP_1) | instskip(NEXT) | instid1(VALU_DEP_1)
	v_cndmask_b32_e64 v50, v50, 0, s13
	v_add_nc_u32_e32 v49, v50, v49
	s_delay_alu instid0(VALU_DEP_1) | instskip(NEXT) | instid1(VALU_DEP_1)
	v_mov_b32_dpp v50, v49 row_shr:2 row_mask:0xf bank_mask:0xf
	v_cndmask_b32_e64 v50, 0, v50, s14
	s_delay_alu instid0(VALU_DEP_1) | instskip(NEXT) | instid1(VALU_DEP_1)
	v_add_nc_u32_e32 v49, v49, v50
	v_mov_b32_dpp v50, v49 row_shr:4 row_mask:0xf bank_mask:0xf
	s_delay_alu instid0(VALU_DEP_1) | instskip(NEXT) | instid1(VALU_DEP_1)
	v_cndmask_b32_e64 v50, 0, v50, s15
	v_add_nc_u32_e32 v49, v49, v50
	ds_store_b32 v41, v49
.LBB173_16:                             ;   in Loop: Header=BB173_4 Depth=2
	s_or_b32 exec_lo, exec_lo, s17
	v_mov_b32_e32 v49, 0
	s_waitcnt lgkmcnt(0)
	s_barrier
	buffer_gl0_inv
	s_and_saveexec_b32 s17, s11
	s_cbranch_execz .LBB173_18
; %bb.17:                               ;   in Loop: Header=BB173_4 Depth=2
	ds_load_b32 v49, v42
.LBB173_18:                             ;   in Loop: Header=BB173_4 Depth=2
	s_or_b32 exec_lo, exec_lo, s17
	s_waitcnt lgkmcnt(0)
	v_add_nc_u32_e32 v3, v49, v3
	s_cmp_gt_u32 s31, 55
	ds_bpermute_b32 v3, v40, v3
	s_waitcnt lgkmcnt(0)
	v_cndmask_b32_e64 v3, v3, v49, s0
	s_delay_alu instid0(VALU_DEP_1) | instskip(NEXT) | instid1(VALU_DEP_1)
	v_cndmask_b32_e64 v3, v3, 0, s12
	v_add_nc_u32_e32 v4, v3, v4
	s_delay_alu instid0(VALU_DEP_1) | instskip(NEXT) | instid1(VALU_DEP_1)
	v_add_nc_u32_e32 v5, v4, v5
	v_add_nc_u32_e32 v6, v5, v6
	s_delay_alu instid0(VALU_DEP_1) | instskip(SKIP_1) | instid1(VALU_DEP_2)
	v_add_nc_u32_e32 v49, v6, v7
	v_lshlrev_b32_e32 v7, 3, v14
	v_add_nc_u32_e32 v50, v49, v0
	s_delay_alu instid0(VALU_DEP_1) | instskip(NEXT) | instid1(VALU_DEP_1)
	v_add_nc_u32_e32 v0, v50, v1
	v_add_nc_u32_e32 v1, v0, v2
	ds_store_2addr_b64 v37, v[3:4], v[5:6] offset0:4 offset1:5
	ds_store_2addr_b64 v38, v[49:50], v[0:1] offset0:2 offset1:3
	s_waitcnt lgkmcnt(0)
	s_barrier
	buffer_gl0_inv
	ds_load_b32 v0, v12
	ds_load_b32 v1, v15
	;; [unrolled: 1-line block ×4, first 2 shown]
	v_lshlrev_b32_e32 v4, 3, v8
	v_lshlrev_b32_e32 v5, 3, v11
	;; [unrolled: 1-line block ×6, first 2 shown]
	s_waitcnt lgkmcnt(0)
	v_lshlrev_b32_e32 v0, 3, v0
	v_lshlrev_b32_e32 v1, 3, v1
	;; [unrolled: 1-line block ×3, first 2 shown]
	v_lshl_add_u32 v46, v3, 3, v4
	s_delay_alu instid0(VALU_DEP_4) | instskip(NEXT) | instid1(VALU_DEP_4)
	v_add3_u32 v47, v5, v6, v0
	v_add3_u32 v48, v7, v8, v1
	s_delay_alu instid0(VALU_DEP_4)
	v_add3_u32 v49, v9, v10, v2
	s_cbranch_scc0 .LBB173_3
; %bb.19:                               ;   in Loop: Header=BB173_2 Depth=1
                                        ; implicit-def: $sgpr31
                                        ; implicit-def: $vgpr12_vgpr13
                                        ; implicit-def: $vgpr8_vgpr9
                                        ; implicit-def: $vgpr0_vgpr1
                                        ; implicit-def: $vgpr4_vgpr5
                                        ; implicit-def: $sgpr30
                                        ; implicit-def: $sgpr29
	s_branch .LBB173_1
.LBB173_20:
	s_waitcnt lgkmcnt(1)
	v_add_nc_u32_e32 v5, v5, v14
	v_lshlrev_b32_e32 v14, 3, v18
	s_add_u32 s0, s22, s24
	s_addc_u32 s1, s23, s25
	s_waitcnt lgkmcnt(0)
	v_add_nc_u32_e32 v3, v3, v8
	v_add_nc_u32_e32 v6, v6, v15
	v_add_co_u32 v7, s2, s0, v14
	s_delay_alu instid0(VALU_DEP_1) | instskip(SKIP_1) | instid1(VALU_DEP_3)
	v_add_co_ci_u32_e64 v8, null, s1, 0, s2
	v_add_nc_u32_e32 v12, v12, v16
	v_add_co_u32 v7, vcc_lo, 0x1000, v7
	v_add_nc_u32_e32 v13, v13, v17
	v_add_nc_u32_e32 v4, v4, v9
	v_add_co_ci_u32_e32 v8, vcc_lo, 0, v8, vcc_lo
	v_add_nc_u32_e32 v0, v1, v10
	v_add_nc_u32_e32 v1, v2, v11
	s_clause 0x3
	global_store_b64 v14, v[5:6], s[0:1]
	global_store_b64 v14, v[12:13], s[0:1] offset:2048
	global_store_b64 v[7:8], v[3:4], off
	global_store_b64 v[7:8], v[0:1], off offset:2048
	s_nop 0
	s_sendmsg sendmsg(MSG_DEALLOC_VGPRS)
	s_endpgm
	.section	.rodata,"a",@progbits
	.p2align	6, 0x0
	.amdhsa_kernel _Z17sort_pairs_kernelI22helper_blocked_blockedN15benchmark_utils11custom_typeIiiEELj256ELj4ELj10EEvPKT0_PS4_
		.amdhsa_group_segment_fixed_size 8224
		.amdhsa_private_segment_fixed_size 0
		.amdhsa_kernarg_size 272
		.amdhsa_user_sgpr_count 15
		.amdhsa_user_sgpr_dispatch_ptr 0
		.amdhsa_user_sgpr_queue_ptr 0
		.amdhsa_user_sgpr_kernarg_segment_ptr 1
		.amdhsa_user_sgpr_dispatch_id 0
		.amdhsa_user_sgpr_private_segment_size 0
		.amdhsa_wavefront_size32 1
		.amdhsa_uses_dynamic_stack 0
		.amdhsa_enable_private_segment 0
		.amdhsa_system_sgpr_workgroup_id_x 1
		.amdhsa_system_sgpr_workgroup_id_y 0
		.amdhsa_system_sgpr_workgroup_id_z 0
		.amdhsa_system_sgpr_workgroup_info 0
		.amdhsa_system_vgpr_workitem_id 2
		.amdhsa_next_free_vgpr 52
		.amdhsa_next_free_sgpr 37
		.amdhsa_reserve_vcc 1
		.amdhsa_float_round_mode_32 0
		.amdhsa_float_round_mode_16_64 0
		.amdhsa_float_denorm_mode_32 3
		.amdhsa_float_denorm_mode_16_64 3
		.amdhsa_dx10_clamp 1
		.amdhsa_ieee_mode 1
		.amdhsa_fp16_overflow 0
		.amdhsa_workgroup_processor_mode 1
		.amdhsa_memory_ordered 1
		.amdhsa_forward_progress 0
		.amdhsa_shared_vgpr_count 0
		.amdhsa_exception_fp_ieee_invalid_op 0
		.amdhsa_exception_fp_denorm_src 0
		.amdhsa_exception_fp_ieee_div_zero 0
		.amdhsa_exception_fp_ieee_overflow 0
		.amdhsa_exception_fp_ieee_underflow 0
		.amdhsa_exception_fp_ieee_inexact 0
		.amdhsa_exception_int_div_zero 0
	.end_amdhsa_kernel
	.section	.text._Z17sort_pairs_kernelI22helper_blocked_blockedN15benchmark_utils11custom_typeIiiEELj256ELj4ELj10EEvPKT0_PS4_,"axG",@progbits,_Z17sort_pairs_kernelI22helper_blocked_blockedN15benchmark_utils11custom_typeIiiEELj256ELj4ELj10EEvPKT0_PS4_,comdat
.Lfunc_end173:
	.size	_Z17sort_pairs_kernelI22helper_blocked_blockedN15benchmark_utils11custom_typeIiiEELj256ELj4ELj10EEvPKT0_PS4_, .Lfunc_end173-_Z17sort_pairs_kernelI22helper_blocked_blockedN15benchmark_utils11custom_typeIiiEELj256ELj4ELj10EEvPKT0_PS4_
                                        ; -- End function
	.section	.AMDGPU.csdata,"",@progbits
; Kernel info:
; codeLenInByte = 4724
; NumSgprs: 39
; NumVgprs: 52
; ScratchSize: 0
; MemoryBound: 0
; FloatMode: 240
; IeeeMode: 1
; LDSByteSize: 8224 bytes/workgroup (compile time only)
; SGPRBlocks: 4
; VGPRBlocks: 6
; NumSGPRsForWavesPerEU: 39
; NumVGPRsForWavesPerEU: 52
; Occupancy: 16
; WaveLimiterHint : 1
; COMPUTE_PGM_RSRC2:SCRATCH_EN: 0
; COMPUTE_PGM_RSRC2:USER_SGPR: 15
; COMPUTE_PGM_RSRC2:TRAP_HANDLER: 0
; COMPUTE_PGM_RSRC2:TGID_X_EN: 1
; COMPUTE_PGM_RSRC2:TGID_Y_EN: 0
; COMPUTE_PGM_RSRC2:TGID_Z_EN: 0
; COMPUTE_PGM_RSRC2:TIDIG_COMP_CNT: 2
	.section	.text._Z16sort_keys_kernelI22helper_blocked_blockedN15benchmark_utils11custom_typeIiiEELj256ELj8ELj10EEvPKT0_PS4_,"axG",@progbits,_Z16sort_keys_kernelI22helper_blocked_blockedN15benchmark_utils11custom_typeIiiEELj256ELj8ELj10EEvPKT0_PS4_,comdat
	.protected	_Z16sort_keys_kernelI22helper_blocked_blockedN15benchmark_utils11custom_typeIiiEELj256ELj8ELj10EEvPKT0_PS4_ ; -- Begin function _Z16sort_keys_kernelI22helper_blocked_blockedN15benchmark_utils11custom_typeIiiEELj256ELj8ELj10EEvPKT0_PS4_
	.globl	_Z16sort_keys_kernelI22helper_blocked_blockedN15benchmark_utils11custom_typeIiiEELj256ELj8ELj10EEvPKT0_PS4_
	.p2align	8
	.type	_Z16sort_keys_kernelI22helper_blocked_blockedN15benchmark_utils11custom_typeIiiEELj256ELj8ELj10EEvPKT0_PS4_,@function
_Z16sort_keys_kernelI22helper_blocked_blockedN15benchmark_utils11custom_typeIiiEELj256ELj8ELj10EEvPKT0_PS4_: ; @_Z16sort_keys_kernelI22helper_blocked_blockedN15benchmark_utils11custom_typeIiiEELj256ELj8ELj10EEvPKT0_PS4_
; %bb.0:
	s_clause 0x1
	s_load_b128 s[16:19], s[0:1], 0x0
	s_load_b32 s2, s[0:1], 0x1c
	v_and_b32_e32 v16, 0x3ff, v0
	s_mov_b32 s23, 0
	s_lshl_b32 s22, s15, 11
	v_mbcnt_lo_u32_b32 v21, -1, 0
	s_lshl_b64 s[20:21], s[22:23], 3
	v_lshlrev_b32_e32 v15, 3, v16
	v_and_b32_e32 v22, 0xe0, v16
	v_lshlrev_b32_e32 v33, 5, v16
	v_cmp_gt_u32_e64 s6, 8, v16
	v_cmp_lt_u32_e64 s7, 31, v16
	v_cmp_eq_u32_e64 s8, 0, v21
	v_or_b32_e32 v23, v21, v22
	v_mad_i32_i24 v40, 0xffffffe4, v16, v33
	v_add_nc_u32_e32 v36, 32, v33
	v_cmp_eq_u32_e64 s9, 0, v16
	s_mov_b32 s22, s23
	v_lshlrev_b32_e32 v34, 6, v23
	s_mov_b32 s24, s23
	s_waitcnt lgkmcnt(0)
	s_add_u32 s0, s16, s20
	s_addc_u32 s1, s17, s21
	v_add_co_u32 v1, s3, s0, v15
	s_delay_alu instid0(VALU_DEP_1) | instskip(SKIP_1) | instid1(VALU_DEP_2)
	v_add_co_ci_u32_e64 v2, null, s1, 0, s3
	s_mov_b32 s16, s23
	v_add_co_u32 v5, vcc_lo, 0x1000, v1
	s_delay_alu instid0(VALU_DEP_2)
	v_add_co_ci_u32_e32 v6, vcc_lo, 0, v2, vcc_lo
	v_add_co_u32 v17, vcc_lo, v1, 0x2000
	v_add_co_ci_u32_e32 v18, vcc_lo, 0, v2, vcc_lo
	v_add_co_u32 v9, vcc_lo, 0x2000, v1
	;; [unrolled: 2-line block ×3, first 2 shown]
	v_add_co_ci_u32_e32 v20, vcc_lo, 0, v2, vcc_lo
	s_clause 0x7
	global_load_b64 v[11:12], v[17:18], off
	global_load_b64 v[1:2], v15, s[0:1]
	global_load_b64 v[3:4], v15, s[0:1] offset:2048
	global_load_b64 v[7:8], v[5:6], off offset:2048
	global_load_b64 v[9:10], v[9:10], off offset:2048
	global_load_b64 v[13:14], v[19:20], off
	global_load_b64 v[5:6], v[17:18], off offset:-4096
	global_load_b64 v[17:18], v[19:20], off offset:2048
	v_bfe_u32 v19, v0, 10, 10
	v_bfe_u32 v0, v0, 20, 10
	s_lshr_b32 s0, s2, 16
	s_mov_b32 s17, s23
	s_delay_alu instid0(VALU_DEP_1) | instskip(SKIP_2) | instid1(VALU_DEP_1)
	v_mad_u32_u24 v0, v0, s0, v19
	s_and_b32 s0, s2, 0xffff
	s_waitcnt vmcnt(0)
	v_mad_u64_u32 v[19:20], null, v0, s0, v[16:17]
	v_and_or_b32 v0, 0x700, v15, v21
	v_and_b32_e32 v15, 15, v21
	v_or_b32_e32 v20, 31, v22
	s_delay_alu instid0(VALU_DEP_3)
	v_lshlrev_b32_e32 v35, 3, v0
	v_lshrrev_b32_e32 v37, 5, v19
	v_add_nc_u32_e32 v19, -1, v21
	v_and_b32_e32 v0, 16, v21
	v_cmp_eq_u32_e64 s0, 0, v15
	v_cmp_lt_u32_e64 s1, 1, v15
	v_cmp_lt_u32_e64 s2, 3, v15
	v_cmp_gt_i32_e32 vcc_lo, 0, v19
	v_cmp_lt_u32_e64 s3, 7, v15
	v_cmp_eq_u32_e64 s4, 0, v0
	v_lshrrev_b32_e32 v15, 3, v16
	v_cmp_eq_u32_e64 s5, v20, v16
	s_delay_alu instid0(VALU_DEP_2) | instskip(SKIP_1) | instid1(VALU_DEP_2)
	v_dual_cndmask_b32 v0, v19, v21 :: v_dual_and_b32 v39, 28, v15
	v_mul_u32_u24_e32 v15, 60, v16
	v_lshlrev_b32_e32 v38, 2, v0
	v_and_b32_e32 v0, 7, v21
	s_delay_alu instid0(VALU_DEP_4) | instskip(NEXT) | instid1(VALU_DEP_4)
	v_add_nc_u32_e32 v41, -4, v39
	v_add_nc_u32_e32 v42, v40, v15
	s_delay_alu instid0(VALU_DEP_3)
	v_cmp_eq_u32_e64 s10, 0, v0
	v_cmp_lt_u32_e64 s11, 1, v0
	v_cmp_lt_u32_e64 s12, 3, v0
	s_branch .LBB174_2
.LBB174_1:                              ;   in Loop: Header=BB174_2 Depth=1
	s_barrier
	buffer_gl0_inv
	ds_store_b64 v43, v[17:18]
	ds_store_b64 v44, v[21:22]
	ds_store_b64 v45, v[19:20]
	ds_store_b64 v46, v[27:28]
	ds_store_b64 v47, v[25:26]
	ds_store_b64 v48, v[23:24]
	ds_store_b64 v49, v[31:32]
	ds_store_b64 v50, v[29:30]
	s_waitcnt lgkmcnt(0)
	s_barrier
	buffer_gl0_inv
	ds_load_2addr_b64 v[1:4], v42 offset1:1
	ds_load_2addr_b64 v[5:8], v42 offset0:2 offset1:3
	ds_load_2addr_b64 v[11:14], v42 offset0:4 offset1:5
	;; [unrolled: 1-line block ×3, first 2 shown]
	s_add_i32 s24, s24, 1
	s_delay_alu instid0(SALU_CYCLE_1)
	s_cmp_eq_u32 s24, 10
	s_waitcnt lgkmcnt(3)
	v_xor_b32_e32 v1, 0x80000000, v1
	v_xor_b32_e32 v2, 0x80000000, v2
	v_xor_b32_e32 v3, 0x80000000, v3
	v_xor_b32_e32 v4, 0x80000000, v4
	s_waitcnt lgkmcnt(2)
	v_xor_b32_e32 v5, 0x80000000, v5
	v_xor_b32_e32 v6, 0x80000000, v6
	v_xor_b32_e32 v7, 0x80000000, v7
	v_xor_b32_e32 v8, 0x80000000, v8
	;; [unrolled: 5-line block ×4, first 2 shown]
	s_cbranch_scc1 .LBB174_28
.LBB174_2:                              ; =>This Loop Header: Depth=1
                                        ;     Child Loop BB174_4 Depth 2
	v_xor_b32_e32 v2, 0x80000000, v2
	v_xor_b32_e32 v1, 0x80000000, v1
	v_xor_b32_e32 v4, 0x80000000, v4
	v_xor_b32_e32 v3, 0x80000000, v3
	v_xor_b32_e32 v6, 0x80000000, v6
	v_xor_b32_e32 v5, 0x80000000, v5
	v_xor_b32_e32 v8, 0x80000000, v8
	v_xor_b32_e32 v7, 0x80000000, v7
	v_xor_b32_e32 v12, 0x80000000, v12
	v_xor_b32_e32 v11, 0x80000000, v11
	v_xor_b32_e32 v10, 0x80000000, v10
	v_xor_b32_e32 v9, 0x80000000, v9
	v_xor_b32_e32 v14, 0x80000000, v14
	v_xor_b32_e32 v13, 0x80000000, v13
	v_xor_b32_e32 v18, 0x80000000, v18
	v_xor_b32_e32 v17, 0x80000000, v17
	ds_store_2addr_b64 v34, v[1:2], v[3:4] offset1:1
	ds_store_2addr_b64 v34, v[5:6], v[7:8] offset0:2 offset1:3
	ds_store_2addr_b64 v34, v[11:12], v[9:10] offset0:4 offset1:5
	;; [unrolled: 1-line block ×3, first 2 shown]
	; wave barrier
	ds_load_2addr_b64 v[0:3], v35 offset1:32
	ds_load_2addr_b64 v[4:7], v35 offset0:64 offset1:96
	ds_load_2addr_b64 v[8:11], v35 offset0:128 offset1:160
	;; [unrolled: 1-line block ×3, first 2 shown]
	s_mov_b32 s25, 8
	s_mov_b32 s26, 32
	s_mov_b32 s27, 0
	s_waitcnt lgkmcnt(0)
	s_barrier
	buffer_gl0_inv
	; wave barrier
	s_barrier
	s_branch .LBB174_4
.LBB174_3:                              ;   in Loop: Header=BB174_4 Depth=2
	s_barrier
	buffer_gl0_inv
	ds_store_b64 v43, v[17:18]
	ds_store_b64 v44, v[21:22]
	;; [unrolled: 1-line block ×8, first 2 shown]
	s_waitcnt lgkmcnt(0)
	s_barrier
	buffer_gl0_inv
	ds_load_2addr_b64 v[0:3], v35 offset1:32
	ds_load_2addr_b64 v[4:7], v35 offset0:64 offset1:96
	ds_load_2addr_b64 v[8:11], v35 offset0:128 offset1:160
	;; [unrolled: 1-line block ×3, first 2 shown]
	s_add_i32 s26, s26, -8
	s_add_i32 s25, s25, 8
	s_add_i32 s27, s27, 8
	s_waitcnt lgkmcnt(0)
	s_barrier
	s_cbranch_execz .LBB174_1
.LBB174_4:                              ;   Parent Loop BB174_2 Depth=1
                                        ; =>  This Inner Loop Header: Depth=2
	s_min_i32 s14, s25, 32
	s_cmp_lt_u32 s27, 32
	v_dual_mov_b32 v18, v1 :: v_dual_mov_b32 v17, v0
	s_cselect_b32 vcc_lo, -1, 0
	s_cmp_gt_u32 s27, 24
	v_mov_b32_e32 v30, v15
	s_cselect_b32 s13, -1, 0
	s_sub_i32 s14, s14, 32
	v_lshrrev_b32_e32 v1, s27, v18
	s_add_i32 s15, s14, s26
	v_mov_b32_e32 v32, v13
	s_lshl_b32 s15, -1, s15
	buffer_gl0_inv
	s_not_b32 s15, s15
	s_cmp_lg_u32 s14, s27
	v_mov_b32_e32 v28, v7
	s_cselect_b32 s28, s15, -1
	s_max_i32 s29, s26, 0
	s_max_i32 s14, s27, 32
	v_and_b32_e32 v1, s28, v1
	s_sub_i32 s15, s14, s29
	s_sub_i32 s30, s14, 32
	;; [unrolled: 1-line block ×3, first 2 shown]
	v_lshrrev_b32_e32 v0, s30, v17
	s_min_i32 s14, s15, 32
	v_cndmask_b32_e32 v1, 0, v1, vcc_lo
	s_sub_i32 s14, s14, s30
	v_mov_b32_e32 v27, v6
	s_lshl_b32 s15, -1, s14
	v_mov_b32_e32 v29, v14
	s_not_b32 s15, s15
	s_cmp_lg_u32 s14, 32
	v_mov_b32_e32 v31, v12
	s_cselect_b32 s31, s15, -1
	s_delay_alu instid0(SALU_CYCLE_1) | instskip(NEXT) | instid1(VALU_DEP_1)
	v_and_b32_e32 v0, s31, v0
	v_lshlrev_b32_e32 v0, s29, v0
	s_delay_alu instid0(VALU_DEP_1) | instskip(NEXT) | instid1(VALU_DEP_1)
	v_cndmask_b32_e64 v0, 0, v0, s13
	v_or_b32_e32 v43, v1, v0
	s_delay_alu instid0(VALU_DEP_1)
	v_and_b32_e32 v0, 1, v43
	v_lshlrev_b32_e32 v1, 30, v43
	v_lshlrev_b32_e32 v19, 29, v43
	;; [unrolled: 1-line block ×4, first 2 shown]
	v_add_co_u32 v0, s14, v0, -1
	s_delay_alu instid0(VALU_DEP_1)
	v_cndmask_b32_e64 v21, 0, 1, s14
	v_not_b32_e32 v25, v1
	v_cmp_gt_i32_e64 s15, 0, v1
	v_not_b32_e32 v1, v19
	v_lshlrev_b32_e32 v23, 26, v43
	v_cmp_ne_u32_e64 s14, 0, v21
	v_ashrrev_i32_e32 v25, 31, v25
	v_lshlrev_b32_e32 v24, 25, v43
	v_ashrrev_i32_e32 v1, 31, v1
	v_lshlrev_b32_e32 v21, 24, v43
	v_xor_b32_e32 v0, s14, v0
	v_xor_b32_e32 v25, s15, v25
	v_cmp_gt_i32_e64 s14, 0, v19
	v_not_b32_e32 v19, v20
	v_cmp_gt_i32_e64 s15, 0, v20
	v_and_b32_e32 v0, exec_lo, v0
	s_delay_alu instid0(VALU_DEP_4) | instskip(NEXT) | instid1(VALU_DEP_4)
	v_xor_b32_e32 v1, s14, v1
	v_ashrrev_i32_e32 v19, 31, v19
	s_delay_alu instid0(VALU_DEP_3)
	v_and_b32_e32 v0, v0, v25
	v_dual_mov_b32 v26, v9 :: v_dual_mov_b32 v25, v8
	v_not_b32_e32 v20, v22
	v_cmp_gt_i32_e64 s14, 0, v22
	v_not_b32_e32 v22, v23
	v_xor_b32_e32 v19, s15, v19
	v_and_b32_e32 v0, v0, v1
	v_ashrrev_i32_e32 v20, 31, v20
	v_cmp_gt_i32_e64 s15, 0, v23
	v_not_b32_e32 v1, v24
	v_ashrrev_i32_e32 v22, 31, v22
	v_and_b32_e32 v0, v0, v19
	v_xor_b32_e32 v20, s14, v20
	v_cmp_gt_i32_e64 s14, 0, v24
	v_not_b32_e32 v19, v21
	v_ashrrev_i32_e32 v1, 31, v1
	v_xor_b32_e32 v22, s15, v22
	v_and_b32_e32 v0, v0, v20
	v_cmp_gt_i32_e64 s15, 0, v21
	v_ashrrev_i32_e32 v23, 31, v19
	v_xor_b32_e32 v1, s14, v1
	v_mov_b32_e32 v20, v5
	v_and_b32_e32 v0, v0, v22
	v_dual_mov_b32 v22, v3 :: v_dual_mov_b32 v21, v2
	v_xor_b32_e32 v3, s15, v23
	v_mov_b32_e32 v19, v4
	s_delay_alu instid0(VALU_DEP_4) | instskip(SKIP_2) | instid1(VALU_DEP_3)
	v_dual_mov_b32 v1, s22 :: v_dual_and_b32 v0, v0, v1
	v_mov_b32_e32 v2, s23
	v_dual_mov_b32 v24, v11 :: v_dual_mov_b32 v23, v10
	v_dual_mov_b32 v3, s16 :: v_dual_and_b32 v0, v0, v3
	v_mov_b32_e32 v4, s17
	ds_store_2addr_b64 v33, v[1:2], v[3:4] offset0:4 offset1:5
	ds_store_2addr_b64 v36, v[1:2], v[3:4] offset0:2 offset1:3
	v_mbcnt_lo_u32_b32 v9, v0, 0
	v_lshl_add_u32 v1, v43, 3, v37
	v_cmp_ne_u32_e64 s15, 0, v0
	s_waitcnt lgkmcnt(0)
	s_barrier
	v_cmp_eq_u32_e64 s14, 0, v9
	v_lshl_add_u32 v8, v1, 2, 32
	buffer_gl0_inv
	; wave barrier
	s_and_b32 s15, s14, s15
	s_delay_alu instid0(SALU_CYCLE_1)
	s_and_saveexec_b32 s14, s15
	s_cbranch_execz .LBB174_6
; %bb.5:                                ;   in Loop: Header=BB174_4 Depth=2
	v_bcnt_u32_b32 v0, v0, 0
	ds_store_b32 v8, v0
.LBB174_6:                              ;   in Loop: Header=BB174_4 Depth=2
	s_or_b32 exec_lo, exec_lo, s14
	v_lshrrev_b32_e32 v0, s30, v21
	v_lshrrev_b32_e32 v1, s27, v22
	; wave barrier
	s_delay_alu instid0(VALU_DEP_1) | instskip(NEXT) | instid1(VALU_DEP_1)
	v_and_b32_e32 v1, s28, v1
	v_dual_cndmask_b32 v1, 0, v1 :: v_dual_and_b32 v0, s31, v0
	s_delay_alu instid0(VALU_DEP_1) | instskip(NEXT) | instid1(VALU_DEP_1)
	v_lshlrev_b32_e32 v0, s29, v0
	v_cndmask_b32_e64 v0, 0, v0, s13
	s_delay_alu instid0(VALU_DEP_1) | instskip(NEXT) | instid1(VALU_DEP_1)
	v_or_b32_e32 v0, v1, v0
	v_and_b32_e32 v1, 1, v0
	v_lshlrev_b32_e32 v2, 30, v0
	v_lshlrev_b32_e32 v3, 29, v0
	;; [unrolled: 1-line block ×4, first 2 shown]
	v_add_co_u32 v1, s14, v1, -1
	s_delay_alu instid0(VALU_DEP_1)
	v_cndmask_b32_e64 v5, 0, 1, s14
	v_not_b32_e32 v11, v2
	v_cmp_gt_i32_e64 s15, 0, v2
	v_not_b32_e32 v2, v3
	v_lshlrev_b32_e32 v7, 26, v0
	v_cmp_ne_u32_e64 s14, 0, v5
	v_ashrrev_i32_e32 v11, 31, v11
	v_lshlrev_b32_e32 v10, 25, v0
	v_ashrrev_i32_e32 v2, 31, v2
	v_lshlrev_b32_e32 v5, 24, v0
	v_xor_b32_e32 v1, s14, v1
	v_cmp_gt_i32_e64 s14, 0, v3
	v_not_b32_e32 v3, v4
	v_xor_b32_e32 v11, s15, v11
	v_cmp_gt_i32_e64 s15, 0, v4
	v_and_b32_e32 v1, exec_lo, v1
	v_not_b32_e32 v4, v6
	v_ashrrev_i32_e32 v3, 31, v3
	v_xor_b32_e32 v2, s14, v2
	v_cmp_gt_i32_e64 s14, 0, v6
	v_and_b32_e32 v1, v1, v11
	v_not_b32_e32 v6, v7
	v_ashrrev_i32_e32 v4, 31, v4
	v_xor_b32_e32 v3, s15, v3
	v_cmp_gt_i32_e64 s15, 0, v7
	v_and_b32_e32 v1, v1, v2
	;; [unrolled: 5-line block ×3, first 2 shown]
	v_not_b32_e32 v3, v5
	v_ashrrev_i32_e32 v2, 31, v2
	v_xor_b32_e32 v6, s15, v6
	v_lshlrev_b32_e32 v0, 3, v0
	v_and_b32_e32 v1, v1, v4
	v_cmp_gt_i32_e64 s15, 0, v5
	v_ashrrev_i32_e32 v3, 31, v3
	v_xor_b32_e32 v2, s14, v2
	v_add_lshl_u32 v4, v0, v37, 2
	v_and_b32_e32 v1, v1, v6
	s_delay_alu instid0(VALU_DEP_4) | instskip(SKIP_3) | instid1(VALU_DEP_2)
	v_xor_b32_e32 v0, s15, v3
	ds_load_b32 v10, v4 offset:32
	v_and_b32_e32 v1, v1, v2
	v_add_nc_u32_e32 v11, 32, v4
	; wave barrier
	v_and_b32_e32 v0, v1, v0
	s_delay_alu instid0(VALU_DEP_1) | instskip(SKIP_1) | instid1(VALU_DEP_2)
	v_mbcnt_lo_u32_b32 v12, v0, 0
	v_cmp_ne_u32_e64 s15, 0, v0
	v_cmp_eq_u32_e64 s14, 0, v12
	s_delay_alu instid0(VALU_DEP_1) | instskip(NEXT) | instid1(SALU_CYCLE_1)
	s_and_b32 s15, s14, s15
	s_and_saveexec_b32 s14, s15
	s_cbranch_execz .LBB174_8
; %bb.7:                                ;   in Loop: Header=BB174_4 Depth=2
	s_waitcnt lgkmcnt(0)
	v_bcnt_u32_b32 v0, v0, v10
	ds_store_b32 v11, v0
.LBB174_8:                              ;   in Loop: Header=BB174_4 Depth=2
	s_or_b32 exec_lo, exec_lo, s14
	v_lshrrev_b32_e32 v0, s30, v19
	v_lshrrev_b32_e32 v1, s27, v20
	; wave barrier
	s_delay_alu instid0(VALU_DEP_1) | instskip(NEXT) | instid1(VALU_DEP_1)
	v_and_b32_e32 v1, s28, v1
	v_dual_cndmask_b32 v1, 0, v1 :: v_dual_and_b32 v0, s31, v0
	s_delay_alu instid0(VALU_DEP_1) | instskip(NEXT) | instid1(VALU_DEP_1)
	v_lshlrev_b32_e32 v0, s29, v0
	v_cndmask_b32_e64 v0, 0, v0, s13
	s_delay_alu instid0(VALU_DEP_1) | instskip(NEXT) | instid1(VALU_DEP_1)
	v_or_b32_e32 v0, v1, v0
	v_and_b32_e32 v1, 1, v0
	v_lshlrev_b32_e32 v2, 30, v0
	v_lshlrev_b32_e32 v3, 29, v0
	;; [unrolled: 1-line block ×4, first 2 shown]
	v_add_co_u32 v1, s14, v1, -1
	s_delay_alu instid0(VALU_DEP_1)
	v_cndmask_b32_e64 v5, 0, 1, s14
	v_not_b32_e32 v14, v2
	v_cmp_gt_i32_e64 s15, 0, v2
	v_not_b32_e32 v2, v3
	v_lshlrev_b32_e32 v7, 26, v0
	v_cmp_ne_u32_e64 s14, 0, v5
	v_ashrrev_i32_e32 v14, 31, v14
	v_lshlrev_b32_e32 v13, 25, v0
	v_ashrrev_i32_e32 v2, 31, v2
	v_lshlrev_b32_e32 v5, 24, v0
	v_xor_b32_e32 v1, s14, v1
	v_cmp_gt_i32_e64 s14, 0, v3
	v_not_b32_e32 v3, v4
	v_xor_b32_e32 v14, s15, v14
	v_cmp_gt_i32_e64 s15, 0, v4
	v_and_b32_e32 v1, exec_lo, v1
	v_not_b32_e32 v4, v6
	v_ashrrev_i32_e32 v3, 31, v3
	v_xor_b32_e32 v2, s14, v2
	v_cmp_gt_i32_e64 s14, 0, v6
	v_and_b32_e32 v1, v1, v14
	v_not_b32_e32 v6, v7
	v_ashrrev_i32_e32 v4, 31, v4
	v_xor_b32_e32 v3, s15, v3
	v_cmp_gt_i32_e64 s15, 0, v7
	v_and_b32_e32 v1, v1, v2
	;; [unrolled: 5-line block ×3, first 2 shown]
	v_not_b32_e32 v3, v5
	v_ashrrev_i32_e32 v2, 31, v2
	v_xor_b32_e32 v6, s15, v6
	v_lshlrev_b32_e32 v0, 3, v0
	v_and_b32_e32 v1, v1, v4
	v_cmp_gt_i32_e64 s15, 0, v5
	v_ashrrev_i32_e32 v3, 31, v3
	v_xor_b32_e32 v2, s14, v2
	v_add_lshl_u32 v4, v0, v37, 2
	v_and_b32_e32 v1, v1, v6
	s_delay_alu instid0(VALU_DEP_4) | instskip(SKIP_3) | instid1(VALU_DEP_2)
	v_xor_b32_e32 v0, s15, v3
	ds_load_b32 v13, v4 offset:32
	v_and_b32_e32 v1, v1, v2
	v_add_nc_u32_e32 v15, 32, v4
	; wave barrier
	v_and_b32_e32 v0, v1, v0
	s_delay_alu instid0(VALU_DEP_1) | instskip(SKIP_1) | instid1(VALU_DEP_2)
	v_mbcnt_lo_u32_b32 v14, v0, 0
	v_cmp_ne_u32_e64 s15, 0, v0
	v_cmp_eq_u32_e64 s14, 0, v14
	s_delay_alu instid0(VALU_DEP_1) | instskip(NEXT) | instid1(SALU_CYCLE_1)
	s_and_b32 s15, s14, s15
	s_and_saveexec_b32 s14, s15
	s_cbranch_execz .LBB174_10
; %bb.9:                                ;   in Loop: Header=BB174_4 Depth=2
	s_waitcnt lgkmcnt(0)
	v_bcnt_u32_b32 v0, v0, v13
	ds_store_b32 v15, v0
.LBB174_10:                             ;   in Loop: Header=BB174_4 Depth=2
	s_or_b32 exec_lo, exec_lo, s14
	v_lshrrev_b32_e32 v0, s30, v27
	v_lshrrev_b32_e32 v1, s27, v28
	; wave barrier
	s_delay_alu instid0(VALU_DEP_1) | instskip(NEXT) | instid1(VALU_DEP_1)
	v_and_b32_e32 v1, s28, v1
	v_dual_cndmask_b32 v1, 0, v1 :: v_dual_and_b32 v0, s31, v0
	s_delay_alu instid0(VALU_DEP_1) | instskip(NEXT) | instid1(VALU_DEP_1)
	v_lshlrev_b32_e32 v0, s29, v0
	v_cndmask_b32_e64 v0, 0, v0, s13
	s_delay_alu instid0(VALU_DEP_1) | instskip(NEXT) | instid1(VALU_DEP_1)
	v_or_b32_e32 v0, v1, v0
	v_and_b32_e32 v1, 1, v0
	v_lshlrev_b32_e32 v2, 30, v0
	v_lshlrev_b32_e32 v3, 29, v0
	;; [unrolled: 1-line block ×4, first 2 shown]
	v_add_co_u32 v1, s14, v1, -1
	s_delay_alu instid0(VALU_DEP_1)
	v_cndmask_b32_e64 v5, 0, 1, s14
	v_not_b32_e32 v44, v2
	v_cmp_gt_i32_e64 s15, 0, v2
	v_not_b32_e32 v2, v3
	v_lshlrev_b32_e32 v7, 26, v0
	v_cmp_ne_u32_e64 s14, 0, v5
	v_ashrrev_i32_e32 v44, 31, v44
	v_lshlrev_b32_e32 v43, 25, v0
	v_ashrrev_i32_e32 v2, 31, v2
	v_lshlrev_b32_e32 v5, 24, v0
	v_xor_b32_e32 v1, s14, v1
	v_cmp_gt_i32_e64 s14, 0, v3
	v_not_b32_e32 v3, v4
	v_xor_b32_e32 v44, s15, v44
	v_cmp_gt_i32_e64 s15, 0, v4
	v_and_b32_e32 v1, exec_lo, v1
	v_not_b32_e32 v4, v6
	v_ashrrev_i32_e32 v3, 31, v3
	v_xor_b32_e32 v2, s14, v2
	v_cmp_gt_i32_e64 s14, 0, v6
	v_and_b32_e32 v1, v1, v44
	v_not_b32_e32 v6, v7
	v_ashrrev_i32_e32 v4, 31, v4
	v_xor_b32_e32 v3, s15, v3
	v_cmp_gt_i32_e64 s15, 0, v7
	v_and_b32_e32 v1, v1, v2
	;; [unrolled: 5-line block ×3, first 2 shown]
	v_not_b32_e32 v3, v5
	v_ashrrev_i32_e32 v2, 31, v2
	v_xor_b32_e32 v6, s15, v6
	v_lshlrev_b32_e32 v0, 3, v0
	v_and_b32_e32 v1, v1, v4
	v_cmp_gt_i32_e64 s15, 0, v5
	v_ashrrev_i32_e32 v3, 31, v3
	v_xor_b32_e32 v2, s14, v2
	v_add_lshl_u32 v4, v0, v37, 2
	v_and_b32_e32 v1, v1, v6
	s_delay_alu instid0(VALU_DEP_4) | instskip(SKIP_3) | instid1(VALU_DEP_2)
	v_xor_b32_e32 v0, s15, v3
	ds_load_b32 v43, v4 offset:32
	v_and_b32_e32 v1, v1, v2
	v_add_nc_u32_e32 v45, 32, v4
	; wave barrier
	v_and_b32_e32 v0, v1, v0
	s_delay_alu instid0(VALU_DEP_1) | instskip(SKIP_1) | instid1(VALU_DEP_2)
	v_mbcnt_lo_u32_b32 v44, v0, 0
	v_cmp_ne_u32_e64 s15, 0, v0
	v_cmp_eq_u32_e64 s14, 0, v44
	s_delay_alu instid0(VALU_DEP_1) | instskip(NEXT) | instid1(SALU_CYCLE_1)
	s_and_b32 s15, s14, s15
	s_and_saveexec_b32 s14, s15
	s_cbranch_execz .LBB174_12
; %bb.11:                               ;   in Loop: Header=BB174_4 Depth=2
	s_waitcnt lgkmcnt(0)
	v_bcnt_u32_b32 v0, v0, v43
	ds_store_b32 v45, v0
.LBB174_12:                             ;   in Loop: Header=BB174_4 Depth=2
	s_or_b32 exec_lo, exec_lo, s14
	v_lshrrev_b32_e32 v0, s30, v25
	v_lshrrev_b32_e32 v1, s27, v26
	; wave barrier
	s_delay_alu instid0(VALU_DEP_1) | instskip(NEXT) | instid1(VALU_DEP_1)
	v_and_b32_e32 v1, s28, v1
	v_dual_cndmask_b32 v1, 0, v1 :: v_dual_and_b32 v0, s31, v0
	s_delay_alu instid0(VALU_DEP_1) | instskip(NEXT) | instid1(VALU_DEP_1)
	v_lshlrev_b32_e32 v0, s29, v0
	v_cndmask_b32_e64 v0, 0, v0, s13
	s_delay_alu instid0(VALU_DEP_1) | instskip(NEXT) | instid1(VALU_DEP_1)
	v_or_b32_e32 v0, v1, v0
	v_and_b32_e32 v1, 1, v0
	v_lshlrev_b32_e32 v2, 30, v0
	v_lshlrev_b32_e32 v3, 29, v0
	;; [unrolled: 1-line block ×4, first 2 shown]
	v_add_co_u32 v1, s14, v1, -1
	s_delay_alu instid0(VALU_DEP_1)
	v_cndmask_b32_e64 v5, 0, 1, s14
	v_not_b32_e32 v47, v2
	v_cmp_gt_i32_e64 s15, 0, v2
	v_not_b32_e32 v2, v3
	v_lshlrev_b32_e32 v7, 26, v0
	v_cmp_ne_u32_e64 s14, 0, v5
	v_ashrrev_i32_e32 v47, 31, v47
	v_lshlrev_b32_e32 v46, 25, v0
	v_ashrrev_i32_e32 v2, 31, v2
	v_lshlrev_b32_e32 v5, 24, v0
	v_xor_b32_e32 v1, s14, v1
	v_cmp_gt_i32_e64 s14, 0, v3
	v_not_b32_e32 v3, v4
	v_xor_b32_e32 v47, s15, v47
	v_cmp_gt_i32_e64 s15, 0, v4
	v_and_b32_e32 v1, exec_lo, v1
	v_not_b32_e32 v4, v6
	v_ashrrev_i32_e32 v3, 31, v3
	v_xor_b32_e32 v2, s14, v2
	v_cmp_gt_i32_e64 s14, 0, v6
	v_and_b32_e32 v1, v1, v47
	v_not_b32_e32 v6, v7
	v_ashrrev_i32_e32 v4, 31, v4
	v_xor_b32_e32 v3, s15, v3
	v_cmp_gt_i32_e64 s15, 0, v7
	v_and_b32_e32 v1, v1, v2
	;; [unrolled: 5-line block ×3, first 2 shown]
	v_not_b32_e32 v3, v5
	v_ashrrev_i32_e32 v2, 31, v2
	v_xor_b32_e32 v6, s15, v6
	v_lshlrev_b32_e32 v0, 3, v0
	v_and_b32_e32 v1, v1, v4
	v_cmp_gt_i32_e64 s15, 0, v5
	v_ashrrev_i32_e32 v3, 31, v3
	v_xor_b32_e32 v2, s14, v2
	v_add_lshl_u32 v4, v0, v37, 2
	v_and_b32_e32 v1, v1, v6
	s_delay_alu instid0(VALU_DEP_4) | instskip(SKIP_3) | instid1(VALU_DEP_2)
	v_xor_b32_e32 v0, s15, v3
	ds_load_b32 v46, v4 offset:32
	v_and_b32_e32 v1, v1, v2
	v_add_nc_u32_e32 v48, 32, v4
	; wave barrier
	v_and_b32_e32 v0, v1, v0
	s_delay_alu instid0(VALU_DEP_1) | instskip(SKIP_1) | instid1(VALU_DEP_2)
	v_mbcnt_lo_u32_b32 v47, v0, 0
	v_cmp_ne_u32_e64 s15, 0, v0
	v_cmp_eq_u32_e64 s14, 0, v47
	s_delay_alu instid0(VALU_DEP_1) | instskip(NEXT) | instid1(SALU_CYCLE_1)
	s_and_b32 s15, s14, s15
	s_and_saveexec_b32 s14, s15
	s_cbranch_execz .LBB174_14
; %bb.13:                               ;   in Loop: Header=BB174_4 Depth=2
	s_waitcnt lgkmcnt(0)
	v_bcnt_u32_b32 v0, v0, v46
	ds_store_b32 v48, v0
.LBB174_14:                             ;   in Loop: Header=BB174_4 Depth=2
	s_or_b32 exec_lo, exec_lo, s14
	v_lshrrev_b32_e32 v0, s30, v23
	v_lshrrev_b32_e32 v1, s27, v24
	; wave barrier
	s_delay_alu instid0(VALU_DEP_1) | instskip(NEXT) | instid1(VALU_DEP_1)
	v_and_b32_e32 v1, s28, v1
	v_dual_cndmask_b32 v1, 0, v1 :: v_dual_and_b32 v0, s31, v0
	s_delay_alu instid0(VALU_DEP_1) | instskip(NEXT) | instid1(VALU_DEP_1)
	v_lshlrev_b32_e32 v0, s29, v0
	v_cndmask_b32_e64 v0, 0, v0, s13
	s_delay_alu instid0(VALU_DEP_1) | instskip(NEXT) | instid1(VALU_DEP_1)
	v_or_b32_e32 v0, v1, v0
	v_and_b32_e32 v1, 1, v0
	v_lshlrev_b32_e32 v2, 30, v0
	v_lshlrev_b32_e32 v3, 29, v0
	;; [unrolled: 1-line block ×4, first 2 shown]
	v_add_co_u32 v1, s14, v1, -1
	s_delay_alu instid0(VALU_DEP_1)
	v_cndmask_b32_e64 v5, 0, 1, s14
	v_not_b32_e32 v50, v2
	v_cmp_gt_i32_e64 s15, 0, v2
	v_not_b32_e32 v2, v3
	v_lshlrev_b32_e32 v7, 26, v0
	v_cmp_ne_u32_e64 s14, 0, v5
	v_ashrrev_i32_e32 v50, 31, v50
	v_lshlrev_b32_e32 v49, 25, v0
	v_ashrrev_i32_e32 v2, 31, v2
	v_lshlrev_b32_e32 v5, 24, v0
	v_xor_b32_e32 v1, s14, v1
	v_cmp_gt_i32_e64 s14, 0, v3
	v_not_b32_e32 v3, v4
	v_xor_b32_e32 v50, s15, v50
	v_cmp_gt_i32_e64 s15, 0, v4
	v_and_b32_e32 v1, exec_lo, v1
	v_not_b32_e32 v4, v6
	v_ashrrev_i32_e32 v3, 31, v3
	v_xor_b32_e32 v2, s14, v2
	v_cmp_gt_i32_e64 s14, 0, v6
	v_and_b32_e32 v1, v1, v50
	v_not_b32_e32 v6, v7
	v_ashrrev_i32_e32 v4, 31, v4
	v_xor_b32_e32 v3, s15, v3
	v_cmp_gt_i32_e64 s15, 0, v7
	v_and_b32_e32 v1, v1, v2
	;; [unrolled: 5-line block ×3, first 2 shown]
	v_not_b32_e32 v3, v5
	v_ashrrev_i32_e32 v2, 31, v2
	v_xor_b32_e32 v6, s15, v6
	v_lshlrev_b32_e32 v0, 3, v0
	v_and_b32_e32 v1, v1, v4
	v_cmp_gt_i32_e64 s15, 0, v5
	v_ashrrev_i32_e32 v3, 31, v3
	v_xor_b32_e32 v2, s14, v2
	v_add_lshl_u32 v4, v0, v37, 2
	v_and_b32_e32 v1, v1, v6
	s_delay_alu instid0(VALU_DEP_4) | instskip(SKIP_3) | instid1(VALU_DEP_2)
	v_xor_b32_e32 v0, s15, v3
	ds_load_b32 v49, v4 offset:32
	v_and_b32_e32 v1, v1, v2
	v_add_nc_u32_e32 v51, 32, v4
	; wave barrier
	v_and_b32_e32 v0, v1, v0
	s_delay_alu instid0(VALU_DEP_1) | instskip(SKIP_1) | instid1(VALU_DEP_2)
	v_mbcnt_lo_u32_b32 v50, v0, 0
	v_cmp_ne_u32_e64 s15, 0, v0
	v_cmp_eq_u32_e64 s14, 0, v50
	s_delay_alu instid0(VALU_DEP_1) | instskip(NEXT) | instid1(SALU_CYCLE_1)
	s_and_b32 s15, s14, s15
	s_and_saveexec_b32 s14, s15
	s_cbranch_execz .LBB174_16
; %bb.15:                               ;   in Loop: Header=BB174_4 Depth=2
	s_waitcnt lgkmcnt(0)
	v_bcnt_u32_b32 v0, v0, v49
	ds_store_b32 v51, v0
.LBB174_16:                             ;   in Loop: Header=BB174_4 Depth=2
	s_or_b32 exec_lo, exec_lo, s14
	v_lshrrev_b32_e32 v0, s30, v31
	v_lshrrev_b32_e32 v1, s27, v32
	; wave barrier
	s_delay_alu instid0(VALU_DEP_1) | instskip(NEXT) | instid1(VALU_DEP_1)
	v_and_b32_e32 v1, s28, v1
	v_dual_cndmask_b32 v1, 0, v1 :: v_dual_and_b32 v0, s31, v0
	s_delay_alu instid0(VALU_DEP_1) | instskip(NEXT) | instid1(VALU_DEP_1)
	v_lshlrev_b32_e32 v0, s29, v0
	v_cndmask_b32_e64 v0, 0, v0, s13
	s_delay_alu instid0(VALU_DEP_1) | instskip(NEXT) | instid1(VALU_DEP_1)
	v_or_b32_e32 v0, v1, v0
	v_and_b32_e32 v1, 1, v0
	v_lshlrev_b32_e32 v2, 30, v0
	v_lshlrev_b32_e32 v3, 29, v0
	;; [unrolled: 1-line block ×4, first 2 shown]
	v_add_co_u32 v1, s14, v1, -1
	s_delay_alu instid0(VALU_DEP_1)
	v_cndmask_b32_e64 v5, 0, 1, s14
	v_not_b32_e32 v53, v2
	v_cmp_gt_i32_e64 s15, 0, v2
	v_not_b32_e32 v2, v3
	v_lshlrev_b32_e32 v7, 26, v0
	v_cmp_ne_u32_e64 s14, 0, v5
	v_ashrrev_i32_e32 v53, 31, v53
	v_lshlrev_b32_e32 v52, 25, v0
	v_ashrrev_i32_e32 v2, 31, v2
	v_lshlrev_b32_e32 v5, 24, v0
	v_xor_b32_e32 v1, s14, v1
	v_cmp_gt_i32_e64 s14, 0, v3
	v_not_b32_e32 v3, v4
	v_xor_b32_e32 v53, s15, v53
	v_cmp_gt_i32_e64 s15, 0, v4
	v_and_b32_e32 v1, exec_lo, v1
	v_not_b32_e32 v4, v6
	v_ashrrev_i32_e32 v3, 31, v3
	v_xor_b32_e32 v2, s14, v2
	v_cmp_gt_i32_e64 s14, 0, v6
	v_and_b32_e32 v1, v1, v53
	v_not_b32_e32 v6, v7
	v_ashrrev_i32_e32 v4, 31, v4
	v_xor_b32_e32 v3, s15, v3
	v_cmp_gt_i32_e64 s15, 0, v7
	v_and_b32_e32 v1, v1, v2
	;; [unrolled: 5-line block ×3, first 2 shown]
	v_not_b32_e32 v3, v5
	v_ashrrev_i32_e32 v2, 31, v2
	v_xor_b32_e32 v6, s15, v6
	v_lshlrev_b32_e32 v0, 3, v0
	v_and_b32_e32 v1, v1, v4
	v_cmp_gt_i32_e64 s15, 0, v5
	v_ashrrev_i32_e32 v3, 31, v3
	v_xor_b32_e32 v2, s14, v2
	v_add_lshl_u32 v4, v0, v37, 2
	v_and_b32_e32 v1, v1, v6
	s_delay_alu instid0(VALU_DEP_4) | instskip(SKIP_3) | instid1(VALU_DEP_2)
	v_xor_b32_e32 v0, s15, v3
	ds_load_b32 v52, v4 offset:32
	v_and_b32_e32 v1, v1, v2
	v_add_nc_u32_e32 v54, 32, v4
	; wave barrier
	v_and_b32_e32 v0, v1, v0
	s_delay_alu instid0(VALU_DEP_1) | instskip(SKIP_1) | instid1(VALU_DEP_2)
	v_mbcnt_lo_u32_b32 v53, v0, 0
	v_cmp_ne_u32_e64 s15, 0, v0
	v_cmp_eq_u32_e64 s14, 0, v53
	s_delay_alu instid0(VALU_DEP_1) | instskip(NEXT) | instid1(SALU_CYCLE_1)
	s_and_b32 s15, s14, s15
	s_and_saveexec_b32 s14, s15
	s_cbranch_execz .LBB174_18
; %bb.17:                               ;   in Loop: Header=BB174_4 Depth=2
	s_waitcnt lgkmcnt(0)
	v_bcnt_u32_b32 v0, v0, v52
	ds_store_b32 v54, v0
.LBB174_18:                             ;   in Loop: Header=BB174_4 Depth=2
	s_or_b32 exec_lo, exec_lo, s14
	v_lshrrev_b32_e32 v0, s30, v29
	v_lshrrev_b32_e32 v1, s27, v30
	; wave barrier
	s_delay_alu instid0(VALU_DEP_1) | instskip(NEXT) | instid1(VALU_DEP_1)
	v_and_b32_e32 v1, s28, v1
	v_dual_cndmask_b32 v1, 0, v1 :: v_dual_and_b32 v0, s31, v0
	s_delay_alu instid0(VALU_DEP_1) | instskip(NEXT) | instid1(VALU_DEP_1)
	v_lshlrev_b32_e32 v0, s29, v0
	v_cndmask_b32_e64 v0, 0, v0, s13
	s_delay_alu instid0(VALU_DEP_1) | instskip(NEXT) | instid1(VALU_DEP_1)
	v_or_b32_e32 v0, v1, v0
	v_and_b32_e32 v1, 1, v0
	v_lshlrev_b32_e32 v2, 30, v0
	v_lshlrev_b32_e32 v3, 29, v0
	;; [unrolled: 1-line block ×4, first 2 shown]
	v_add_co_u32 v1, s13, v1, -1
	s_delay_alu instid0(VALU_DEP_1)
	v_cndmask_b32_e64 v5, 0, 1, s13
	v_not_b32_e32 v56, v2
	v_cmp_gt_i32_e64 s13, 0, v2
	v_not_b32_e32 v2, v3
	v_lshlrev_b32_e32 v7, 26, v0
	v_cmp_ne_u32_e32 vcc_lo, 0, v5
	v_ashrrev_i32_e32 v56, 31, v56
	v_lshlrev_b32_e32 v55, 25, v0
	v_ashrrev_i32_e32 v2, 31, v2
	v_lshlrev_b32_e32 v5, 24, v0
	v_xor_b32_e32 v1, vcc_lo, v1
	v_cmp_gt_i32_e32 vcc_lo, 0, v3
	v_not_b32_e32 v3, v4
	v_xor_b32_e32 v56, s13, v56
	v_cmp_gt_i32_e64 s13, 0, v4
	v_and_b32_e32 v1, exec_lo, v1
	v_not_b32_e32 v4, v6
	v_ashrrev_i32_e32 v3, 31, v3
	v_xor_b32_e32 v2, vcc_lo, v2
	v_cmp_gt_i32_e32 vcc_lo, 0, v6
	v_and_b32_e32 v1, v1, v56
	v_not_b32_e32 v6, v7
	v_ashrrev_i32_e32 v4, 31, v4
	v_xor_b32_e32 v3, s13, v3
	v_cmp_gt_i32_e64 s13, 0, v7
	v_and_b32_e32 v1, v1, v2
	v_not_b32_e32 v2, v55
	v_ashrrev_i32_e32 v6, 31, v6
	v_xor_b32_e32 v4, vcc_lo, v4
	v_cmp_gt_i32_e32 vcc_lo, 0, v55
	v_and_b32_e32 v1, v1, v3
	v_not_b32_e32 v3, v5
	v_ashrrev_i32_e32 v2, 31, v2
	v_xor_b32_e32 v6, s13, v6
	v_lshlrev_b32_e32 v0, 3, v0
	v_and_b32_e32 v1, v1, v4
	v_cmp_gt_i32_e64 s13, 0, v5
	v_ashrrev_i32_e32 v3, 31, v3
	v_xor_b32_e32 v2, vcc_lo, v2
	v_add_lshl_u32 v4, v0, v37, 2
	v_and_b32_e32 v1, v1, v6
	s_delay_alu instid0(VALU_DEP_4) | instskip(SKIP_3) | instid1(VALU_DEP_2)
	v_xor_b32_e32 v0, s13, v3
	ds_load_b32 v55, v4 offset:32
	v_and_b32_e32 v1, v1, v2
	v_add_nc_u32_e32 v57, 32, v4
	; wave barrier
	v_and_b32_e32 v0, v1, v0
	s_delay_alu instid0(VALU_DEP_1) | instskip(SKIP_1) | instid1(VALU_DEP_2)
	v_mbcnt_lo_u32_b32 v56, v0, 0
	v_cmp_ne_u32_e64 s13, 0, v0
	v_cmp_eq_u32_e32 vcc_lo, 0, v56
	s_delay_alu instid0(VALU_DEP_2) | instskip(NEXT) | instid1(SALU_CYCLE_1)
	s_and_b32 s14, vcc_lo, s13
	s_and_saveexec_b32 s13, s14
	s_cbranch_execz .LBB174_20
; %bb.19:                               ;   in Loop: Header=BB174_4 Depth=2
	s_waitcnt lgkmcnt(0)
	v_bcnt_u32_b32 v0, v0, v55
	ds_store_b32 v57, v0
.LBB174_20:                             ;   in Loop: Header=BB174_4 Depth=2
	s_or_b32 exec_lo, exec_lo, s13
	; wave barrier
	s_waitcnt lgkmcnt(0)
	s_barrier
	buffer_gl0_inv
	ds_load_2addr_b64 v[4:7], v33 offset0:4 offset1:5
	ds_load_2addr_b64 v[0:3], v36 offset0:2 offset1:3
	s_waitcnt lgkmcnt(1)
	v_add_nc_u32_e32 v58, v5, v4
	s_delay_alu instid0(VALU_DEP_1) | instskip(SKIP_1) | instid1(VALU_DEP_1)
	v_add3_u32 v58, v58, v6, v7
	s_waitcnt lgkmcnt(0)
	v_add3_u32 v58, v58, v0, v1
	s_delay_alu instid0(VALU_DEP_1) | instskip(NEXT) | instid1(VALU_DEP_1)
	v_add3_u32 v3, v58, v2, v3
	v_mov_b32_dpp v58, v3 row_shr:1 row_mask:0xf bank_mask:0xf
	s_delay_alu instid0(VALU_DEP_1) | instskip(NEXT) | instid1(VALU_DEP_1)
	v_cndmask_b32_e64 v58, v58, 0, s0
	v_add_nc_u32_e32 v3, v58, v3
	s_delay_alu instid0(VALU_DEP_1) | instskip(NEXT) | instid1(VALU_DEP_1)
	v_mov_b32_dpp v58, v3 row_shr:2 row_mask:0xf bank_mask:0xf
	v_cndmask_b32_e64 v58, 0, v58, s1
	s_delay_alu instid0(VALU_DEP_1) | instskip(NEXT) | instid1(VALU_DEP_1)
	v_add_nc_u32_e32 v3, v3, v58
	v_mov_b32_dpp v58, v3 row_shr:4 row_mask:0xf bank_mask:0xf
	s_delay_alu instid0(VALU_DEP_1) | instskip(NEXT) | instid1(VALU_DEP_1)
	v_cndmask_b32_e64 v58, 0, v58, s2
	v_add_nc_u32_e32 v3, v3, v58
	s_delay_alu instid0(VALU_DEP_1) | instskip(NEXT) | instid1(VALU_DEP_1)
	v_mov_b32_dpp v58, v3 row_shr:8 row_mask:0xf bank_mask:0xf
	v_cndmask_b32_e64 v58, 0, v58, s3
	s_delay_alu instid0(VALU_DEP_1) | instskip(SKIP_3) | instid1(VALU_DEP_1)
	v_add_nc_u32_e32 v3, v3, v58
	ds_swizzle_b32 v58, v3 offset:swizzle(BROADCAST,32,15)
	s_waitcnt lgkmcnt(0)
	v_cndmask_b32_e64 v58, v58, 0, s4
	v_add_nc_u32_e32 v3, v3, v58
	s_and_saveexec_b32 s13, s5
	s_cbranch_execz .LBB174_22
; %bb.21:                               ;   in Loop: Header=BB174_4 Depth=2
	ds_store_b32 v39, v3
.LBB174_22:                             ;   in Loop: Header=BB174_4 Depth=2
	s_or_b32 exec_lo, exec_lo, s13
	s_waitcnt lgkmcnt(0)
	s_barrier
	buffer_gl0_inv
	s_and_saveexec_b32 s13, s6
	s_cbranch_execz .LBB174_24
; %bb.23:                               ;   in Loop: Header=BB174_4 Depth=2
	ds_load_b32 v58, v40
	s_waitcnt lgkmcnt(0)
	v_mov_b32_dpp v59, v58 row_shr:1 row_mask:0xf bank_mask:0xf
	s_delay_alu instid0(VALU_DEP_1) | instskip(NEXT) | instid1(VALU_DEP_1)
	v_cndmask_b32_e64 v59, v59, 0, s10
	v_add_nc_u32_e32 v58, v59, v58
	s_delay_alu instid0(VALU_DEP_1) | instskip(NEXT) | instid1(VALU_DEP_1)
	v_mov_b32_dpp v59, v58 row_shr:2 row_mask:0xf bank_mask:0xf
	v_cndmask_b32_e64 v59, 0, v59, s11
	s_delay_alu instid0(VALU_DEP_1) | instskip(NEXT) | instid1(VALU_DEP_1)
	v_add_nc_u32_e32 v58, v58, v59
	v_mov_b32_dpp v59, v58 row_shr:4 row_mask:0xf bank_mask:0xf
	s_delay_alu instid0(VALU_DEP_1) | instskip(NEXT) | instid1(VALU_DEP_1)
	v_cndmask_b32_e64 v59, 0, v59, s12
	v_add_nc_u32_e32 v58, v58, v59
	ds_store_b32 v40, v58
.LBB174_24:                             ;   in Loop: Header=BB174_4 Depth=2
	s_or_b32 exec_lo, exec_lo, s13
	v_mov_b32_e32 v58, 0
	s_waitcnt lgkmcnt(0)
	s_barrier
	buffer_gl0_inv
	s_and_saveexec_b32 s13, s7
	s_cbranch_execz .LBB174_26
; %bb.25:                               ;   in Loop: Header=BB174_4 Depth=2
	ds_load_b32 v58, v41
.LBB174_26:                             ;   in Loop: Header=BB174_4 Depth=2
	s_or_b32 exec_lo, exec_lo, s13
	s_waitcnt lgkmcnt(0)
	v_add_nc_u32_e32 v3, v58, v3
	v_lshlrev_b32_e32 v49, 3, v49
	s_cmp_gt_u32 s27, 55
	ds_bpermute_b32 v3, v38, v3
	s_waitcnt lgkmcnt(0)
	v_cndmask_b32_e64 v3, v3, v58, s8
	s_delay_alu instid0(VALU_DEP_1) | instskip(NEXT) | instid1(VALU_DEP_1)
	v_cndmask_b32_e64 v3, v3, 0, s9
	v_add_nc_u32_e32 v4, v3, v4
	s_delay_alu instid0(VALU_DEP_1) | instskip(NEXT) | instid1(VALU_DEP_1)
	v_add_nc_u32_e32 v5, v4, v5
	v_add_nc_u32_e32 v6, v5, v6
	s_delay_alu instid0(VALU_DEP_1) | instskip(SKIP_3) | instid1(VALU_DEP_4)
	v_add_nc_u32_e32 v58, v6, v7
	v_lshlrev_b32_e32 v7, 3, v12
	v_lshlrev_b32_e32 v12, 3, v13
	;; [unrolled: 1-line block ×3, first 2 shown]
	v_add_nc_u32_e32 v59, v58, v0
	s_delay_alu instid0(VALU_DEP_1) | instskip(NEXT) | instid1(VALU_DEP_1)
	v_add_nc_u32_e32 v0, v59, v1
	v_add_nc_u32_e32 v1, v0, v2
	v_lshlrev_b32_e32 v2, 3, v9
	v_lshlrev_b32_e32 v9, 3, v10
	ds_store_2addr_b64 v33, v[3:4], v[5:6] offset0:4 offset1:5
	ds_store_2addr_b64 v36, v[58:59], v[0:1] offset0:2 offset1:3
	s_waitcnt lgkmcnt(0)
	s_barrier
	buffer_gl0_inv
	ds_load_b32 v0, v8
	ds_load_b32 v1, v11
	;; [unrolled: 1-line block ×8, first 2 shown]
	v_lshlrev_b32_e32 v11, 3, v14
	v_lshlrev_b32_e32 v14, 3, v43
	;; [unrolled: 1-line block ×9, first 2 shown]
	s_waitcnt lgkmcnt(0)
	v_lshl_add_u32 v43, v0, 3, v2
	v_lshlrev_b32_e32 v0, 3, v1
	v_lshlrev_b32_e32 v1, 3, v3
	;; [unrolled: 1-line block ×7, first 2 shown]
	v_add3_u32 v44, v7, v9, v0
	v_add3_u32 v45, v11, v12, v1
	;; [unrolled: 1-line block ×7, first 2 shown]
	s_cbranch_scc0 .LBB174_3
; %bb.27:                               ;   in Loop: Header=BB174_2 Depth=1
                                        ; implicit-def: $sgpr27
                                        ; implicit-def: $vgpr0_vgpr1
                                        ; implicit-def: $vgpr4_vgpr5
                                        ; implicit-def: $vgpr8_vgpr9
                                        ; implicit-def: $vgpr12_vgpr13
                                        ; implicit-def: $sgpr26
                                        ; implicit-def: $sgpr25
	s_branch .LBB174_1
.LBB174_28:
	v_lshlrev_b32_e32 v0, 3, v16
	s_add_u32 s0, s18, s20
	s_addc_u32 s1, s19, s21
	s_delay_alu instid0(VALU_DEP_1) | instskip(NEXT) | instid1(VALU_DEP_1)
	v_add_co_u32 v23, s2, s0, v0
	v_add_co_ci_u32_e64 v24, null, s1, 0, s2
	s_delay_alu instid0(VALU_DEP_2) | instskip(NEXT) | instid1(VALU_DEP_2)
	v_add_co_u32 v15, vcc_lo, 0x1000, v23
	v_add_co_ci_u32_e32 v16, vcc_lo, 0, v24, vcc_lo
	v_add_co_u32 v19, vcc_lo, v23, 0x2000
	v_add_co_ci_u32_e32 v20, vcc_lo, 0, v24, vcc_lo
	;; [unrolled: 2-line block ×3, first 2 shown]
	global_store_b64 v[19:20], v[11:12], off
	v_add_co_u32 v11, vcc_lo, 0x3000, v23
	v_add_co_ci_u32_e32 v12, vcc_lo, 0, v24, vcc_lo
	s_clause 0x6
	global_store_b64 v0, v[1:2], s[0:1]
	global_store_b64 v0, v[3:4], s[0:1] offset:2048
	global_store_b64 v[15:16], v[7:8], off offset:2048
	global_store_b64 v[21:22], v[9:10], off offset:2048
	global_store_b64 v[11:12], v[13:14], off
	global_store_b64 v[19:20], v[5:6], off offset:-4096
	global_store_b64 v[11:12], v[17:18], off offset:2048
	s_nop 0
	s_sendmsg sendmsg(MSG_DEALLOC_VGPRS)
	s_endpgm
	.section	.rodata,"a",@progbits
	.p2align	6, 0x0
	.amdhsa_kernel _Z16sort_keys_kernelI22helper_blocked_blockedN15benchmark_utils11custom_typeIiiEELj256ELj8ELj10EEvPKT0_PS4_
		.amdhsa_group_segment_fixed_size 16384
		.amdhsa_private_segment_fixed_size 0
		.amdhsa_kernarg_size 272
		.amdhsa_user_sgpr_count 15
		.amdhsa_user_sgpr_dispatch_ptr 0
		.amdhsa_user_sgpr_queue_ptr 0
		.amdhsa_user_sgpr_kernarg_segment_ptr 1
		.amdhsa_user_sgpr_dispatch_id 0
		.amdhsa_user_sgpr_private_segment_size 0
		.amdhsa_wavefront_size32 1
		.amdhsa_uses_dynamic_stack 0
		.amdhsa_enable_private_segment 0
		.amdhsa_system_sgpr_workgroup_id_x 1
		.amdhsa_system_sgpr_workgroup_id_y 0
		.amdhsa_system_sgpr_workgroup_id_z 0
		.amdhsa_system_sgpr_workgroup_info 0
		.amdhsa_system_vgpr_workitem_id 2
		.amdhsa_next_free_vgpr 60
		.amdhsa_next_free_sgpr 32
		.amdhsa_reserve_vcc 1
		.amdhsa_float_round_mode_32 0
		.amdhsa_float_round_mode_16_64 0
		.amdhsa_float_denorm_mode_32 3
		.amdhsa_float_denorm_mode_16_64 3
		.amdhsa_dx10_clamp 1
		.amdhsa_ieee_mode 1
		.amdhsa_fp16_overflow 0
		.amdhsa_workgroup_processor_mode 1
		.amdhsa_memory_ordered 1
		.amdhsa_forward_progress 0
		.amdhsa_shared_vgpr_count 0
		.amdhsa_exception_fp_ieee_invalid_op 0
		.amdhsa_exception_fp_denorm_src 0
		.amdhsa_exception_fp_ieee_div_zero 0
		.amdhsa_exception_fp_ieee_overflow 0
		.amdhsa_exception_fp_ieee_underflow 0
		.amdhsa_exception_fp_ieee_inexact 0
		.amdhsa_exception_int_div_zero 0
	.end_amdhsa_kernel
	.section	.text._Z16sort_keys_kernelI22helper_blocked_blockedN15benchmark_utils11custom_typeIiiEELj256ELj8ELj10EEvPKT0_PS4_,"axG",@progbits,_Z16sort_keys_kernelI22helper_blocked_blockedN15benchmark_utils11custom_typeIiiEELj256ELj8ELj10EEvPKT0_PS4_,comdat
.Lfunc_end174:
	.size	_Z16sort_keys_kernelI22helper_blocked_blockedN15benchmark_utils11custom_typeIiiEELj256ELj8ELj10EEvPKT0_PS4_, .Lfunc_end174-_Z16sort_keys_kernelI22helper_blocked_blockedN15benchmark_utils11custom_typeIiiEELj256ELj8ELj10EEvPKT0_PS4_
                                        ; -- End function
	.section	.AMDGPU.csdata,"",@progbits
; Kernel info:
; codeLenInByte = 5312
; NumSgprs: 34
; NumVgprs: 60
; ScratchSize: 0
; MemoryBound: 0
; FloatMode: 240
; IeeeMode: 1
; LDSByteSize: 16384 bytes/workgroup (compile time only)
; SGPRBlocks: 4
; VGPRBlocks: 7
; NumSGPRsForWavesPerEU: 34
; NumVGPRsForWavesPerEU: 60
; Occupancy: 16
; WaveLimiterHint : 1
; COMPUTE_PGM_RSRC2:SCRATCH_EN: 0
; COMPUTE_PGM_RSRC2:USER_SGPR: 15
; COMPUTE_PGM_RSRC2:TRAP_HANDLER: 0
; COMPUTE_PGM_RSRC2:TGID_X_EN: 1
; COMPUTE_PGM_RSRC2:TGID_Y_EN: 0
; COMPUTE_PGM_RSRC2:TGID_Z_EN: 0
; COMPUTE_PGM_RSRC2:TIDIG_COMP_CNT: 2
	.section	.text._Z17sort_pairs_kernelI22helper_blocked_blockedN15benchmark_utils11custom_typeIiiEELj256ELj8ELj10EEvPKT0_PS4_,"axG",@progbits,_Z17sort_pairs_kernelI22helper_blocked_blockedN15benchmark_utils11custom_typeIiiEELj256ELj8ELj10EEvPKT0_PS4_,comdat
	.protected	_Z17sort_pairs_kernelI22helper_blocked_blockedN15benchmark_utils11custom_typeIiiEELj256ELj8ELj10EEvPKT0_PS4_ ; -- Begin function _Z17sort_pairs_kernelI22helper_blocked_blockedN15benchmark_utils11custom_typeIiiEELj256ELj8ELj10EEvPKT0_PS4_
	.globl	_Z17sort_pairs_kernelI22helper_blocked_blockedN15benchmark_utils11custom_typeIiiEELj256ELj8ELj10EEvPKT0_PS4_
	.p2align	8
	.type	_Z17sort_pairs_kernelI22helper_blocked_blockedN15benchmark_utils11custom_typeIiiEELj256ELj8ELj10EEvPKT0_PS4_,@function
_Z17sort_pairs_kernelI22helper_blocked_blockedN15benchmark_utils11custom_typeIiiEELj256ELj8ELj10EEvPKT0_PS4_: ; @_Z17sort_pairs_kernelI22helper_blocked_blockedN15benchmark_utils11custom_typeIiiEELj256ELj8ELj10EEvPKT0_PS4_
; %bb.0:
	s_clause 0x1
	s_load_b128 s[16:19], s[0:1], 0x0
	s_load_b32 s12, s[0:1], 0x1c
	v_and_b32_e32 v32, 0x3ff, v0
	s_mov_b32 s23, 0
	s_lshl_b32 s22, s15, 11
	s_mov_b32 s24, s23
	s_lshl_b64 s[20:21], s[22:23], 3
	v_lshlrev_b32_e32 v17, 3, v32
	v_and_b32_e32 v22, 0xe0, v32
	v_lshlrev_b32_e32 v65, 5, v32
	v_mul_u32_u24_e32 v35, 60, v32
	v_cmp_gt_u32_e64 s6, 8, v32
	v_cmp_lt_u32_e64 s7, 31, v32
	v_cmp_eq_u32_e64 s8, 0, v32
	v_mad_i32_i24 v69, 0xffffffe4, v32, v65
	v_add_nc_u32_e32 v66, 32, v65
	s_mov_b32 s22, s23
	s_delay_alu instid0(VALU_DEP_2) | instskip(SKIP_4) | instid1(VALU_DEP_1)
	v_add_nc_u32_e32 v74, v69, v35
	s_waitcnt lgkmcnt(0)
	s_add_u32 s0, s16, s20
	s_addc_u32 s1, s17, s21
	v_add_co_u32 v11, s2, s0, v17
	v_add_co_ci_u32_e64 v12, null, s1, 0, s2
	s_lshr_b32 s13, s12, 16
	s_delay_alu instid0(VALU_DEP_2) | instskip(NEXT) | instid1(VALU_DEP_2)
	v_add_co_u32 v7, vcc_lo, 0x1000, v11
	v_add_co_ci_u32_e32 v8, vcc_lo, 0, v12, vcc_lo
	v_add_co_u32 v9, vcc_lo, v11, 0x2000
	v_add_co_ci_u32_e32 v10, vcc_lo, 0, v12, vcc_lo
	;; [unrolled: 2-line block ×4, first 2 shown]
	s_clause 0x7
	global_load_b64 v[1:2], v17, s[0:1]
	global_load_b64 v[3:4], v[9:10], off offset:-4096
	global_load_b64 v[5:6], v17, s[0:1] offset:2048
	global_load_b64 v[7:8], v[7:8], off offset:2048
	global_load_b64 v[11:12], v[9:10], off
	global_load_b64 v[13:14], v[13:14], off offset:2048
	global_load_b64 v[33:34], v[15:16], off
	global_load_b64 v[9:10], v[15:16], off offset:2048
	v_mbcnt_lo_u32_b32 v15, -1, 0
	v_bfe_u32 v16, v0, 10, 10
	v_bfe_u32 v0, v0, 20, 10
	s_and_b32 s12, s12, 0xffff
	s_mov_b32 s16, s23
	v_add_nc_u32_e32 v20, -1, v15
	v_and_b32_e32 v19, 16, v15
	v_and_b32_e32 v18, 15, v15
	v_mad_u32_u24 v0, v0, s13, v16
	v_and_b32_e32 v21, 7, v15
	v_cmp_gt_i32_e32 vcc_lo, 0, v20
	v_cmp_eq_u32_e64 s5, 0, v19
	v_lshrrev_b32_e32 v19, 3, v32
	v_cmp_eq_u32_e64 s0, 0, v15
	v_cmp_eq_u32_e64 s1, 0, v18
	v_cmp_lt_u32_e64 s2, 1, v18
	v_cmp_lt_u32_e64 s3, 3, v18
	;; [unrolled: 1-line block ×3, first 2 shown]
	v_cndmask_b32_e32 v18, v20, v15, vcc_lo
	v_or_b32_e32 v20, v15, v22
	v_and_or_b32 v17, 0x700, v17, v15
	v_cmp_eq_u32_e64 s9, 0, v21
	v_cmp_lt_u32_e64 s10, 1, v21
	v_cmp_lt_u32_e64 s11, 3, v21
	v_or_b32_e32 v21, 31, v22
	v_and_b32_e32 v68, 28, v19
	v_lshlrev_b32_e32 v67, 2, v18
	v_lshlrev_b32_e32 v70, 6, v20
	;; [unrolled: 1-line block ×3, first 2 shown]
	s_mov_b32 s17, s23
	v_add_nc_u32_e32 v72, -4, v68
	s_waitcnt vmcnt(7)
	v_add_nc_u32_e32 v29, 1, v2
	v_add_nc_u32_e32 v28, 1, v1
	s_waitcnt vmcnt(5)
	v_add_nc_u32_e32 v31, 1, v6
	s_waitcnt vmcnt(1)
	v_mad_u64_u32 v[15:16], null, v0, s12, v[32:33]
	v_cmp_eq_u32_e64 s12, v21, v32
	v_add_nc_u32_e32 v30, 1, v5
	v_add_nc_u32_e32 v25, 1, v4
	;; [unrolled: 1-line block ×5, first 2 shown]
	v_lshrrev_b32_e32 v73, 5, v15
	v_add_nc_u32_e32 v21, 1, v12
	v_add_nc_u32_e32 v20, 1, v11
	;; [unrolled: 1-line block ×6, first 2 shown]
	s_waitcnt vmcnt(0)
	v_add_nc_u32_e32 v19, 1, v10
	v_add_nc_u32_e32 v18, 1, v9
	s_branch .LBB175_2
.LBB175_1:                              ;   in Loop: Header=BB175_2 Depth=1
	s_barrier
	buffer_gl0_inv
	ds_store_b64 v75, v[33:34]
	ds_store_b64 v76, v[53:54]
	;; [unrolled: 1-line block ×8, first 2 shown]
	s_waitcnt lgkmcnt(0)
	s_barrier
	buffer_gl0_inv
	ds_load_2addr_b64 v[1:4], v74 offset1:1
	ds_load_2addr_b64 v[7:10], v74 offset0:2 offset1:3
	ds_load_2addr_b64 v[11:14], v74 offset0:4 offset1:5
	;; [unrolled: 1-line block ×3, first 2 shown]
	s_waitcnt lgkmcnt(0)
	s_barrier
	buffer_gl0_inv
	ds_store_b64 v75, v[37:38]
	ds_store_b64 v76, v[35:36]
	ds_store_b64 v77, v[45:46]
	ds_store_b64 v78, v[43:44]
	ds_store_b64 v79, v[41:42]
	ds_store_b64 v80, v[39:40]
	ds_store_b64 v81, v[47:48]
	ds_store_b64 v82, v[49:50]
	s_waitcnt lgkmcnt(0)
	s_barrier
	buffer_gl0_inv
	ds_load_2addr_b64 v[28:31], v74 offset1:1
	ds_load_2addr_b64 v[24:27], v74 offset0:2 offset1:3
	ds_load_2addr_b64 v[20:23], v74 offset0:4 offset1:5
	;; [unrolled: 1-line block ×3, first 2 shown]
	s_add_i32 s24, s24, 1
	s_delay_alu instid0(SALU_CYCLE_1)
	s_cmp_lg_u32 s24, 10
	v_xor_b32_e32 v1, 0x80000000, v1
	v_xor_b32_e32 v2, 0x80000000, v2
	;; [unrolled: 1-line block ×16, first 2 shown]
	s_cbranch_scc0 .LBB175_28
.LBB175_2:                              ; =>This Loop Header: Depth=1
                                        ;     Child Loop BB175_4 Depth 2
	v_xor_b32_e32 v2, 0x80000000, v2
	v_xor_b32_e32 v1, 0x80000000, v1
	;; [unrolled: 1-line block ×16, first 2 shown]
	ds_store_2addr_b64 v70, v[1:2], v[5:6] offset1:1
	ds_store_2addr_b64 v70, v[3:4], v[7:8] offset0:2 offset1:3
	ds_store_2addr_b64 v70, v[11:12], v[13:14] offset0:4 offset1:5
	;; [unrolled: 1-line block ×3, first 2 shown]
	; wave barrier
	ds_load_2addr_b64 v[0:3], v71 offset1:32
	ds_load_2addr_b64 v[4:7], v71 offset0:64 offset1:96
	ds_load_2addr_b64 v[8:11], v71 offset0:128 offset1:160
	;; [unrolled: 1-line block ×3, first 2 shown]
	; wave barrier
	s_waitcnt lgkmcnt(11)
	ds_store_2addr_b64 v70, v[28:29], v[30:31] offset1:1
	s_waitcnt lgkmcnt(11)
	ds_store_2addr_b64 v70, v[24:25], v[26:27] offset0:2 offset1:3
	s_waitcnt lgkmcnt(11)
	ds_store_2addr_b64 v70, v[20:21], v[22:23] offset0:4 offset1:5
	;; [unrolled: 2-line block ×3, first 2 shown]
	; wave barrier
	ds_load_2addr_b64 v[20:23], v71 offset1:32
	ds_load_2addr_b64 v[24:27], v71 offset0:64 offset1:96
	ds_load_2addr_b64 v[28:31], v71 offset0:128 offset1:160
	;; [unrolled: 1-line block ×3, first 2 shown]
	s_mov_b32 s25, 8
	s_mov_b32 s26, 32
	;; [unrolled: 1-line block ×3, first 2 shown]
	s_waitcnt lgkmcnt(0)
	s_barrier
	s_branch .LBB175_4
.LBB175_3:                              ;   in Loop: Header=BB175_4 Depth=2
	s_barrier
	buffer_gl0_inv
	ds_store_b64 v75, v[33:34]
	ds_store_b64 v76, v[53:54]
	ds_store_b64 v77, v[51:52]
	ds_store_b64 v78, v[59:60]
	ds_store_b64 v79, v[57:58]
	ds_store_b64 v80, v[55:56]
	ds_store_b64 v81, v[63:64]
	ds_store_b64 v82, v[61:62]
	s_waitcnt lgkmcnt(0)
	s_barrier
	buffer_gl0_inv
	ds_load_2addr_b64 v[0:3], v71 offset1:32
	ds_load_2addr_b64 v[4:7], v71 offset0:64 offset1:96
	ds_load_2addr_b64 v[8:11], v71 offset0:128 offset1:160
	;; [unrolled: 1-line block ×3, first 2 shown]
	s_waitcnt lgkmcnt(0)
	s_barrier
	buffer_gl0_inv
	ds_store_b64 v75, v[37:38]
	ds_store_b64 v76, v[35:36]
	;; [unrolled: 1-line block ×8, first 2 shown]
	s_waitcnt lgkmcnt(0)
	s_barrier
	buffer_gl0_inv
	ds_load_2addr_b64 v[20:23], v71 offset1:32
	ds_load_2addr_b64 v[24:27], v71 offset0:64 offset1:96
	ds_load_2addr_b64 v[28:31], v71 offset0:128 offset1:160
	ds_load_2addr_b64 v[16:19], v71 offset0:192 offset1:224
	s_add_i32 s26, s26, -8
	s_add_i32 s25, s25, 8
	s_add_i32 s27, s27, 8
	s_waitcnt lgkmcnt(0)
	s_barrier
	s_cbranch_execz .LBB175_1
.LBB175_4:                              ;   Parent Loop BB175_2 Depth=1
                                        ; =>  This Inner Loop Header: Depth=2
	s_min_i32 s14, s25, 32
	s_cmp_lt_u32 s27, 32
	v_dual_mov_b32 v34, v1 :: v_dual_mov_b32 v33, v0
	s_cselect_b32 vcc_lo, -1, 0
	s_cmp_gt_u32 s27, 24
	v_dual_mov_b32 v36, v23 :: v_dual_mov_b32 v35, v22
	s_cselect_b32 s13, -1, 0
	s_sub_i32 s14, s14, 32
	v_lshrrev_b32_e32 v1, s27, v34
	s_add_i32 s15, s14, s26
	v_dual_mov_b32 v44, v27 :: v_dual_mov_b32 v43, v26
	s_lshl_b32 s15, -1, s15
	v_dual_mov_b32 v46, v25 :: v_dual_mov_b32 v45, v24
	s_not_b32 s15, s15
	s_cmp_lg_u32 s14, s27
	v_mov_b32_e32 v38, v21
	s_cselect_b32 s28, s15, -1
	s_max_i32 s29, s26, 0
	s_max_i32 s14, s27, 32
	v_and_b32_e32 v1, s28, v1
	s_sub_i32 s15, s14, s29
	s_sub_i32 s30, s14, 32
	;; [unrolled: 1-line block ×3, first 2 shown]
	v_lshrrev_b32_e32 v0, s30, v33
	s_min_i32 s14, s15, 32
	v_mov_b32_e32 v60, v7
	s_sub_i32 s14, s14, s30
	v_cndmask_b32_e32 v1, 0, v1, vcc_lo
	s_lshl_b32 s15, -1, s14
	v_mov_b32_e32 v56, v11
	s_not_b32 s15, s15
	s_cmp_lg_u32 s14, 32
	v_mov_b32_e32 v37, v20
	s_cselect_b32 s31, s15, -1
	v_mov_b32_e32 v62, v15
	v_and_b32_e32 v0, s31, v0
	v_dual_mov_b32 v58, v9 :: v_dual_mov_b32 v57, v8
	buffer_gl0_inv
	v_dual_mov_b32 v64, v13 :: v_dual_mov_b32 v63, v12
	v_lshlrev_b32_e32 v0, s29, v0
	v_dual_mov_b32 v42, v29 :: v_dual_mov_b32 v41, v28
	v_dual_mov_b32 v40, v31 :: v_dual_mov_b32 v39, v30
	s_delay_alu instid0(VALU_DEP_3) | instskip(SKIP_2) | instid1(VALU_DEP_3)
	v_cndmask_b32_e64 v0, 0, v0, s13
	v_dual_mov_b32 v48, v17 :: v_dual_mov_b32 v47, v16
	v_dual_mov_b32 v50, v19 :: v_dual_mov_b32 v49, v18
	v_or_b32_e32 v20, v1, v0
	v_dual_mov_b32 v54, v3 :: v_dual_mov_b32 v53, v2
	v_dual_mov_b32 v52, v5 :: v_dual_mov_b32 v51, v4
	s_delay_alu instid0(VALU_DEP_3)
	v_and_b32_e32 v0, 1, v20
	v_lshlrev_b32_e32 v1, 30, v20
	v_lshlrev_b32_e32 v21, 29, v20
	;; [unrolled: 1-line block ×4, first 2 shown]
	v_add_co_u32 v0, s14, v0, -1
	s_delay_alu instid0(VALU_DEP_1)
	v_cndmask_b32_e64 v23, 0, 1, s14
	v_not_b32_e32 v27, v1
	v_cmp_gt_i32_e64 s15, 0, v1
	v_not_b32_e32 v1, v21
	v_lshlrev_b32_e32 v25, 26, v20
	v_cmp_ne_u32_e64 s14, 0, v23
	v_ashrrev_i32_e32 v27, 31, v27
	v_mov_b32_e32 v59, v6
	v_ashrrev_i32_e32 v1, 31, v1
	v_lshlrev_b32_e32 v26, 25, v20
	v_xor_b32_e32 v0, s14, v0
	v_cmp_gt_i32_e64 s14, 0, v21
	v_not_b32_e32 v21, v22
	v_xor_b32_e32 v27, s15, v27
	v_cmp_gt_i32_e64 s15, 0, v22
	v_and_b32_e32 v0, exec_lo, v0
	v_not_b32_e32 v22, v24
	v_ashrrev_i32_e32 v21, 31, v21
	v_xor_b32_e32 v1, s14, v1
	v_cmp_gt_i32_e64 s14, 0, v24
	v_dual_mov_b32 v55, v10 :: v_dual_and_b32 v0, v0, v27
	v_not_b32_e32 v24, v25
	v_ashrrev_i32_e32 v22, 31, v22
	v_xor_b32_e32 v21, s15, v21
	s_delay_alu instid0(VALU_DEP_4)
	v_and_b32_e32 v0, v0, v1
	v_lshlrev_b32_e32 v23, 24, v20
	v_cmp_gt_i32_e64 s15, 0, v25
	v_not_b32_e32 v1, v26
	v_ashrrev_i32_e32 v24, 31, v24
	v_xor_b32_e32 v22, s14, v22
	v_and_b32_e32 v0, v0, v21
	v_cmp_gt_i32_e64 s14, 0, v26
	v_not_b32_e32 v21, v23
	v_ashrrev_i32_e32 v1, 31, v1
	v_xor_b32_e32 v24, s15, v24
	v_dual_mov_b32 v61, v14 :: v_dual_and_b32 v0, v0, v22
	v_cmp_gt_i32_e64 s15, 0, v23
	v_ashrrev_i32_e32 v16, 31, v21
	v_xor_b32_e32 v1, s14, v1
	s_delay_alu instid0(VALU_DEP_4) | instskip(NEXT) | instid1(VALU_DEP_3)
	v_and_b32_e32 v0, v0, v24
	v_xor_b32_e32 v3, s15, v16
	s_delay_alu instid0(VALU_DEP_2) | instskip(SKIP_1) | instid1(VALU_DEP_2)
	v_dual_mov_b32 v1, s22 :: v_dual_and_b32 v0, v0, v1
	v_mov_b32_e32 v2, s23
	v_dual_mov_b32 v3, s16 :: v_dual_and_b32 v0, v0, v3
	v_mov_b32_e32 v4, s17
	ds_store_2addr_b64 v65, v[1:2], v[3:4] offset0:4 offset1:5
	ds_store_2addr_b64 v66, v[1:2], v[3:4] offset0:2 offset1:3
	v_mbcnt_lo_u32_b32 v9, v0, 0
	v_lshl_add_u32 v1, v20, 3, v73
	v_cmp_ne_u32_e64 s15, 0, v0
	s_waitcnt lgkmcnt(0)
	s_barrier
	v_cmp_eq_u32_e64 s14, 0, v9
	v_lshl_add_u32 v8, v1, 2, 32
	buffer_gl0_inv
	; wave barrier
	s_and_b32 s15, s14, s15
	s_delay_alu instid0(SALU_CYCLE_1)
	s_and_saveexec_b32 s14, s15
	s_cbranch_execz .LBB175_6
; %bb.5:                                ;   in Loop: Header=BB175_4 Depth=2
	v_bcnt_u32_b32 v0, v0, 0
	ds_store_b32 v8, v0
.LBB175_6:                              ;   in Loop: Header=BB175_4 Depth=2
	s_or_b32 exec_lo, exec_lo, s14
	v_lshrrev_b32_e32 v0, s30, v53
	v_lshrrev_b32_e32 v1, s27, v54
	; wave barrier
	s_delay_alu instid0(VALU_DEP_1) | instskip(NEXT) | instid1(VALU_DEP_1)
	v_and_b32_e32 v1, s28, v1
	v_dual_cndmask_b32 v1, 0, v1 :: v_dual_and_b32 v0, s31, v0
	s_delay_alu instid0(VALU_DEP_1) | instskip(NEXT) | instid1(VALU_DEP_1)
	v_lshlrev_b32_e32 v0, s29, v0
	v_cndmask_b32_e64 v0, 0, v0, s13
	s_delay_alu instid0(VALU_DEP_1) | instskip(NEXT) | instid1(VALU_DEP_1)
	v_or_b32_e32 v0, v1, v0
	v_and_b32_e32 v1, 1, v0
	v_lshlrev_b32_e32 v2, 30, v0
	v_lshlrev_b32_e32 v3, 29, v0
	;; [unrolled: 1-line block ×4, first 2 shown]
	v_add_co_u32 v1, s14, v1, -1
	s_delay_alu instid0(VALU_DEP_1)
	v_cndmask_b32_e64 v5, 0, 1, s14
	v_not_b32_e32 v11, v2
	v_cmp_gt_i32_e64 s15, 0, v2
	v_not_b32_e32 v2, v3
	v_lshlrev_b32_e32 v7, 26, v0
	v_cmp_ne_u32_e64 s14, 0, v5
	v_ashrrev_i32_e32 v11, 31, v11
	v_lshlrev_b32_e32 v10, 25, v0
	v_ashrrev_i32_e32 v2, 31, v2
	v_lshlrev_b32_e32 v5, 24, v0
	v_xor_b32_e32 v1, s14, v1
	v_cmp_gt_i32_e64 s14, 0, v3
	v_not_b32_e32 v3, v4
	v_xor_b32_e32 v11, s15, v11
	v_cmp_gt_i32_e64 s15, 0, v4
	v_and_b32_e32 v1, exec_lo, v1
	v_not_b32_e32 v4, v6
	v_ashrrev_i32_e32 v3, 31, v3
	v_xor_b32_e32 v2, s14, v2
	v_cmp_gt_i32_e64 s14, 0, v6
	v_and_b32_e32 v1, v1, v11
	v_not_b32_e32 v6, v7
	v_ashrrev_i32_e32 v4, 31, v4
	v_xor_b32_e32 v3, s15, v3
	v_cmp_gt_i32_e64 s15, 0, v7
	v_and_b32_e32 v1, v1, v2
	;; [unrolled: 5-line block ×3, first 2 shown]
	v_not_b32_e32 v3, v5
	v_ashrrev_i32_e32 v2, 31, v2
	v_xor_b32_e32 v6, s15, v6
	v_lshlrev_b32_e32 v0, 3, v0
	v_and_b32_e32 v1, v1, v4
	v_cmp_gt_i32_e64 s15, 0, v5
	v_ashrrev_i32_e32 v3, 31, v3
	v_xor_b32_e32 v2, s14, v2
	v_add_lshl_u32 v4, v0, v73, 2
	v_and_b32_e32 v1, v1, v6
	s_delay_alu instid0(VALU_DEP_4) | instskip(SKIP_3) | instid1(VALU_DEP_2)
	v_xor_b32_e32 v0, s15, v3
	ds_load_b32 v10, v4 offset:32
	v_and_b32_e32 v1, v1, v2
	v_add_nc_u32_e32 v11, 32, v4
	; wave barrier
	v_and_b32_e32 v0, v1, v0
	s_delay_alu instid0(VALU_DEP_1) | instskip(SKIP_1) | instid1(VALU_DEP_2)
	v_mbcnt_lo_u32_b32 v12, v0, 0
	v_cmp_ne_u32_e64 s15, 0, v0
	v_cmp_eq_u32_e64 s14, 0, v12
	s_delay_alu instid0(VALU_DEP_1) | instskip(NEXT) | instid1(SALU_CYCLE_1)
	s_and_b32 s15, s14, s15
	s_and_saveexec_b32 s14, s15
	s_cbranch_execz .LBB175_8
; %bb.7:                                ;   in Loop: Header=BB175_4 Depth=2
	s_waitcnt lgkmcnt(0)
	v_bcnt_u32_b32 v0, v0, v10
	ds_store_b32 v11, v0
.LBB175_8:                              ;   in Loop: Header=BB175_4 Depth=2
	s_or_b32 exec_lo, exec_lo, s14
	v_lshrrev_b32_e32 v0, s30, v51
	v_lshrrev_b32_e32 v1, s27, v52
	; wave barrier
	s_delay_alu instid0(VALU_DEP_1) | instskip(NEXT) | instid1(VALU_DEP_1)
	v_and_b32_e32 v1, s28, v1
	v_dual_cndmask_b32 v1, 0, v1 :: v_dual_and_b32 v0, s31, v0
	s_delay_alu instid0(VALU_DEP_1) | instskip(NEXT) | instid1(VALU_DEP_1)
	v_lshlrev_b32_e32 v0, s29, v0
	v_cndmask_b32_e64 v0, 0, v0, s13
	s_delay_alu instid0(VALU_DEP_1) | instskip(NEXT) | instid1(VALU_DEP_1)
	v_or_b32_e32 v0, v1, v0
	v_and_b32_e32 v1, 1, v0
	v_lshlrev_b32_e32 v2, 30, v0
	v_lshlrev_b32_e32 v3, 29, v0
	;; [unrolled: 1-line block ×4, first 2 shown]
	v_add_co_u32 v1, s14, v1, -1
	s_delay_alu instid0(VALU_DEP_1)
	v_cndmask_b32_e64 v5, 0, 1, s14
	v_not_b32_e32 v14, v2
	v_cmp_gt_i32_e64 s15, 0, v2
	v_not_b32_e32 v2, v3
	v_lshlrev_b32_e32 v7, 26, v0
	v_cmp_ne_u32_e64 s14, 0, v5
	v_ashrrev_i32_e32 v14, 31, v14
	v_lshlrev_b32_e32 v13, 25, v0
	v_ashrrev_i32_e32 v2, 31, v2
	v_lshlrev_b32_e32 v5, 24, v0
	v_xor_b32_e32 v1, s14, v1
	v_cmp_gt_i32_e64 s14, 0, v3
	v_not_b32_e32 v3, v4
	v_xor_b32_e32 v14, s15, v14
	v_cmp_gt_i32_e64 s15, 0, v4
	v_and_b32_e32 v1, exec_lo, v1
	v_not_b32_e32 v4, v6
	v_ashrrev_i32_e32 v3, 31, v3
	v_xor_b32_e32 v2, s14, v2
	v_cmp_gt_i32_e64 s14, 0, v6
	v_and_b32_e32 v1, v1, v14
	v_not_b32_e32 v6, v7
	v_ashrrev_i32_e32 v4, 31, v4
	v_xor_b32_e32 v3, s15, v3
	v_cmp_gt_i32_e64 s15, 0, v7
	v_and_b32_e32 v1, v1, v2
	;; [unrolled: 5-line block ×3, first 2 shown]
	v_not_b32_e32 v3, v5
	v_ashrrev_i32_e32 v2, 31, v2
	v_xor_b32_e32 v6, s15, v6
	v_lshlrev_b32_e32 v0, 3, v0
	v_and_b32_e32 v1, v1, v4
	v_cmp_gt_i32_e64 s15, 0, v5
	v_ashrrev_i32_e32 v3, 31, v3
	v_xor_b32_e32 v2, s14, v2
	v_add_lshl_u32 v4, v0, v73, 2
	v_and_b32_e32 v1, v1, v6
	s_delay_alu instid0(VALU_DEP_4) | instskip(SKIP_3) | instid1(VALU_DEP_2)
	v_xor_b32_e32 v0, s15, v3
	ds_load_b32 v13, v4 offset:32
	v_and_b32_e32 v1, v1, v2
	v_add_nc_u32_e32 v15, 32, v4
	; wave barrier
	v_and_b32_e32 v0, v1, v0
	s_delay_alu instid0(VALU_DEP_1) | instskip(SKIP_1) | instid1(VALU_DEP_2)
	v_mbcnt_lo_u32_b32 v14, v0, 0
	v_cmp_ne_u32_e64 s15, 0, v0
	v_cmp_eq_u32_e64 s14, 0, v14
	s_delay_alu instid0(VALU_DEP_1) | instskip(NEXT) | instid1(SALU_CYCLE_1)
	s_and_b32 s15, s14, s15
	s_and_saveexec_b32 s14, s15
	s_cbranch_execz .LBB175_10
; %bb.9:                                ;   in Loop: Header=BB175_4 Depth=2
	s_waitcnt lgkmcnt(0)
	v_bcnt_u32_b32 v0, v0, v13
	ds_store_b32 v15, v0
.LBB175_10:                             ;   in Loop: Header=BB175_4 Depth=2
	s_or_b32 exec_lo, exec_lo, s14
	v_lshrrev_b32_e32 v0, s30, v59
	v_lshrrev_b32_e32 v1, s27, v60
	; wave barrier
	s_delay_alu instid0(VALU_DEP_1) | instskip(NEXT) | instid1(VALU_DEP_1)
	v_and_b32_e32 v1, s28, v1
	v_dual_cndmask_b32 v1, 0, v1 :: v_dual_and_b32 v0, s31, v0
	s_delay_alu instid0(VALU_DEP_1) | instskip(NEXT) | instid1(VALU_DEP_1)
	v_lshlrev_b32_e32 v0, s29, v0
	v_cndmask_b32_e64 v0, 0, v0, s13
	s_delay_alu instid0(VALU_DEP_1) | instskip(NEXT) | instid1(VALU_DEP_1)
	v_or_b32_e32 v0, v1, v0
	v_and_b32_e32 v1, 1, v0
	v_lshlrev_b32_e32 v2, 30, v0
	v_lshlrev_b32_e32 v3, 29, v0
	;; [unrolled: 1-line block ×4, first 2 shown]
	v_add_co_u32 v1, s14, v1, -1
	s_delay_alu instid0(VALU_DEP_1)
	v_cndmask_b32_e64 v5, 0, 1, s14
	v_not_b32_e32 v17, v2
	v_cmp_gt_i32_e64 s15, 0, v2
	v_not_b32_e32 v2, v3
	v_lshlrev_b32_e32 v7, 26, v0
	v_cmp_ne_u32_e64 s14, 0, v5
	v_ashrrev_i32_e32 v17, 31, v17
	v_lshlrev_b32_e32 v16, 25, v0
	v_ashrrev_i32_e32 v2, 31, v2
	v_lshlrev_b32_e32 v5, 24, v0
	v_xor_b32_e32 v1, s14, v1
	v_cmp_gt_i32_e64 s14, 0, v3
	v_not_b32_e32 v3, v4
	v_xor_b32_e32 v17, s15, v17
	v_cmp_gt_i32_e64 s15, 0, v4
	v_and_b32_e32 v1, exec_lo, v1
	v_not_b32_e32 v4, v6
	v_ashrrev_i32_e32 v3, 31, v3
	v_xor_b32_e32 v2, s14, v2
	v_cmp_gt_i32_e64 s14, 0, v6
	v_and_b32_e32 v1, v1, v17
	v_not_b32_e32 v6, v7
	v_ashrrev_i32_e32 v4, 31, v4
	v_xor_b32_e32 v3, s15, v3
	v_cmp_gt_i32_e64 s15, 0, v7
	v_and_b32_e32 v1, v1, v2
	;; [unrolled: 5-line block ×3, first 2 shown]
	v_not_b32_e32 v3, v5
	v_ashrrev_i32_e32 v2, 31, v2
	v_xor_b32_e32 v6, s15, v6
	v_lshlrev_b32_e32 v0, 3, v0
	v_and_b32_e32 v1, v1, v4
	v_cmp_gt_i32_e64 s15, 0, v5
	v_ashrrev_i32_e32 v3, 31, v3
	v_xor_b32_e32 v2, s14, v2
	v_add_lshl_u32 v4, v0, v73, 2
	v_and_b32_e32 v1, v1, v6
	s_delay_alu instid0(VALU_DEP_4) | instskip(SKIP_3) | instid1(VALU_DEP_2)
	v_xor_b32_e32 v0, s15, v3
	ds_load_b32 v16, v4 offset:32
	v_and_b32_e32 v1, v1, v2
	v_add_nc_u32_e32 v18, 32, v4
	; wave barrier
	v_and_b32_e32 v0, v1, v0
	s_delay_alu instid0(VALU_DEP_1) | instskip(SKIP_1) | instid1(VALU_DEP_2)
	v_mbcnt_lo_u32_b32 v17, v0, 0
	v_cmp_ne_u32_e64 s15, 0, v0
	v_cmp_eq_u32_e64 s14, 0, v17
	s_delay_alu instid0(VALU_DEP_1) | instskip(NEXT) | instid1(SALU_CYCLE_1)
	s_and_b32 s15, s14, s15
	s_and_saveexec_b32 s14, s15
	s_cbranch_execz .LBB175_12
; %bb.11:                               ;   in Loop: Header=BB175_4 Depth=2
	s_waitcnt lgkmcnt(0)
	v_bcnt_u32_b32 v0, v0, v16
	ds_store_b32 v18, v0
.LBB175_12:                             ;   in Loop: Header=BB175_4 Depth=2
	s_or_b32 exec_lo, exec_lo, s14
	v_lshrrev_b32_e32 v0, s30, v57
	v_lshrrev_b32_e32 v1, s27, v58
	; wave barrier
	s_delay_alu instid0(VALU_DEP_1) | instskip(NEXT) | instid1(VALU_DEP_1)
	v_and_b32_e32 v1, s28, v1
	v_dual_cndmask_b32 v1, 0, v1 :: v_dual_and_b32 v0, s31, v0
	s_delay_alu instid0(VALU_DEP_1) | instskip(NEXT) | instid1(VALU_DEP_1)
	v_lshlrev_b32_e32 v0, s29, v0
	v_cndmask_b32_e64 v0, 0, v0, s13
	s_delay_alu instid0(VALU_DEP_1) | instskip(NEXT) | instid1(VALU_DEP_1)
	v_or_b32_e32 v0, v1, v0
	v_and_b32_e32 v1, 1, v0
	v_lshlrev_b32_e32 v2, 30, v0
	v_lshlrev_b32_e32 v3, 29, v0
	;; [unrolled: 1-line block ×4, first 2 shown]
	v_add_co_u32 v1, s14, v1, -1
	s_delay_alu instid0(VALU_DEP_1)
	v_cndmask_b32_e64 v5, 0, 1, s14
	v_not_b32_e32 v20, v2
	v_cmp_gt_i32_e64 s15, 0, v2
	v_not_b32_e32 v2, v3
	v_lshlrev_b32_e32 v7, 26, v0
	v_cmp_ne_u32_e64 s14, 0, v5
	v_ashrrev_i32_e32 v20, 31, v20
	v_lshlrev_b32_e32 v19, 25, v0
	v_ashrrev_i32_e32 v2, 31, v2
	v_lshlrev_b32_e32 v5, 24, v0
	v_xor_b32_e32 v1, s14, v1
	v_cmp_gt_i32_e64 s14, 0, v3
	v_not_b32_e32 v3, v4
	v_xor_b32_e32 v20, s15, v20
	v_cmp_gt_i32_e64 s15, 0, v4
	v_and_b32_e32 v1, exec_lo, v1
	v_not_b32_e32 v4, v6
	v_ashrrev_i32_e32 v3, 31, v3
	v_xor_b32_e32 v2, s14, v2
	v_cmp_gt_i32_e64 s14, 0, v6
	v_and_b32_e32 v1, v1, v20
	v_not_b32_e32 v6, v7
	v_ashrrev_i32_e32 v4, 31, v4
	v_xor_b32_e32 v3, s15, v3
	v_cmp_gt_i32_e64 s15, 0, v7
	v_and_b32_e32 v1, v1, v2
	v_not_b32_e32 v2, v19
	v_ashrrev_i32_e32 v6, 31, v6
	v_xor_b32_e32 v4, s14, v4
	v_cmp_gt_i32_e64 s14, 0, v19
	v_and_b32_e32 v1, v1, v3
	v_not_b32_e32 v3, v5
	v_ashrrev_i32_e32 v2, 31, v2
	v_xor_b32_e32 v6, s15, v6
	v_lshlrev_b32_e32 v0, 3, v0
	v_and_b32_e32 v1, v1, v4
	v_cmp_gt_i32_e64 s15, 0, v5
	v_ashrrev_i32_e32 v3, 31, v3
	v_xor_b32_e32 v2, s14, v2
	v_add_lshl_u32 v4, v0, v73, 2
	v_and_b32_e32 v1, v1, v6
	s_delay_alu instid0(VALU_DEP_4) | instskip(SKIP_3) | instid1(VALU_DEP_2)
	v_xor_b32_e32 v0, s15, v3
	ds_load_b32 v19, v4 offset:32
	v_and_b32_e32 v1, v1, v2
	v_add_nc_u32_e32 v21, 32, v4
	; wave barrier
	v_and_b32_e32 v0, v1, v0
	s_delay_alu instid0(VALU_DEP_1) | instskip(SKIP_1) | instid1(VALU_DEP_2)
	v_mbcnt_lo_u32_b32 v20, v0, 0
	v_cmp_ne_u32_e64 s15, 0, v0
	v_cmp_eq_u32_e64 s14, 0, v20
	s_delay_alu instid0(VALU_DEP_1) | instskip(NEXT) | instid1(SALU_CYCLE_1)
	s_and_b32 s15, s14, s15
	s_and_saveexec_b32 s14, s15
	s_cbranch_execz .LBB175_14
; %bb.13:                               ;   in Loop: Header=BB175_4 Depth=2
	s_waitcnt lgkmcnt(0)
	v_bcnt_u32_b32 v0, v0, v19
	ds_store_b32 v21, v0
.LBB175_14:                             ;   in Loop: Header=BB175_4 Depth=2
	s_or_b32 exec_lo, exec_lo, s14
	v_lshrrev_b32_e32 v0, s30, v55
	v_lshrrev_b32_e32 v1, s27, v56
	; wave barrier
	s_delay_alu instid0(VALU_DEP_1) | instskip(NEXT) | instid1(VALU_DEP_1)
	v_and_b32_e32 v1, s28, v1
	v_dual_cndmask_b32 v1, 0, v1 :: v_dual_and_b32 v0, s31, v0
	s_delay_alu instid0(VALU_DEP_1) | instskip(NEXT) | instid1(VALU_DEP_1)
	v_lshlrev_b32_e32 v0, s29, v0
	v_cndmask_b32_e64 v0, 0, v0, s13
	s_delay_alu instid0(VALU_DEP_1) | instskip(NEXT) | instid1(VALU_DEP_1)
	v_or_b32_e32 v0, v1, v0
	v_and_b32_e32 v1, 1, v0
	v_lshlrev_b32_e32 v2, 30, v0
	v_lshlrev_b32_e32 v3, 29, v0
	;; [unrolled: 1-line block ×4, first 2 shown]
	v_add_co_u32 v1, s14, v1, -1
	s_delay_alu instid0(VALU_DEP_1)
	v_cndmask_b32_e64 v5, 0, 1, s14
	v_not_b32_e32 v23, v2
	v_cmp_gt_i32_e64 s15, 0, v2
	v_not_b32_e32 v2, v3
	v_lshlrev_b32_e32 v7, 26, v0
	v_cmp_ne_u32_e64 s14, 0, v5
	v_ashrrev_i32_e32 v23, 31, v23
	v_lshlrev_b32_e32 v22, 25, v0
	v_ashrrev_i32_e32 v2, 31, v2
	v_lshlrev_b32_e32 v5, 24, v0
	v_xor_b32_e32 v1, s14, v1
	v_cmp_gt_i32_e64 s14, 0, v3
	v_not_b32_e32 v3, v4
	v_xor_b32_e32 v23, s15, v23
	v_cmp_gt_i32_e64 s15, 0, v4
	v_and_b32_e32 v1, exec_lo, v1
	v_not_b32_e32 v4, v6
	v_ashrrev_i32_e32 v3, 31, v3
	v_xor_b32_e32 v2, s14, v2
	v_cmp_gt_i32_e64 s14, 0, v6
	v_and_b32_e32 v1, v1, v23
	v_not_b32_e32 v6, v7
	v_ashrrev_i32_e32 v4, 31, v4
	v_xor_b32_e32 v3, s15, v3
	v_cmp_gt_i32_e64 s15, 0, v7
	v_and_b32_e32 v1, v1, v2
	;; [unrolled: 5-line block ×3, first 2 shown]
	v_not_b32_e32 v3, v5
	v_ashrrev_i32_e32 v2, 31, v2
	v_xor_b32_e32 v6, s15, v6
	v_lshlrev_b32_e32 v0, 3, v0
	v_and_b32_e32 v1, v1, v4
	v_cmp_gt_i32_e64 s15, 0, v5
	v_ashrrev_i32_e32 v3, 31, v3
	v_xor_b32_e32 v2, s14, v2
	v_add_lshl_u32 v4, v0, v73, 2
	v_and_b32_e32 v1, v1, v6
	s_delay_alu instid0(VALU_DEP_4) | instskip(SKIP_3) | instid1(VALU_DEP_2)
	v_xor_b32_e32 v0, s15, v3
	ds_load_b32 v22, v4 offset:32
	v_and_b32_e32 v1, v1, v2
	v_add_nc_u32_e32 v24, 32, v4
	; wave barrier
	v_and_b32_e32 v0, v1, v0
	s_delay_alu instid0(VALU_DEP_1) | instskip(SKIP_1) | instid1(VALU_DEP_2)
	v_mbcnt_lo_u32_b32 v23, v0, 0
	v_cmp_ne_u32_e64 s15, 0, v0
	v_cmp_eq_u32_e64 s14, 0, v23
	s_delay_alu instid0(VALU_DEP_1) | instskip(NEXT) | instid1(SALU_CYCLE_1)
	s_and_b32 s15, s14, s15
	s_and_saveexec_b32 s14, s15
	s_cbranch_execz .LBB175_16
; %bb.15:                               ;   in Loop: Header=BB175_4 Depth=2
	s_waitcnt lgkmcnt(0)
	v_bcnt_u32_b32 v0, v0, v22
	ds_store_b32 v24, v0
.LBB175_16:                             ;   in Loop: Header=BB175_4 Depth=2
	s_or_b32 exec_lo, exec_lo, s14
	v_lshrrev_b32_e32 v0, s30, v63
	v_lshrrev_b32_e32 v1, s27, v64
	; wave barrier
	s_delay_alu instid0(VALU_DEP_1) | instskip(NEXT) | instid1(VALU_DEP_1)
	v_and_b32_e32 v1, s28, v1
	v_dual_cndmask_b32 v1, 0, v1 :: v_dual_and_b32 v0, s31, v0
	s_delay_alu instid0(VALU_DEP_1) | instskip(NEXT) | instid1(VALU_DEP_1)
	v_lshlrev_b32_e32 v0, s29, v0
	v_cndmask_b32_e64 v0, 0, v0, s13
	s_delay_alu instid0(VALU_DEP_1) | instskip(NEXT) | instid1(VALU_DEP_1)
	v_or_b32_e32 v0, v1, v0
	v_and_b32_e32 v1, 1, v0
	v_lshlrev_b32_e32 v2, 30, v0
	v_lshlrev_b32_e32 v3, 29, v0
	;; [unrolled: 1-line block ×4, first 2 shown]
	v_add_co_u32 v1, s14, v1, -1
	s_delay_alu instid0(VALU_DEP_1)
	v_cndmask_b32_e64 v5, 0, 1, s14
	v_not_b32_e32 v26, v2
	v_cmp_gt_i32_e64 s15, 0, v2
	v_not_b32_e32 v2, v3
	v_lshlrev_b32_e32 v7, 26, v0
	v_cmp_ne_u32_e64 s14, 0, v5
	v_ashrrev_i32_e32 v26, 31, v26
	v_lshlrev_b32_e32 v25, 25, v0
	v_ashrrev_i32_e32 v2, 31, v2
	v_lshlrev_b32_e32 v5, 24, v0
	v_xor_b32_e32 v1, s14, v1
	v_cmp_gt_i32_e64 s14, 0, v3
	v_not_b32_e32 v3, v4
	v_xor_b32_e32 v26, s15, v26
	v_cmp_gt_i32_e64 s15, 0, v4
	v_and_b32_e32 v1, exec_lo, v1
	v_not_b32_e32 v4, v6
	v_ashrrev_i32_e32 v3, 31, v3
	v_xor_b32_e32 v2, s14, v2
	v_cmp_gt_i32_e64 s14, 0, v6
	v_and_b32_e32 v1, v1, v26
	v_not_b32_e32 v6, v7
	v_ashrrev_i32_e32 v4, 31, v4
	v_xor_b32_e32 v3, s15, v3
	v_cmp_gt_i32_e64 s15, 0, v7
	v_and_b32_e32 v1, v1, v2
	;; [unrolled: 5-line block ×3, first 2 shown]
	v_not_b32_e32 v3, v5
	v_ashrrev_i32_e32 v2, 31, v2
	v_xor_b32_e32 v6, s15, v6
	v_lshlrev_b32_e32 v0, 3, v0
	v_and_b32_e32 v1, v1, v4
	v_cmp_gt_i32_e64 s15, 0, v5
	v_ashrrev_i32_e32 v3, 31, v3
	v_xor_b32_e32 v2, s14, v2
	v_add_lshl_u32 v4, v0, v73, 2
	v_and_b32_e32 v1, v1, v6
	s_delay_alu instid0(VALU_DEP_4) | instskip(SKIP_3) | instid1(VALU_DEP_2)
	v_xor_b32_e32 v0, s15, v3
	ds_load_b32 v25, v4 offset:32
	v_and_b32_e32 v1, v1, v2
	v_add_nc_u32_e32 v27, 32, v4
	; wave barrier
	v_and_b32_e32 v0, v1, v0
	s_delay_alu instid0(VALU_DEP_1) | instskip(SKIP_1) | instid1(VALU_DEP_2)
	v_mbcnt_lo_u32_b32 v26, v0, 0
	v_cmp_ne_u32_e64 s15, 0, v0
	v_cmp_eq_u32_e64 s14, 0, v26
	s_delay_alu instid0(VALU_DEP_1) | instskip(NEXT) | instid1(SALU_CYCLE_1)
	s_and_b32 s15, s14, s15
	s_and_saveexec_b32 s14, s15
	s_cbranch_execz .LBB175_18
; %bb.17:                               ;   in Loop: Header=BB175_4 Depth=2
	s_waitcnt lgkmcnt(0)
	v_bcnt_u32_b32 v0, v0, v25
	ds_store_b32 v27, v0
.LBB175_18:                             ;   in Loop: Header=BB175_4 Depth=2
	s_or_b32 exec_lo, exec_lo, s14
	v_lshrrev_b32_e32 v0, s30, v61
	v_lshrrev_b32_e32 v1, s27, v62
	; wave barrier
	s_delay_alu instid0(VALU_DEP_1) | instskip(NEXT) | instid1(VALU_DEP_1)
	v_and_b32_e32 v1, s28, v1
	v_dual_cndmask_b32 v1, 0, v1 :: v_dual_and_b32 v0, s31, v0
	s_delay_alu instid0(VALU_DEP_1) | instskip(NEXT) | instid1(VALU_DEP_1)
	v_lshlrev_b32_e32 v0, s29, v0
	v_cndmask_b32_e64 v0, 0, v0, s13
	s_delay_alu instid0(VALU_DEP_1) | instskip(NEXT) | instid1(VALU_DEP_1)
	v_or_b32_e32 v0, v1, v0
	v_and_b32_e32 v1, 1, v0
	v_lshlrev_b32_e32 v2, 30, v0
	v_lshlrev_b32_e32 v3, 29, v0
	;; [unrolled: 1-line block ×4, first 2 shown]
	v_add_co_u32 v1, s13, v1, -1
	s_delay_alu instid0(VALU_DEP_1)
	v_cndmask_b32_e64 v5, 0, 1, s13
	v_not_b32_e32 v29, v2
	v_cmp_gt_i32_e64 s13, 0, v2
	v_not_b32_e32 v2, v3
	v_lshlrev_b32_e32 v7, 26, v0
	v_cmp_ne_u32_e32 vcc_lo, 0, v5
	v_ashrrev_i32_e32 v29, 31, v29
	v_lshlrev_b32_e32 v28, 25, v0
	v_ashrrev_i32_e32 v2, 31, v2
	v_lshlrev_b32_e32 v5, 24, v0
	v_xor_b32_e32 v1, vcc_lo, v1
	v_cmp_gt_i32_e32 vcc_lo, 0, v3
	v_not_b32_e32 v3, v4
	v_xor_b32_e32 v29, s13, v29
	v_cmp_gt_i32_e64 s13, 0, v4
	v_and_b32_e32 v1, exec_lo, v1
	v_not_b32_e32 v4, v6
	v_ashrrev_i32_e32 v3, 31, v3
	v_xor_b32_e32 v2, vcc_lo, v2
	v_cmp_gt_i32_e32 vcc_lo, 0, v6
	v_and_b32_e32 v1, v1, v29
	v_not_b32_e32 v6, v7
	v_ashrrev_i32_e32 v4, 31, v4
	v_xor_b32_e32 v3, s13, v3
	v_cmp_gt_i32_e64 s13, 0, v7
	v_and_b32_e32 v1, v1, v2
	v_not_b32_e32 v2, v28
	v_ashrrev_i32_e32 v6, 31, v6
	v_xor_b32_e32 v4, vcc_lo, v4
	v_cmp_gt_i32_e32 vcc_lo, 0, v28
	v_and_b32_e32 v1, v1, v3
	v_not_b32_e32 v3, v5
	v_ashrrev_i32_e32 v2, 31, v2
	v_xor_b32_e32 v6, s13, v6
	v_lshlrev_b32_e32 v0, 3, v0
	v_and_b32_e32 v1, v1, v4
	v_cmp_gt_i32_e64 s13, 0, v5
	v_ashrrev_i32_e32 v3, 31, v3
	v_xor_b32_e32 v2, vcc_lo, v2
	v_add_lshl_u32 v4, v0, v73, 2
	v_and_b32_e32 v1, v1, v6
	s_delay_alu instid0(VALU_DEP_4) | instskip(SKIP_3) | instid1(VALU_DEP_2)
	v_xor_b32_e32 v0, s13, v3
	ds_load_b32 v28, v4 offset:32
	v_and_b32_e32 v1, v1, v2
	v_add_nc_u32_e32 v30, 32, v4
	; wave barrier
	v_and_b32_e32 v0, v1, v0
	s_delay_alu instid0(VALU_DEP_1) | instskip(SKIP_1) | instid1(VALU_DEP_2)
	v_mbcnt_lo_u32_b32 v29, v0, 0
	v_cmp_ne_u32_e64 s13, 0, v0
	v_cmp_eq_u32_e32 vcc_lo, 0, v29
	s_delay_alu instid0(VALU_DEP_2) | instskip(NEXT) | instid1(SALU_CYCLE_1)
	s_and_b32 s14, vcc_lo, s13
	s_and_saveexec_b32 s13, s14
	s_cbranch_execz .LBB175_20
; %bb.19:                               ;   in Loop: Header=BB175_4 Depth=2
	s_waitcnt lgkmcnt(0)
	v_bcnt_u32_b32 v0, v0, v28
	ds_store_b32 v30, v0
.LBB175_20:                             ;   in Loop: Header=BB175_4 Depth=2
	s_or_b32 exec_lo, exec_lo, s13
	; wave barrier
	s_waitcnt lgkmcnt(0)
	s_barrier
	buffer_gl0_inv
	ds_load_2addr_b64 v[4:7], v65 offset0:4 offset1:5
	ds_load_2addr_b64 v[0:3], v66 offset0:2 offset1:3
	s_waitcnt lgkmcnt(1)
	v_add_nc_u32_e32 v31, v5, v4
	s_delay_alu instid0(VALU_DEP_1) | instskip(SKIP_1) | instid1(VALU_DEP_1)
	v_add3_u32 v31, v31, v6, v7
	s_waitcnt lgkmcnt(0)
	v_add3_u32 v31, v31, v0, v1
	s_delay_alu instid0(VALU_DEP_1) | instskip(NEXT) | instid1(VALU_DEP_1)
	v_add3_u32 v3, v31, v2, v3
	v_mov_b32_dpp v31, v3 row_shr:1 row_mask:0xf bank_mask:0xf
	s_delay_alu instid0(VALU_DEP_1) | instskip(NEXT) | instid1(VALU_DEP_1)
	v_cndmask_b32_e64 v31, v31, 0, s1
	v_add_nc_u32_e32 v3, v31, v3
	s_delay_alu instid0(VALU_DEP_1) | instskip(NEXT) | instid1(VALU_DEP_1)
	v_mov_b32_dpp v31, v3 row_shr:2 row_mask:0xf bank_mask:0xf
	v_cndmask_b32_e64 v31, 0, v31, s2
	s_delay_alu instid0(VALU_DEP_1) | instskip(NEXT) | instid1(VALU_DEP_1)
	v_add_nc_u32_e32 v3, v3, v31
	v_mov_b32_dpp v31, v3 row_shr:4 row_mask:0xf bank_mask:0xf
	s_delay_alu instid0(VALU_DEP_1) | instskip(NEXT) | instid1(VALU_DEP_1)
	v_cndmask_b32_e64 v31, 0, v31, s3
	v_add_nc_u32_e32 v3, v3, v31
	s_delay_alu instid0(VALU_DEP_1) | instskip(NEXT) | instid1(VALU_DEP_1)
	v_mov_b32_dpp v31, v3 row_shr:8 row_mask:0xf bank_mask:0xf
	v_cndmask_b32_e64 v31, 0, v31, s4
	s_delay_alu instid0(VALU_DEP_1) | instskip(SKIP_3) | instid1(VALU_DEP_1)
	v_add_nc_u32_e32 v3, v3, v31
	ds_swizzle_b32 v31, v3 offset:swizzle(BROADCAST,32,15)
	s_waitcnt lgkmcnt(0)
	v_cndmask_b32_e64 v31, v31, 0, s5
	v_add_nc_u32_e32 v3, v3, v31
	s_and_saveexec_b32 s13, s12
	s_cbranch_execz .LBB175_22
; %bb.21:                               ;   in Loop: Header=BB175_4 Depth=2
	ds_store_b32 v68, v3
.LBB175_22:                             ;   in Loop: Header=BB175_4 Depth=2
	s_or_b32 exec_lo, exec_lo, s13
	s_waitcnt lgkmcnt(0)
	s_barrier
	buffer_gl0_inv
	s_and_saveexec_b32 s13, s6
	s_cbranch_execz .LBB175_24
; %bb.23:                               ;   in Loop: Header=BB175_4 Depth=2
	ds_load_b32 v31, v69
	s_waitcnt lgkmcnt(0)
	v_mov_b32_dpp v75, v31 row_shr:1 row_mask:0xf bank_mask:0xf
	s_delay_alu instid0(VALU_DEP_1) | instskip(NEXT) | instid1(VALU_DEP_1)
	v_cndmask_b32_e64 v75, v75, 0, s9
	v_add_nc_u32_e32 v31, v75, v31
	s_delay_alu instid0(VALU_DEP_1) | instskip(NEXT) | instid1(VALU_DEP_1)
	v_mov_b32_dpp v75, v31 row_shr:2 row_mask:0xf bank_mask:0xf
	v_cndmask_b32_e64 v75, 0, v75, s10
	s_delay_alu instid0(VALU_DEP_1) | instskip(NEXT) | instid1(VALU_DEP_1)
	v_add_nc_u32_e32 v31, v31, v75
	v_mov_b32_dpp v75, v31 row_shr:4 row_mask:0xf bank_mask:0xf
	s_delay_alu instid0(VALU_DEP_1) | instskip(NEXT) | instid1(VALU_DEP_1)
	v_cndmask_b32_e64 v75, 0, v75, s11
	v_add_nc_u32_e32 v31, v31, v75
	ds_store_b32 v69, v31
.LBB175_24:                             ;   in Loop: Header=BB175_4 Depth=2
	s_or_b32 exec_lo, exec_lo, s13
	v_mov_b32_e32 v31, 0
	s_waitcnt lgkmcnt(0)
	s_barrier
	buffer_gl0_inv
	s_and_saveexec_b32 s13, s7
	s_cbranch_execz .LBB175_26
; %bb.25:                               ;   in Loop: Header=BB175_4 Depth=2
	ds_load_b32 v31, v72
.LBB175_26:                             ;   in Loop: Header=BB175_4 Depth=2
	s_or_b32 exec_lo, exec_lo, s13
	s_waitcnt lgkmcnt(0)
	v_add_nc_u32_e32 v3, v31, v3
	s_cmp_gt_u32 s27, 55
	ds_bpermute_b32 v3, v67, v3
	s_waitcnt lgkmcnt(0)
	v_cndmask_b32_e64 v3, v3, v31, s0
	s_delay_alu instid0(VALU_DEP_1) | instskip(NEXT) | instid1(VALU_DEP_1)
	v_cndmask_b32_e64 v3, v3, 0, s8
	v_add_nc_u32_e32 v4, v3, v4
	s_delay_alu instid0(VALU_DEP_1) | instskip(NEXT) | instid1(VALU_DEP_1)
	v_add_nc_u32_e32 v5, v4, v5
	v_add_nc_u32_e32 v6, v5, v6
	s_delay_alu instid0(VALU_DEP_1)
	v_add_nc_u32_e32 v75, v6, v7
	v_lshlrev_b32_e32 v7, 3, v12
	v_lshlrev_b32_e32 v12, 3, v13
	;; [unrolled: 1-line block ×4, first 2 shown]
	v_add_nc_u32_e32 v76, v75, v0
	s_delay_alu instid0(VALU_DEP_1) | instskip(NEXT) | instid1(VALU_DEP_1)
	v_add_nc_u32_e32 v0, v76, v1
	v_add_nc_u32_e32 v1, v0, v2
	v_lshlrev_b32_e32 v2, 3, v9
	v_lshlrev_b32_e32 v9, 3, v10
	ds_store_2addr_b64 v65, v[3:4], v[5:6] offset0:4 offset1:5
	ds_store_2addr_b64 v66, v[75:76], v[0:1] offset0:2 offset1:3
	s_waitcnt lgkmcnt(0)
	s_barrier
	buffer_gl0_inv
	ds_load_b32 v0, v8
	ds_load_b32 v1, v11
	;; [unrolled: 1-line block ×8, first 2 shown]
	v_lshlrev_b32_e32 v11, 3, v14
	v_lshlrev_b32_e32 v14, 3, v16
	;; [unrolled: 1-line block ×9, first 2 shown]
	s_waitcnt lgkmcnt(0)
	v_lshl_add_u32 v75, v0, 3, v2
	v_lshlrev_b32_e32 v0, 3, v1
	v_lshlrev_b32_e32 v1, 3, v3
	;; [unrolled: 1-line block ×7, first 2 shown]
	v_add3_u32 v76, v7, v9, v0
	v_add3_u32 v77, v11, v12, v1
	;; [unrolled: 1-line block ×7, first 2 shown]
	s_cbranch_scc0 .LBB175_3
; %bb.27:                               ;   in Loop: Header=BB175_2 Depth=1
                                        ; implicit-def: $sgpr27
                                        ; implicit-def: $vgpr20_vgpr21
                                        ; implicit-def: $vgpr24_vgpr25
                                        ; implicit-def: $vgpr28_vgpr29
                                        ; implicit-def: $vgpr16_vgpr17
                                        ; implicit-def: $vgpr0_vgpr1
                                        ; implicit-def: $vgpr4_vgpr5
                                        ; implicit-def: $vgpr8_vgpr9
                                        ; implicit-def: $vgpr12_vgpr13
                                        ; implicit-def: $sgpr26
                                        ; implicit-def: $sgpr25
	s_branch .LBB175_1
.LBB175_28:
	s_waitcnt lgkmcnt(3)
	v_add_nc_u32_e32 v0, v1, v28
	v_add_nc_u32_e32 v1, v2, v29
	s_waitcnt lgkmcnt(2)
	v_add_nc_u32_e32 v2, v3, v24
	v_add_nc_u32_e32 v3, v4, v25
	v_lshlrev_b32_e32 v4, 3, v32
	s_add_u32 s0, s18, s20
	s_waitcnt lgkmcnt(1)
	v_add_nc_u32_e32 v14, v14, v23
	s_addc_u32 s1, s19, s21
	s_waitcnt lgkmcnt(0)
	v_add_nc_u32_e32 v15, v33, v16
	v_add_co_u32 v23, s2, s0, v4
	s_delay_alu instid0(VALU_DEP_1) | instskip(SKIP_1) | instid1(VALU_DEP_3)
	v_add_co_ci_u32_e64 v24, null, s1, 0, s2
	v_add_nc_u32_e32 v16, v34, v17
	v_add_co_u32 v17, vcc_lo, 0x1000, v23
	v_add_nc_u32_e32 v9, v9, v18
	s_delay_alu instid0(VALU_DEP_4)
	v_add_co_ci_u32_e32 v18, vcc_lo, 0, v24, vcc_lo
	v_add_nc_u32_e32 v10, v10, v19
	v_add_co_u32 v19, vcc_lo, v23, 0x2000
	v_add_nc_u32_e32 v11, v11, v20
	v_add_nc_u32_e32 v12, v12, v21
	v_add_co_ci_u32_e32 v20, vcc_lo, 0, v24, vcc_lo
	v_add_co_u32 v21, vcc_lo, 0x2000, v23
	v_add_nc_u32_e32 v5, v5, v30
	v_add_nc_u32_e32 v6, v6, v31
	;; [unrolled: 1-line block ×3, first 2 shown]
	v_add_co_ci_u32_e32 v22, vcc_lo, 0, v24, vcc_lo
	v_add_nc_u32_e32 v7, v7, v26
	v_add_nc_u32_e32 v8, v8, v27
	global_store_b64 v[19:20], v[11:12], off
	v_add_co_u32 v11, vcc_lo, 0x3000, v23
	v_add_co_ci_u32_e32 v12, vcc_lo, 0, v24, vcc_lo
	s_clause 0x6
	global_store_b64 v4, v[0:1], s[0:1]
	global_store_b64 v4, v[5:6], s[0:1] offset:2048
	global_store_b64 v[17:18], v[7:8], off offset:2048
	global_store_b64 v[21:22], v[13:14], off offset:2048
	global_store_b64 v[11:12], v[15:16], off
	global_store_b64 v[19:20], v[2:3], off offset:-4096
	global_store_b64 v[11:12], v[9:10], off offset:2048
	s_nop 0
	s_sendmsg sendmsg(MSG_DEALLOC_VGPRS)
	s_endpgm
	.section	.rodata,"a",@progbits
	.p2align	6, 0x0
	.amdhsa_kernel _Z17sort_pairs_kernelI22helper_blocked_blockedN15benchmark_utils11custom_typeIiiEELj256ELj8ELj10EEvPKT0_PS4_
		.amdhsa_group_segment_fixed_size 16384
		.amdhsa_private_segment_fixed_size 0
		.amdhsa_kernarg_size 272
		.amdhsa_user_sgpr_count 15
		.amdhsa_user_sgpr_dispatch_ptr 0
		.amdhsa_user_sgpr_queue_ptr 0
		.amdhsa_user_sgpr_kernarg_segment_ptr 1
		.amdhsa_user_sgpr_dispatch_id 0
		.amdhsa_user_sgpr_private_segment_size 0
		.amdhsa_wavefront_size32 1
		.amdhsa_uses_dynamic_stack 0
		.amdhsa_enable_private_segment 0
		.amdhsa_system_sgpr_workgroup_id_x 1
		.amdhsa_system_sgpr_workgroup_id_y 0
		.amdhsa_system_sgpr_workgroup_id_z 0
		.amdhsa_system_sgpr_workgroup_info 0
		.amdhsa_system_vgpr_workitem_id 2
		.amdhsa_next_free_vgpr 83
		.amdhsa_next_free_sgpr 32
		.amdhsa_reserve_vcc 1
		.amdhsa_float_round_mode_32 0
		.amdhsa_float_round_mode_16_64 0
		.amdhsa_float_denorm_mode_32 3
		.amdhsa_float_denorm_mode_16_64 3
		.amdhsa_dx10_clamp 1
		.amdhsa_ieee_mode 1
		.amdhsa_fp16_overflow 0
		.amdhsa_workgroup_processor_mode 1
		.amdhsa_memory_ordered 1
		.amdhsa_forward_progress 0
		.amdhsa_shared_vgpr_count 0
		.amdhsa_exception_fp_ieee_invalid_op 0
		.amdhsa_exception_fp_denorm_src 0
		.amdhsa_exception_fp_ieee_div_zero 0
		.amdhsa_exception_fp_ieee_overflow 0
		.amdhsa_exception_fp_ieee_underflow 0
		.amdhsa_exception_fp_ieee_inexact 0
		.amdhsa_exception_int_div_zero 0
	.end_amdhsa_kernel
	.section	.text._Z17sort_pairs_kernelI22helper_blocked_blockedN15benchmark_utils11custom_typeIiiEELj256ELj8ELj10EEvPKT0_PS4_,"axG",@progbits,_Z17sort_pairs_kernelI22helper_blocked_blockedN15benchmark_utils11custom_typeIiiEELj256ELj8ELj10EEvPKT0_PS4_,comdat
.Lfunc_end175:
	.size	_Z17sort_pairs_kernelI22helper_blocked_blockedN15benchmark_utils11custom_typeIiiEELj256ELj8ELj10EEvPKT0_PS4_, .Lfunc_end175-_Z17sort_pairs_kernelI22helper_blocked_blockedN15benchmark_utils11custom_typeIiiEELj256ELj8ELj10EEvPKT0_PS4_
                                        ; -- End function
	.section	.AMDGPU.csdata,"",@progbits
; Kernel info:
; codeLenInByte = 5816
; NumSgprs: 34
; NumVgprs: 83
; ScratchSize: 0
; MemoryBound: 0
; FloatMode: 240
; IeeeMode: 1
; LDSByteSize: 16384 bytes/workgroup (compile time only)
; SGPRBlocks: 4
; VGPRBlocks: 10
; NumSGPRsForWavesPerEU: 34
; NumVGPRsForWavesPerEU: 83
; Occupancy: 16
; WaveLimiterHint : 1
; COMPUTE_PGM_RSRC2:SCRATCH_EN: 0
; COMPUTE_PGM_RSRC2:USER_SGPR: 15
; COMPUTE_PGM_RSRC2:TRAP_HANDLER: 0
; COMPUTE_PGM_RSRC2:TGID_X_EN: 1
; COMPUTE_PGM_RSRC2:TGID_Y_EN: 0
; COMPUTE_PGM_RSRC2:TGID_Z_EN: 0
; COMPUTE_PGM_RSRC2:TIDIG_COMP_CNT: 2
	.section	.text._Z16sort_keys_kernelI22helper_blocked_blockedN15benchmark_utils11custom_typeIiiEELj320ELj1ELj10EEvPKT0_PS4_,"axG",@progbits,_Z16sort_keys_kernelI22helper_blocked_blockedN15benchmark_utils11custom_typeIiiEELj320ELj1ELj10EEvPKT0_PS4_,comdat
	.protected	_Z16sort_keys_kernelI22helper_blocked_blockedN15benchmark_utils11custom_typeIiiEELj320ELj1ELj10EEvPKT0_PS4_ ; -- Begin function _Z16sort_keys_kernelI22helper_blocked_blockedN15benchmark_utils11custom_typeIiiEELj320ELj1ELj10EEvPKT0_PS4_
	.globl	_Z16sort_keys_kernelI22helper_blocked_blockedN15benchmark_utils11custom_typeIiiEELj320ELj1ELj10EEvPKT0_PS4_
	.p2align	8
	.type	_Z16sort_keys_kernelI22helper_blocked_blockedN15benchmark_utils11custom_typeIiiEELj320ELj1ELj10EEvPKT0_PS4_,@function
_Z16sort_keys_kernelI22helper_blocked_blockedN15benchmark_utils11custom_typeIiiEELj320ELj1ELj10EEvPKT0_PS4_: ; @_Z16sort_keys_kernelI22helper_blocked_blockedN15benchmark_utils11custom_typeIiiEELj320ELj1ELj10EEvPKT0_PS4_
; %bb.0:
	s_clause 0x1
	s_load_b128 s[16:19], s[0:1], 0x0
	s_load_b32 s8, s[0:1], 0x1c
	s_mov_b32 s21, 0
	s_mul_i32 s20, s15, 0x140
	s_mov_b32 s14, s21
	s_mov_b32 s15, s21
	v_dual_mov_b32 v9, s14 :: v_dual_and_b32 v8, 0x3ff, v0
	s_lshl_b64 s[12:13], s[20:21], 3
	v_mov_b32_e32 v10, s15
	v_mbcnt_lo_u32_b32 v5, -1, 0
	s_delay_alu instid0(VALU_DEP_3)
	v_lshlrev_b32_e32 v1, 3, v8
	s_mov_b32 s20, s21
	v_bfe_u32 v3, v0, 10, 10
	v_bfe_u32 v0, v0, 20, 10
	v_and_b32_e32 v6, 16, v5
	v_dual_mov_b32 v11, s20 :: v_dual_and_b32 v4, 15, v5
	v_dual_mov_b32 v12, s21 :: v_dual_add_nc_u32 v7, -1, v5
	s_waitcnt lgkmcnt(0)
	s_add_u32 s0, s16, s12
	s_addc_u32 s1, s17, s13
	v_cmp_eq_u32_e64 s4, 0, v6
	global_load_b64 v[1:2], v1, s[0:1]
	v_and_b32_e32 v6, 0x1e0, v8
	s_lshr_b32 s9, s8, 16
	v_cmp_eq_u32_e64 s0, 0, v4
	v_cmp_lt_u32_e64 s1, 1, v4
	v_cmp_lt_u32_e64 s2, 3, v4
	;; [unrolled: 1-line block ×3, first 2 shown]
	v_lshrrev_b32_e32 v4, 3, v8
	v_mad_u32_u24 v0, v0, s9, v3
	v_lshlrev_b32_e32 v15, 5, v8
	v_cmp_gt_i32_e64 s7, 0, v7
	v_min_u32_e32 v13, 0x120, v6
	s_and_b32 s8, s8, 0xffff
	v_and_b32_e32 v17, 60, v4
	v_mad_u64_u32 v[3:4], null, v0, s8, v[8:9]
	v_cndmask_b32_e64 v7, v7, v5, s7
	v_lshlrev_b32_e32 v23, 2, v8
	v_or_b32_e32 v0, v5, v6
	v_or_b32_e32 v4, 31, v13
	v_mad_i32_i24 v19, 0xffffffe4, v8, v15
	v_cmp_eq_u32_e32 vcc_lo, 0, v5
	v_cmp_gt_u32_e64 s5, 10, v8
	v_cmp_lt_u32_e64 s6, 31, v8
	v_cmp_eq_u32_e64 s7, 0, v8
	v_add_nc_u32_e32 v16, 40, v15
	v_lshlrev_b32_e32 v18, 2, v7
	v_add_nc_u32_e32 v20, -4, v17
	v_lshlrev_b32_e32 v21, 3, v0
	v_cmp_eq_u32_e64 s8, v4, v8
	v_lshrrev_b32_e32 v22, 5, v3
	v_add_nc_u32_e32 v23, v19, v23
	s_mov_b32 s16, 10
	s_waitcnt vmcnt(0)
	v_xor_b32_e32 v13, 0x80000000, v1
	v_xor_b32_e32 v14, 0x80000000, v2
	s_branch .LBB176_2
.LBB176_1:                              ;   in Loop: Header=BB176_2 Depth=1
	s_or_b32 exec_lo, exec_lo, s9
	s_waitcnt lgkmcnt(0)
	v_add_nc_u32_e32 v3, v26, v3
	s_add_i32 s16, s16, -1
	s_delay_alu instid0(SALU_CYCLE_1) | instskip(SKIP_3) | instid1(VALU_DEP_1)
	s_cmp_eq_u32 s16, 0
	ds_bpermute_b32 v3, v18, v3
	s_waitcnt lgkmcnt(0)
	v_cndmask_b32_e32 v3, v3, v26, vcc_lo
	v_cndmask_b32_e64 v3, v3, 0, s7
	s_delay_alu instid0(VALU_DEP_1) | instskip(NEXT) | instid1(VALU_DEP_1)
	v_add_nc_u32_e32 v4, v3, v4
	v_add_nc_u32_e32 v5, v4, v5
	s_delay_alu instid0(VALU_DEP_1) | instskip(NEXT) | instid1(VALU_DEP_1)
	v_add_nc_u32_e32 v6, v5, v6
	v_add_nc_u32_e32 v26, v6, v7
	;; [unrolled: 3-line block ×3, first 2 shown]
	s_delay_alu instid0(VALU_DEP_1)
	v_add_nc_u32_e32 v1, v0, v2
	ds_store_2addr_b64 v15, v[3:4], v[5:6] offset0:5 offset1:6
	ds_store_2addr_b64 v16, v[26:27], v[0:1] offset0:2 offset1:3
	s_waitcnt lgkmcnt(0)
	s_barrier
	buffer_gl0_inv
	ds_load_b32 v0, v25
	v_lshlrev_b32_e32 v1, 3, v24
	s_waitcnt lgkmcnt(0)
	s_barrier
	buffer_gl0_inv
	v_lshl_add_u32 v0, v0, 3, v1
	ds_store_b64 v0, v[13:14]
	s_waitcnt lgkmcnt(0)
	s_barrier
	buffer_gl0_inv
	ds_load_b64 v[13:14], v23
	s_cbranch_scc1 .LBB176_66
.LBB176_2:                              ; =>This Inner Loop Header: Depth=1
	s_waitcnt lgkmcnt(0)
	s_delay_alu instid0(VALU_DEP_1)
	v_and_b32_e32 v0, 1, v14
	v_lshlrev_b32_e32 v1, 30, v14
	v_lshlrev_b32_e32 v2, 29, v14
	;; [unrolled: 1-line block ×4, first 2 shown]
	v_add_co_u32 v0, s9, v0, -1
	s_delay_alu instid0(VALU_DEP_1)
	v_cndmask_b32_e64 v3, 0, 1, s9
	v_not_b32_e32 v7, v1
	v_cmp_gt_i32_e64 s10, 0, v1
	v_not_b32_e32 v1, v2
	v_lshlrev_b32_e32 v6, 26, v14
	v_cmp_ne_u32_e64 s9, 0, v3
	v_ashrrev_i32_e32 v7, 31, v7
	v_lshlrev_b32_e32 v3, 25, v14
	v_ashrrev_i32_e32 v1, 31, v1
	v_cmp_gt_i32_e64 s11, 0, v5
	v_xor_b32_e32 v0, s9, v0
	v_cmp_gt_i32_e64 s9, 0, v2
	v_not_b32_e32 v2, v4
	v_xor_b32_e32 v7, s10, v7
	v_cmp_gt_i32_e64 s10, 0, v4
	v_and_b32_e32 v0, exec_lo, v0
	v_xor_b32_e32 v1, s9, v1
	v_ashrrev_i32_e32 v2, 31, v2
	v_not_b32_e32 v4, v5
	v_not_b32_e32 v5, v6
	v_and_b32_e32 v0, v0, v7
	v_cmp_gt_i32_e64 s9, 0, v6
	v_xor_b32_e32 v2, s10, v2
	v_not_b32_e32 v6, v3
	ds_store_2addr_b64 v15, v[11:12], v[9:10] offset0:5 offset1:6
	ds_store_2addr_b64 v16, v[11:12], v[9:10] offset0:2 offset1:3
	v_and_b32_e32 v0, v0, v1
	v_ashrrev_i32_e32 v1, 31, v4
	v_ashrrev_i32_e32 v4, 31, v5
	v_lshlrev_b32_e32 v5, 24, v14
	s_waitcnt lgkmcnt(0)
	v_and_b32_e32 v0, v0, v2
	v_xor_b32_e32 v1, s11, v1
	v_xor_b32_e32 v2, s9, v4
	v_cmp_gt_i32_e64 s9, 0, v3
	v_not_b32_e32 v3, v5
	v_ashrrev_i32_e32 v4, 31, v6
	v_and_b32_e32 v0, v0, v1
	v_cmp_gt_i32_e64 s10, 0, v5
	s_barrier
	v_ashrrev_i32_e32 v1, 31, v3
	v_xor_b32_e32 v3, s9, v4
	v_and_b32_e32 v0, v0, v2
	buffer_gl0_inv
	v_xor_b32_e32 v1, s10, v1
	; wave barrier
	v_and_b32_e32 v0, v0, v3
	s_delay_alu instid0(VALU_DEP_1) | instskip(SKIP_1) | instid1(VALU_DEP_2)
	v_and_b32_e32 v0, v0, v1
	v_and_b32_e32 v1, 0xff, v14
	v_mbcnt_lo_u32_b32 v24, v0, 0
	s_delay_alu instid0(VALU_DEP_2) | instskip(SKIP_1) | instid1(VALU_DEP_3)
	v_mad_u32_u24 v1, v1, 10, v22
	v_cmp_ne_u32_e64 s10, 0, v0
	v_cmp_eq_u32_e64 s9, 0, v24
	s_delay_alu instid0(VALU_DEP_3) | instskip(NEXT) | instid1(VALU_DEP_2)
	v_lshl_add_u32 v25, v1, 2, 40
	s_and_b32 s10, s10, s9
	s_delay_alu instid0(SALU_CYCLE_1)
	s_and_saveexec_b32 s9, s10
	s_cbranch_execz .LBB176_4
; %bb.3:                                ;   in Loop: Header=BB176_2 Depth=1
	v_bcnt_u32_b32 v0, v0, 0
	ds_store_b32 v25, v0
.LBB176_4:                              ;   in Loop: Header=BB176_2 Depth=1
	s_or_b32 exec_lo, exec_lo, s9
	; wave barrier
	s_waitcnt lgkmcnt(0)
	s_barrier
	buffer_gl0_inv
	ds_load_2addr_b64 v[4:7], v15 offset0:5 offset1:6
	ds_load_2addr_b64 v[0:3], v16 offset0:2 offset1:3
	s_waitcnt lgkmcnt(1)
	v_add_nc_u32_e32 v26, v5, v4
	s_delay_alu instid0(VALU_DEP_1) | instskip(SKIP_1) | instid1(VALU_DEP_1)
	v_add3_u32 v26, v26, v6, v7
	s_waitcnt lgkmcnt(0)
	v_add3_u32 v26, v26, v0, v1
	s_delay_alu instid0(VALU_DEP_1) | instskip(NEXT) | instid1(VALU_DEP_1)
	v_add3_u32 v3, v26, v2, v3
	v_mov_b32_dpp v26, v3 row_shr:1 row_mask:0xf bank_mask:0xf
	s_delay_alu instid0(VALU_DEP_1) | instskip(NEXT) | instid1(VALU_DEP_1)
	v_cndmask_b32_e64 v26, v26, 0, s0
	v_add_nc_u32_e32 v3, v26, v3
	s_delay_alu instid0(VALU_DEP_1) | instskip(NEXT) | instid1(VALU_DEP_1)
	v_mov_b32_dpp v26, v3 row_shr:2 row_mask:0xf bank_mask:0xf
	v_cndmask_b32_e64 v26, 0, v26, s1
	s_delay_alu instid0(VALU_DEP_1) | instskip(NEXT) | instid1(VALU_DEP_1)
	v_add_nc_u32_e32 v3, v3, v26
	v_mov_b32_dpp v26, v3 row_shr:4 row_mask:0xf bank_mask:0xf
	s_delay_alu instid0(VALU_DEP_1) | instskip(NEXT) | instid1(VALU_DEP_1)
	v_cndmask_b32_e64 v26, 0, v26, s2
	v_add_nc_u32_e32 v3, v3, v26
	s_delay_alu instid0(VALU_DEP_1) | instskip(NEXT) | instid1(VALU_DEP_1)
	v_mov_b32_dpp v26, v3 row_shr:8 row_mask:0xf bank_mask:0xf
	v_cndmask_b32_e64 v26, 0, v26, s3
	s_delay_alu instid0(VALU_DEP_1) | instskip(SKIP_3) | instid1(VALU_DEP_1)
	v_add_nc_u32_e32 v3, v3, v26
	ds_swizzle_b32 v26, v3 offset:swizzle(BROADCAST,32,15)
	s_waitcnt lgkmcnt(0)
	v_cndmask_b32_e64 v26, v26, 0, s4
	v_add_nc_u32_e32 v3, v3, v26
	s_and_saveexec_b32 s9, s8
	s_cbranch_execz .LBB176_6
; %bb.5:                                ;   in Loop: Header=BB176_2 Depth=1
	ds_store_b32 v17, v3
.LBB176_6:                              ;   in Loop: Header=BB176_2 Depth=1
	s_or_b32 exec_lo, exec_lo, s9
	s_waitcnt lgkmcnt(0)
	s_barrier
	buffer_gl0_inv
	s_and_saveexec_b32 s9, s5
	s_cbranch_execz .LBB176_8
; %bb.7:                                ;   in Loop: Header=BB176_2 Depth=1
	ds_load_b32 v26, v19
	s_waitcnt lgkmcnt(0)
	v_mov_b32_dpp v27, v26 row_shr:1 row_mask:0xf bank_mask:0xf
	s_delay_alu instid0(VALU_DEP_1) | instskip(NEXT) | instid1(VALU_DEP_1)
	v_cndmask_b32_e64 v27, v27, 0, s0
	v_add_nc_u32_e32 v26, v27, v26
	s_delay_alu instid0(VALU_DEP_1) | instskip(NEXT) | instid1(VALU_DEP_1)
	v_mov_b32_dpp v27, v26 row_shr:2 row_mask:0xf bank_mask:0xf
	v_cndmask_b32_e64 v27, 0, v27, s1
	s_delay_alu instid0(VALU_DEP_1) | instskip(NEXT) | instid1(VALU_DEP_1)
	v_add_nc_u32_e32 v26, v26, v27
	v_mov_b32_dpp v27, v26 row_shr:4 row_mask:0xf bank_mask:0xf
	s_delay_alu instid0(VALU_DEP_1) | instskip(NEXT) | instid1(VALU_DEP_1)
	v_cndmask_b32_e64 v27, 0, v27, s2
	v_add_nc_u32_e32 v26, v26, v27
	s_delay_alu instid0(VALU_DEP_1) | instskip(NEXT) | instid1(VALU_DEP_1)
	v_mov_b32_dpp v27, v26 row_shr:8 row_mask:0xf bank_mask:0xf
	v_cndmask_b32_e64 v27, 0, v27, s3
	s_delay_alu instid0(VALU_DEP_1)
	v_add_nc_u32_e32 v26, v26, v27
	ds_store_b32 v19, v26
.LBB176_8:                              ;   in Loop: Header=BB176_2 Depth=1
	s_or_b32 exec_lo, exec_lo, s9
	v_mov_b32_e32 v26, 0
	s_waitcnt lgkmcnt(0)
	s_barrier
	buffer_gl0_inv
	s_and_saveexec_b32 s9, s6
	s_cbranch_execz .LBB176_10
; %bb.9:                                ;   in Loop: Header=BB176_2 Depth=1
	ds_load_b32 v26, v20
.LBB176_10:                             ;   in Loop: Header=BB176_2 Depth=1
	s_or_b32 exec_lo, exec_lo, s9
	s_waitcnt lgkmcnt(0)
	v_add_nc_u32_e32 v3, v26, v3
	ds_bpermute_b32 v3, v18, v3
	s_waitcnt lgkmcnt(0)
	v_cndmask_b32_e32 v3, v3, v26, vcc_lo
	s_delay_alu instid0(VALU_DEP_1) | instskip(NEXT) | instid1(VALU_DEP_1)
	v_cndmask_b32_e64 v3, v3, 0, s7
	v_add_nc_u32_e32 v4, v3, v4
	s_delay_alu instid0(VALU_DEP_1) | instskip(NEXT) | instid1(VALU_DEP_1)
	v_add_nc_u32_e32 v5, v4, v5
	v_add_nc_u32_e32 v6, v5, v6
	s_delay_alu instid0(VALU_DEP_1) | instskip(NEXT) | instid1(VALU_DEP_1)
	v_add_nc_u32_e32 v26, v6, v7
	;; [unrolled: 3-line block ×3, first 2 shown]
	v_add_nc_u32_e32 v1, v0, v2
	ds_store_2addr_b64 v15, v[3:4], v[5:6] offset0:5 offset1:6
	ds_store_2addr_b64 v16, v[26:27], v[0:1] offset0:2 offset1:3
	s_waitcnt lgkmcnt(0)
	s_barrier
	buffer_gl0_inv
	ds_load_b32 v0, v25
	v_lshlrev_b32_e32 v1, 3, v24
	s_waitcnt lgkmcnt(0)
	s_barrier
	buffer_gl0_inv
	v_lshl_add_u32 v0, v0, 3, v1
	ds_store_b64 v0, v[13:14]
	s_waitcnt lgkmcnt(0)
	s_barrier
	buffer_gl0_inv
	ds_load_b64 v[13:14], v21
	s_waitcnt lgkmcnt(0)
	s_barrier
	buffer_gl0_inv
	ds_store_2addr_b64 v15, v[11:12], v[9:10] offset0:5 offset1:6
	ds_store_2addr_b64 v16, v[11:12], v[9:10] offset0:2 offset1:3
	s_waitcnt lgkmcnt(0)
	s_barrier
	buffer_gl0_inv
	; wave barrier
	v_bfe_u32 v0, v14, 8, 1
	v_lshrrev_b32_e32 v1, 8, v14
	s_delay_alu instid0(VALU_DEP_2) | instskip(NEXT) | instid1(VALU_DEP_1)
	v_add_co_u32 v0, s9, v0, -1
	v_cndmask_b32_e64 v2, 0, 1, s9
	s_delay_alu instid0(VALU_DEP_3)
	v_lshlrev_b32_e32 v3, 30, v1
	v_lshlrev_b32_e32 v4, 29, v1
	v_lshlrev_b32_e32 v5, 28, v1
	v_lshlrev_b32_e32 v6, 27, v1
	v_cmp_ne_u32_e64 s9, 0, v2
	v_not_b32_e32 v2, v3
	v_cmp_gt_i32_e64 s10, 0, v3
	v_not_b32_e32 v3, v4
	v_lshlrev_b32_e32 v7, 26, v1
	v_xor_b32_e32 v0, s9, v0
	v_ashrrev_i32_e32 v2, 31, v2
	v_cmp_gt_i32_e64 s9, 0, v4
	v_not_b32_e32 v4, v5
	v_ashrrev_i32_e32 v3, 31, v3
	v_and_b32_e32 v0, exec_lo, v0
	v_xor_b32_e32 v2, s10, v2
	v_cmp_gt_i32_e64 s10, 0, v5
	v_not_b32_e32 v5, v6
	v_ashrrev_i32_e32 v4, 31, v4
	v_xor_b32_e32 v3, s9, v3
	v_and_b32_e32 v0, v0, v2
	v_lshlrev_b32_e32 v24, 25, v1
	v_cmp_gt_i32_e64 s9, 0, v6
	v_not_b32_e32 v2, v7
	v_ashrrev_i32_e32 v5, 31, v5
	v_xor_b32_e32 v4, s10, v4
	v_and_b32_e32 v0, v0, v3
	v_lshlrev_b32_e32 v1, 24, v1
	v_cmp_gt_i32_e64 s10, 0, v7
	v_not_b32_e32 v3, v24
	v_ashrrev_i32_e32 v2, 31, v2
	v_xor_b32_e32 v5, s9, v5
	v_and_b32_e32 v0, v0, v4
	v_cmp_gt_i32_e64 s9, 0, v24
	v_not_b32_e32 v4, v1
	v_ashrrev_i32_e32 v3, 31, v3
	v_xor_b32_e32 v2, s10, v2
	v_and_b32_e32 v0, v0, v5
	v_cmp_gt_i32_e64 s10, 0, v1
	v_ashrrev_i32_e32 v1, 31, v4
	v_xor_b32_e32 v3, s9, v3
	s_delay_alu instid0(VALU_DEP_4) | instskip(NEXT) | instid1(VALU_DEP_3)
	v_and_b32_e32 v0, v0, v2
	v_xor_b32_e32 v1, s10, v1
	s_delay_alu instid0(VALU_DEP_2) | instskip(NEXT) | instid1(VALU_DEP_1)
	v_and_b32_e32 v0, v0, v3
	v_and_b32_e32 v0, v0, v1
	v_bfe_u32 v1, v14, 8, 8
	s_delay_alu instid0(VALU_DEP_2) | instskip(NEXT) | instid1(VALU_DEP_2)
	v_mbcnt_lo_u32_b32 v24, v0, 0
	v_mad_u32_u24 v1, v1, 10, v22
	v_cmp_ne_u32_e64 s10, 0, v0
	s_delay_alu instid0(VALU_DEP_3) | instskip(NEXT) | instid1(VALU_DEP_3)
	v_cmp_eq_u32_e64 s9, 0, v24
	v_lshl_add_u32 v25, v1, 2, 40
	s_delay_alu instid0(VALU_DEP_2) | instskip(NEXT) | instid1(SALU_CYCLE_1)
	s_and_b32 s10, s10, s9
	s_and_saveexec_b32 s9, s10
	s_cbranch_execz .LBB176_12
; %bb.11:                               ;   in Loop: Header=BB176_2 Depth=1
	v_bcnt_u32_b32 v0, v0, 0
	ds_store_b32 v25, v0
.LBB176_12:                             ;   in Loop: Header=BB176_2 Depth=1
	s_or_b32 exec_lo, exec_lo, s9
	; wave barrier
	s_waitcnt lgkmcnt(0)
	s_barrier
	buffer_gl0_inv
	ds_load_2addr_b64 v[4:7], v15 offset0:5 offset1:6
	ds_load_2addr_b64 v[0:3], v16 offset0:2 offset1:3
	s_waitcnt lgkmcnt(1)
	v_add_nc_u32_e32 v26, v5, v4
	s_delay_alu instid0(VALU_DEP_1) | instskip(SKIP_1) | instid1(VALU_DEP_1)
	v_add3_u32 v26, v26, v6, v7
	s_waitcnt lgkmcnt(0)
	v_add3_u32 v26, v26, v0, v1
	s_delay_alu instid0(VALU_DEP_1) | instskip(NEXT) | instid1(VALU_DEP_1)
	v_add3_u32 v3, v26, v2, v3
	v_mov_b32_dpp v26, v3 row_shr:1 row_mask:0xf bank_mask:0xf
	s_delay_alu instid0(VALU_DEP_1) | instskip(NEXT) | instid1(VALU_DEP_1)
	v_cndmask_b32_e64 v26, v26, 0, s0
	v_add_nc_u32_e32 v3, v26, v3
	s_delay_alu instid0(VALU_DEP_1) | instskip(NEXT) | instid1(VALU_DEP_1)
	v_mov_b32_dpp v26, v3 row_shr:2 row_mask:0xf bank_mask:0xf
	v_cndmask_b32_e64 v26, 0, v26, s1
	s_delay_alu instid0(VALU_DEP_1) | instskip(NEXT) | instid1(VALU_DEP_1)
	v_add_nc_u32_e32 v3, v3, v26
	v_mov_b32_dpp v26, v3 row_shr:4 row_mask:0xf bank_mask:0xf
	s_delay_alu instid0(VALU_DEP_1) | instskip(NEXT) | instid1(VALU_DEP_1)
	v_cndmask_b32_e64 v26, 0, v26, s2
	v_add_nc_u32_e32 v3, v3, v26
	s_delay_alu instid0(VALU_DEP_1) | instskip(NEXT) | instid1(VALU_DEP_1)
	v_mov_b32_dpp v26, v3 row_shr:8 row_mask:0xf bank_mask:0xf
	v_cndmask_b32_e64 v26, 0, v26, s3
	s_delay_alu instid0(VALU_DEP_1) | instskip(SKIP_3) | instid1(VALU_DEP_1)
	v_add_nc_u32_e32 v3, v3, v26
	ds_swizzle_b32 v26, v3 offset:swizzle(BROADCAST,32,15)
	s_waitcnt lgkmcnt(0)
	v_cndmask_b32_e64 v26, v26, 0, s4
	v_add_nc_u32_e32 v3, v3, v26
	s_and_saveexec_b32 s9, s8
	s_cbranch_execz .LBB176_14
; %bb.13:                               ;   in Loop: Header=BB176_2 Depth=1
	ds_store_b32 v17, v3
.LBB176_14:                             ;   in Loop: Header=BB176_2 Depth=1
	s_or_b32 exec_lo, exec_lo, s9
	s_waitcnt lgkmcnt(0)
	s_barrier
	buffer_gl0_inv
	s_and_saveexec_b32 s9, s5
	s_cbranch_execz .LBB176_16
; %bb.15:                               ;   in Loop: Header=BB176_2 Depth=1
	ds_load_b32 v26, v19
	s_waitcnt lgkmcnt(0)
	v_mov_b32_dpp v27, v26 row_shr:1 row_mask:0xf bank_mask:0xf
	s_delay_alu instid0(VALU_DEP_1) | instskip(NEXT) | instid1(VALU_DEP_1)
	v_cndmask_b32_e64 v27, v27, 0, s0
	v_add_nc_u32_e32 v26, v27, v26
	s_delay_alu instid0(VALU_DEP_1) | instskip(NEXT) | instid1(VALU_DEP_1)
	v_mov_b32_dpp v27, v26 row_shr:2 row_mask:0xf bank_mask:0xf
	v_cndmask_b32_e64 v27, 0, v27, s1
	s_delay_alu instid0(VALU_DEP_1) | instskip(NEXT) | instid1(VALU_DEP_1)
	v_add_nc_u32_e32 v26, v26, v27
	v_mov_b32_dpp v27, v26 row_shr:4 row_mask:0xf bank_mask:0xf
	s_delay_alu instid0(VALU_DEP_1) | instskip(NEXT) | instid1(VALU_DEP_1)
	v_cndmask_b32_e64 v27, 0, v27, s2
	v_add_nc_u32_e32 v26, v26, v27
	s_delay_alu instid0(VALU_DEP_1) | instskip(NEXT) | instid1(VALU_DEP_1)
	v_mov_b32_dpp v27, v26 row_shr:8 row_mask:0xf bank_mask:0xf
	v_cndmask_b32_e64 v27, 0, v27, s3
	s_delay_alu instid0(VALU_DEP_1)
	v_add_nc_u32_e32 v26, v26, v27
	ds_store_b32 v19, v26
.LBB176_16:                             ;   in Loop: Header=BB176_2 Depth=1
	s_or_b32 exec_lo, exec_lo, s9
	v_mov_b32_e32 v26, 0
	s_waitcnt lgkmcnt(0)
	s_barrier
	buffer_gl0_inv
	s_and_saveexec_b32 s9, s6
	s_cbranch_execz .LBB176_18
; %bb.17:                               ;   in Loop: Header=BB176_2 Depth=1
	ds_load_b32 v26, v20
.LBB176_18:                             ;   in Loop: Header=BB176_2 Depth=1
	s_or_b32 exec_lo, exec_lo, s9
	s_waitcnt lgkmcnt(0)
	v_add_nc_u32_e32 v3, v26, v3
	ds_bpermute_b32 v3, v18, v3
	s_waitcnt lgkmcnt(0)
	v_cndmask_b32_e32 v3, v3, v26, vcc_lo
	s_delay_alu instid0(VALU_DEP_1) | instskip(NEXT) | instid1(VALU_DEP_1)
	v_cndmask_b32_e64 v3, v3, 0, s7
	v_add_nc_u32_e32 v4, v3, v4
	s_delay_alu instid0(VALU_DEP_1) | instskip(NEXT) | instid1(VALU_DEP_1)
	v_add_nc_u32_e32 v5, v4, v5
	v_add_nc_u32_e32 v6, v5, v6
	s_delay_alu instid0(VALU_DEP_1) | instskip(NEXT) | instid1(VALU_DEP_1)
	v_add_nc_u32_e32 v26, v6, v7
	;; [unrolled: 3-line block ×3, first 2 shown]
	v_add_nc_u32_e32 v1, v0, v2
	ds_store_2addr_b64 v15, v[3:4], v[5:6] offset0:5 offset1:6
	ds_store_2addr_b64 v16, v[26:27], v[0:1] offset0:2 offset1:3
	s_waitcnt lgkmcnt(0)
	s_barrier
	buffer_gl0_inv
	ds_load_b32 v0, v25
	v_lshlrev_b32_e32 v1, 3, v24
	s_waitcnt lgkmcnt(0)
	s_barrier
	buffer_gl0_inv
	v_lshl_add_u32 v0, v0, 3, v1
	ds_store_b64 v0, v[13:14]
	s_waitcnt lgkmcnt(0)
	s_barrier
	buffer_gl0_inv
	ds_load_b64 v[13:14], v21
	s_waitcnt lgkmcnt(0)
	s_barrier
	buffer_gl0_inv
	v_bfe_u32 v0, v14, 16, 1
	v_lshrrev_b32_e32 v1, 16, v14
	s_delay_alu instid0(VALU_DEP_2) | instskip(NEXT) | instid1(VALU_DEP_1)
	v_add_co_u32 v0, s9, v0, -1
	v_cndmask_b32_e64 v2, 0, 1, s9
	s_delay_alu instid0(VALU_DEP_3)
	v_lshlrev_b32_e32 v3, 30, v1
	v_lshlrev_b32_e32 v4, 29, v1
	;; [unrolled: 1-line block ×4, first 2 shown]
	v_cmp_ne_u32_e64 s9, 0, v2
	v_not_b32_e32 v2, v3
	v_cmp_gt_i32_e64 s10, 0, v3
	v_not_b32_e32 v3, v4
	v_lshlrev_b32_e32 v7, 26, v1
	v_xor_b32_e32 v0, s9, v0
	v_ashrrev_i32_e32 v2, 31, v2
	v_cmp_gt_i32_e64 s9, 0, v4
	v_not_b32_e32 v4, v5
	v_ashrrev_i32_e32 v3, 31, v3
	v_and_b32_e32 v0, exec_lo, v0
	v_xor_b32_e32 v2, s10, v2
	v_cmp_gt_i32_e64 s10, 0, v5
	v_not_b32_e32 v5, v6
	v_ashrrev_i32_e32 v4, 31, v4
	v_xor_b32_e32 v3, s9, v3
	v_and_b32_e32 v0, v0, v2
	v_lshlrev_b32_e32 v24, 25, v1
	v_cmp_gt_i32_e64 s9, 0, v6
	v_not_b32_e32 v2, v7
	v_ashrrev_i32_e32 v5, 31, v5
	v_xor_b32_e32 v4, s10, v4
	v_and_b32_e32 v0, v0, v3
	v_lshlrev_b32_e32 v1, 24, v1
	v_cmp_gt_i32_e64 s10, 0, v7
	v_not_b32_e32 v3, v24
	v_ashrrev_i32_e32 v2, 31, v2
	v_xor_b32_e32 v5, s9, v5
	v_and_b32_e32 v0, v0, v4
	v_cmp_gt_i32_e64 s9, 0, v24
	v_not_b32_e32 v4, v1
	v_ashrrev_i32_e32 v3, 31, v3
	v_xor_b32_e32 v2, s10, v2
	v_and_b32_e32 v0, v0, v5
	v_cmp_gt_i32_e64 s10, 0, v1
	v_ashrrev_i32_e32 v1, 31, v4
	v_xor_b32_e32 v3, s9, v3
	s_delay_alu instid0(VALU_DEP_4) | instskip(NEXT) | instid1(VALU_DEP_3)
	v_and_b32_e32 v0, v0, v2
	v_xor_b32_e32 v5, s10, v1
	v_dual_mov_b32 v1, s20 :: v_dual_mov_b32 v2, s21
	s_delay_alu instid0(VALU_DEP_3)
	v_dual_mov_b32 v3, s14 :: v_dual_and_b32 v0, v0, v3
	v_mov_b32_e32 v4, s15
	ds_store_2addr_b64 v15, v[1:2], v[3:4] offset0:5 offset1:6
	ds_store_2addr_b64 v16, v[1:2], v[3:4] offset0:2 offset1:3
	v_and_b32_e32 v0, v0, v5
	v_bfe_u32 v5, v14, 16, 8
	s_waitcnt lgkmcnt(0)
	s_barrier
	buffer_gl0_inv
	v_mbcnt_lo_u32_b32 v24, v0, 0
	v_mad_u32_u24 v1, v5, 10, v22
	v_cmp_ne_u32_e64 s10, 0, v0
	; wave barrier
	s_delay_alu instid0(VALU_DEP_3) | instskip(NEXT) | instid1(VALU_DEP_3)
	v_cmp_eq_u32_e64 s9, 0, v24
	v_lshl_add_u32 v25, v1, 2, 40
	s_delay_alu instid0(VALU_DEP_2) | instskip(NEXT) | instid1(SALU_CYCLE_1)
	s_and_b32 s10, s10, s9
	s_and_saveexec_b32 s9, s10
	s_cbranch_execz .LBB176_20
; %bb.19:                               ;   in Loop: Header=BB176_2 Depth=1
	v_bcnt_u32_b32 v0, v0, 0
	ds_store_b32 v25, v0
.LBB176_20:                             ;   in Loop: Header=BB176_2 Depth=1
	s_or_b32 exec_lo, exec_lo, s9
	; wave barrier
	s_waitcnt lgkmcnt(0)
	s_barrier
	buffer_gl0_inv
	ds_load_2addr_b64 v[4:7], v15 offset0:5 offset1:6
	ds_load_2addr_b64 v[0:3], v16 offset0:2 offset1:3
	s_waitcnt lgkmcnt(1)
	v_add_nc_u32_e32 v26, v5, v4
	s_delay_alu instid0(VALU_DEP_1) | instskip(SKIP_1) | instid1(VALU_DEP_1)
	v_add3_u32 v26, v26, v6, v7
	s_waitcnt lgkmcnt(0)
	v_add3_u32 v26, v26, v0, v1
	s_delay_alu instid0(VALU_DEP_1) | instskip(NEXT) | instid1(VALU_DEP_1)
	v_add3_u32 v3, v26, v2, v3
	v_mov_b32_dpp v26, v3 row_shr:1 row_mask:0xf bank_mask:0xf
	s_delay_alu instid0(VALU_DEP_1) | instskip(NEXT) | instid1(VALU_DEP_1)
	v_cndmask_b32_e64 v26, v26, 0, s0
	v_add_nc_u32_e32 v3, v26, v3
	s_delay_alu instid0(VALU_DEP_1) | instskip(NEXT) | instid1(VALU_DEP_1)
	v_mov_b32_dpp v26, v3 row_shr:2 row_mask:0xf bank_mask:0xf
	v_cndmask_b32_e64 v26, 0, v26, s1
	s_delay_alu instid0(VALU_DEP_1) | instskip(NEXT) | instid1(VALU_DEP_1)
	v_add_nc_u32_e32 v3, v3, v26
	v_mov_b32_dpp v26, v3 row_shr:4 row_mask:0xf bank_mask:0xf
	s_delay_alu instid0(VALU_DEP_1) | instskip(NEXT) | instid1(VALU_DEP_1)
	v_cndmask_b32_e64 v26, 0, v26, s2
	v_add_nc_u32_e32 v3, v3, v26
	s_delay_alu instid0(VALU_DEP_1) | instskip(NEXT) | instid1(VALU_DEP_1)
	v_mov_b32_dpp v26, v3 row_shr:8 row_mask:0xf bank_mask:0xf
	v_cndmask_b32_e64 v26, 0, v26, s3
	s_delay_alu instid0(VALU_DEP_1) | instskip(SKIP_3) | instid1(VALU_DEP_1)
	v_add_nc_u32_e32 v3, v3, v26
	ds_swizzle_b32 v26, v3 offset:swizzle(BROADCAST,32,15)
	s_waitcnt lgkmcnt(0)
	v_cndmask_b32_e64 v26, v26, 0, s4
	v_add_nc_u32_e32 v3, v3, v26
	s_and_saveexec_b32 s9, s8
	s_cbranch_execz .LBB176_22
; %bb.21:                               ;   in Loop: Header=BB176_2 Depth=1
	ds_store_b32 v17, v3
.LBB176_22:                             ;   in Loop: Header=BB176_2 Depth=1
	s_or_b32 exec_lo, exec_lo, s9
	s_waitcnt lgkmcnt(0)
	s_barrier
	buffer_gl0_inv
	s_and_saveexec_b32 s9, s5
	s_cbranch_execz .LBB176_24
; %bb.23:                               ;   in Loop: Header=BB176_2 Depth=1
	ds_load_b32 v26, v19
	s_waitcnt lgkmcnt(0)
	v_mov_b32_dpp v27, v26 row_shr:1 row_mask:0xf bank_mask:0xf
	s_delay_alu instid0(VALU_DEP_1) | instskip(NEXT) | instid1(VALU_DEP_1)
	v_cndmask_b32_e64 v27, v27, 0, s0
	v_add_nc_u32_e32 v26, v27, v26
	s_delay_alu instid0(VALU_DEP_1) | instskip(NEXT) | instid1(VALU_DEP_1)
	v_mov_b32_dpp v27, v26 row_shr:2 row_mask:0xf bank_mask:0xf
	v_cndmask_b32_e64 v27, 0, v27, s1
	s_delay_alu instid0(VALU_DEP_1) | instskip(NEXT) | instid1(VALU_DEP_1)
	v_add_nc_u32_e32 v26, v26, v27
	v_mov_b32_dpp v27, v26 row_shr:4 row_mask:0xf bank_mask:0xf
	s_delay_alu instid0(VALU_DEP_1) | instskip(NEXT) | instid1(VALU_DEP_1)
	v_cndmask_b32_e64 v27, 0, v27, s2
	v_add_nc_u32_e32 v26, v26, v27
	s_delay_alu instid0(VALU_DEP_1) | instskip(NEXT) | instid1(VALU_DEP_1)
	v_mov_b32_dpp v27, v26 row_shr:8 row_mask:0xf bank_mask:0xf
	v_cndmask_b32_e64 v27, 0, v27, s3
	s_delay_alu instid0(VALU_DEP_1)
	v_add_nc_u32_e32 v26, v26, v27
	ds_store_b32 v19, v26
.LBB176_24:                             ;   in Loop: Header=BB176_2 Depth=1
	s_or_b32 exec_lo, exec_lo, s9
	v_mov_b32_e32 v26, 0
	s_waitcnt lgkmcnt(0)
	s_barrier
	buffer_gl0_inv
	s_and_saveexec_b32 s9, s6
	s_cbranch_execz .LBB176_26
; %bb.25:                               ;   in Loop: Header=BB176_2 Depth=1
	ds_load_b32 v26, v20
.LBB176_26:                             ;   in Loop: Header=BB176_2 Depth=1
	s_or_b32 exec_lo, exec_lo, s9
	s_waitcnt lgkmcnt(0)
	v_add_nc_u32_e32 v3, v26, v3
	ds_bpermute_b32 v3, v18, v3
	s_waitcnt lgkmcnt(0)
	v_cndmask_b32_e32 v3, v3, v26, vcc_lo
	s_delay_alu instid0(VALU_DEP_1) | instskip(NEXT) | instid1(VALU_DEP_1)
	v_cndmask_b32_e64 v3, v3, 0, s7
	v_add_nc_u32_e32 v4, v3, v4
	s_delay_alu instid0(VALU_DEP_1) | instskip(NEXT) | instid1(VALU_DEP_1)
	v_add_nc_u32_e32 v5, v4, v5
	v_add_nc_u32_e32 v6, v5, v6
	s_delay_alu instid0(VALU_DEP_1) | instskip(NEXT) | instid1(VALU_DEP_1)
	v_add_nc_u32_e32 v26, v6, v7
	v_add_nc_u32_e32 v27, v26, v0
	s_delay_alu instid0(VALU_DEP_1) | instskip(NEXT) | instid1(VALU_DEP_1)
	v_add_nc_u32_e32 v0, v27, v1
	v_add_nc_u32_e32 v1, v0, v2
	ds_store_2addr_b64 v15, v[3:4], v[5:6] offset0:5 offset1:6
	ds_store_2addr_b64 v16, v[26:27], v[0:1] offset0:2 offset1:3
	s_waitcnt lgkmcnt(0)
	s_barrier
	buffer_gl0_inv
	ds_load_b32 v0, v25
	v_lshlrev_b32_e32 v1, 3, v24
	s_waitcnt lgkmcnt(0)
	s_barrier
	buffer_gl0_inv
	v_lshl_add_u32 v0, v0, 3, v1
	ds_store_b64 v0, v[13:14]
	s_waitcnt lgkmcnt(0)
	s_barrier
	buffer_gl0_inv
	ds_load_b64 v[13:14], v21
	s_waitcnt lgkmcnt(0)
	s_barrier
	buffer_gl0_inv
	v_bfe_u32 v0, v14, 24, 1
	v_lshrrev_b32_e32 v5, 24, v14
	s_delay_alu instid0(VALU_DEP_2) | instskip(NEXT) | instid1(VALU_DEP_1)
	v_add_co_u32 v0, s9, v0, -1
	v_cndmask_b32_e64 v1, 0, 1, s9
	s_delay_alu instid0(VALU_DEP_3)
	v_lshlrev_b32_e32 v2, 30, v5
	v_lshlrev_b32_e32 v3, 29, v5
	;; [unrolled: 1-line block ×4, first 2 shown]
	v_cmp_ne_u32_e64 s9, 0, v1
	v_not_b32_e32 v1, v2
	v_cmp_gt_i32_e64 s10, 0, v2
	v_not_b32_e32 v2, v3
	v_lshlrev_b32_e32 v7, 26, v5
	v_xor_b32_e32 v0, s9, v0
	v_ashrrev_i32_e32 v1, 31, v1
	v_cmp_gt_i32_e64 s9, 0, v3
	v_not_b32_e32 v3, v4
	v_ashrrev_i32_e32 v2, 31, v2
	v_and_b32_e32 v0, exec_lo, v0
	v_xor_b32_e32 v1, s10, v1
	v_cmp_gt_i32_e64 s10, 0, v4
	v_not_b32_e32 v4, v6
	v_ashrrev_i32_e32 v3, 31, v3
	v_xor_b32_e32 v2, s9, v2
	v_and_b32_e32 v0, v0, v1
	v_lshlrev_b32_e32 v24, 25, v5
	v_cmp_gt_i32_e64 s9, 0, v6
	v_not_b32_e32 v1, v7
	v_ashrrev_i32_e32 v4, 31, v4
	v_xor_b32_e32 v3, s10, v3
	v_and_b32_e32 v0, v0, v2
	v_cmp_gt_i32_e64 s10, 0, v7
	v_not_b32_e32 v2, v24
	v_ashrrev_i32_e32 v1, 31, v1
	v_xor_b32_e32 v4, s9, v4
	v_and_b32_e32 v0, v0, v3
	v_not_b32_e32 v3, v14
	v_cmp_gt_i32_e64 s9, 0, v24
	v_ashrrev_i32_e32 v2, 31, v2
	v_xor_b32_e32 v1, s10, v1
	v_and_b32_e32 v0, v0, v4
	v_cmp_gt_i32_e64 s10, 0, v14
	v_ashrrev_i32_e32 v3, 31, v3
	v_xor_b32_e32 v2, s9, v2
	s_delay_alu instid0(VALU_DEP_4) | instskip(NEXT) | instid1(VALU_DEP_3)
	v_and_b32_e32 v0, v0, v1
	v_xor_b32_e32 v3, s10, v3
	s_delay_alu instid0(VALU_DEP_2) | instskip(SKIP_1) | instid1(VALU_DEP_2)
	v_dual_mov_b32 v1, s20 :: v_dual_and_b32 v0, v0, v2
	v_mov_b32_e32 v2, s21
	v_dual_mov_b32 v3, s14 :: v_dual_and_b32 v0, v0, v3
	v_mov_b32_e32 v4, s15
	ds_store_2addr_b64 v15, v[1:2], v[3:4] offset0:5 offset1:6
	ds_store_2addr_b64 v16, v[1:2], v[3:4] offset0:2 offset1:3
	v_mbcnt_lo_u32_b32 v24, v0, 0
	v_mad_u32_u24 v1, v5, 10, v22
	v_cmp_ne_u32_e64 s10, 0, v0
	s_waitcnt lgkmcnt(0)
	s_barrier
	v_cmp_eq_u32_e64 s9, 0, v24
	v_lshl_add_u32 v25, v1, 2, 40
	buffer_gl0_inv
	; wave barrier
	s_and_b32 s10, s10, s9
	s_delay_alu instid0(SALU_CYCLE_1)
	s_and_saveexec_b32 s9, s10
	s_cbranch_execz .LBB176_28
; %bb.27:                               ;   in Loop: Header=BB176_2 Depth=1
	v_bcnt_u32_b32 v0, v0, 0
	ds_store_b32 v25, v0
.LBB176_28:                             ;   in Loop: Header=BB176_2 Depth=1
	s_or_b32 exec_lo, exec_lo, s9
	; wave barrier
	s_waitcnt lgkmcnt(0)
	s_barrier
	buffer_gl0_inv
	ds_load_2addr_b64 v[4:7], v15 offset0:5 offset1:6
	ds_load_2addr_b64 v[0:3], v16 offset0:2 offset1:3
	s_waitcnt lgkmcnt(1)
	v_add_nc_u32_e32 v26, v5, v4
	s_delay_alu instid0(VALU_DEP_1) | instskip(SKIP_1) | instid1(VALU_DEP_1)
	v_add3_u32 v26, v26, v6, v7
	s_waitcnt lgkmcnt(0)
	v_add3_u32 v26, v26, v0, v1
	s_delay_alu instid0(VALU_DEP_1) | instskip(NEXT) | instid1(VALU_DEP_1)
	v_add3_u32 v3, v26, v2, v3
	v_mov_b32_dpp v26, v3 row_shr:1 row_mask:0xf bank_mask:0xf
	s_delay_alu instid0(VALU_DEP_1) | instskip(NEXT) | instid1(VALU_DEP_1)
	v_cndmask_b32_e64 v26, v26, 0, s0
	v_add_nc_u32_e32 v3, v26, v3
	s_delay_alu instid0(VALU_DEP_1) | instskip(NEXT) | instid1(VALU_DEP_1)
	v_mov_b32_dpp v26, v3 row_shr:2 row_mask:0xf bank_mask:0xf
	v_cndmask_b32_e64 v26, 0, v26, s1
	s_delay_alu instid0(VALU_DEP_1) | instskip(NEXT) | instid1(VALU_DEP_1)
	v_add_nc_u32_e32 v3, v3, v26
	v_mov_b32_dpp v26, v3 row_shr:4 row_mask:0xf bank_mask:0xf
	s_delay_alu instid0(VALU_DEP_1) | instskip(NEXT) | instid1(VALU_DEP_1)
	v_cndmask_b32_e64 v26, 0, v26, s2
	v_add_nc_u32_e32 v3, v3, v26
	s_delay_alu instid0(VALU_DEP_1) | instskip(NEXT) | instid1(VALU_DEP_1)
	v_mov_b32_dpp v26, v3 row_shr:8 row_mask:0xf bank_mask:0xf
	v_cndmask_b32_e64 v26, 0, v26, s3
	s_delay_alu instid0(VALU_DEP_1) | instskip(SKIP_3) | instid1(VALU_DEP_1)
	v_add_nc_u32_e32 v3, v3, v26
	ds_swizzle_b32 v26, v3 offset:swizzle(BROADCAST,32,15)
	s_waitcnt lgkmcnt(0)
	v_cndmask_b32_e64 v26, v26, 0, s4
	v_add_nc_u32_e32 v3, v3, v26
	s_and_saveexec_b32 s9, s8
	s_cbranch_execz .LBB176_30
; %bb.29:                               ;   in Loop: Header=BB176_2 Depth=1
	ds_store_b32 v17, v3
.LBB176_30:                             ;   in Loop: Header=BB176_2 Depth=1
	s_or_b32 exec_lo, exec_lo, s9
	s_waitcnt lgkmcnt(0)
	s_barrier
	buffer_gl0_inv
	s_and_saveexec_b32 s9, s5
	s_cbranch_execz .LBB176_32
; %bb.31:                               ;   in Loop: Header=BB176_2 Depth=1
	ds_load_b32 v26, v19
	s_waitcnt lgkmcnt(0)
	v_mov_b32_dpp v27, v26 row_shr:1 row_mask:0xf bank_mask:0xf
	s_delay_alu instid0(VALU_DEP_1) | instskip(NEXT) | instid1(VALU_DEP_1)
	v_cndmask_b32_e64 v27, v27, 0, s0
	v_add_nc_u32_e32 v26, v27, v26
	s_delay_alu instid0(VALU_DEP_1) | instskip(NEXT) | instid1(VALU_DEP_1)
	v_mov_b32_dpp v27, v26 row_shr:2 row_mask:0xf bank_mask:0xf
	v_cndmask_b32_e64 v27, 0, v27, s1
	s_delay_alu instid0(VALU_DEP_1) | instskip(NEXT) | instid1(VALU_DEP_1)
	v_add_nc_u32_e32 v26, v26, v27
	v_mov_b32_dpp v27, v26 row_shr:4 row_mask:0xf bank_mask:0xf
	s_delay_alu instid0(VALU_DEP_1) | instskip(NEXT) | instid1(VALU_DEP_1)
	v_cndmask_b32_e64 v27, 0, v27, s2
	v_add_nc_u32_e32 v26, v26, v27
	s_delay_alu instid0(VALU_DEP_1) | instskip(NEXT) | instid1(VALU_DEP_1)
	v_mov_b32_dpp v27, v26 row_shr:8 row_mask:0xf bank_mask:0xf
	v_cndmask_b32_e64 v27, 0, v27, s3
	s_delay_alu instid0(VALU_DEP_1)
	v_add_nc_u32_e32 v26, v26, v27
	ds_store_b32 v19, v26
.LBB176_32:                             ;   in Loop: Header=BB176_2 Depth=1
	s_or_b32 exec_lo, exec_lo, s9
	v_mov_b32_e32 v26, 0
	s_waitcnt lgkmcnt(0)
	s_barrier
	buffer_gl0_inv
	s_and_saveexec_b32 s9, s6
	s_cbranch_execz .LBB176_34
; %bb.33:                               ;   in Loop: Header=BB176_2 Depth=1
	ds_load_b32 v26, v20
.LBB176_34:                             ;   in Loop: Header=BB176_2 Depth=1
	s_or_b32 exec_lo, exec_lo, s9
	s_waitcnt lgkmcnt(0)
	v_add_nc_u32_e32 v3, v26, v3
	ds_bpermute_b32 v3, v18, v3
	s_waitcnt lgkmcnt(0)
	v_cndmask_b32_e32 v3, v3, v26, vcc_lo
	s_delay_alu instid0(VALU_DEP_1) | instskip(NEXT) | instid1(VALU_DEP_1)
	v_cndmask_b32_e64 v3, v3, 0, s7
	v_add_nc_u32_e32 v4, v3, v4
	s_delay_alu instid0(VALU_DEP_1) | instskip(NEXT) | instid1(VALU_DEP_1)
	v_add_nc_u32_e32 v5, v4, v5
	v_add_nc_u32_e32 v6, v5, v6
	s_delay_alu instid0(VALU_DEP_1) | instskip(NEXT) | instid1(VALU_DEP_1)
	v_add_nc_u32_e32 v26, v6, v7
	v_add_nc_u32_e32 v27, v26, v0
	s_delay_alu instid0(VALU_DEP_1) | instskip(NEXT) | instid1(VALU_DEP_1)
	v_add_nc_u32_e32 v0, v27, v1
	v_add_nc_u32_e32 v1, v0, v2
	ds_store_2addr_b64 v15, v[3:4], v[5:6] offset0:5 offset1:6
	ds_store_2addr_b64 v16, v[26:27], v[0:1] offset0:2 offset1:3
	s_waitcnt lgkmcnt(0)
	s_barrier
	buffer_gl0_inv
	ds_load_b32 v0, v25
	v_lshlrev_b32_e32 v1, 3, v24
	s_waitcnt lgkmcnt(0)
	s_barrier
	buffer_gl0_inv
	v_lshl_add_u32 v0, v0, 3, v1
	ds_store_b64 v0, v[13:14]
	s_waitcnt lgkmcnt(0)
	s_barrier
	buffer_gl0_inv
	ds_load_b64 v[13:14], v21
	s_waitcnt lgkmcnt(0)
	s_barrier
	buffer_gl0_inv
	v_and_b32_e32 v0, 1, v13
	v_lshlrev_b32_e32 v1, 30, v13
	v_lshlrev_b32_e32 v2, 29, v13
	;; [unrolled: 1-line block ×4, first 2 shown]
	v_add_co_u32 v0, s9, v0, -1
	s_delay_alu instid0(VALU_DEP_1)
	v_cndmask_b32_e64 v4, 0, 1, s9
	v_not_b32_e32 v24, v1
	v_cmp_gt_i32_e64 s10, 0, v1
	v_not_b32_e32 v1, v2
	v_lshlrev_b32_e32 v6, 26, v13
	v_cmp_ne_u32_e64 s9, 0, v4
	v_ashrrev_i32_e32 v24, 31, v24
	v_lshlrev_b32_e32 v7, 25, v13
	v_ashrrev_i32_e32 v1, 31, v1
	v_lshlrev_b32_e32 v4, 24, v13
	v_xor_b32_e32 v0, s9, v0
	v_cmp_gt_i32_e64 s9, 0, v2
	v_not_b32_e32 v2, v3
	v_xor_b32_e32 v24, s10, v24
	v_cmp_gt_i32_e64 s10, 0, v3
	v_and_b32_e32 v0, exec_lo, v0
	v_not_b32_e32 v3, v5
	v_ashrrev_i32_e32 v2, 31, v2
	v_xor_b32_e32 v1, s9, v1
	v_cmp_gt_i32_e64 s9, 0, v5
	v_and_b32_e32 v0, v0, v24
	v_not_b32_e32 v5, v6
	v_ashrrev_i32_e32 v3, 31, v3
	v_xor_b32_e32 v2, s10, v2
	v_cmp_gt_i32_e64 s10, 0, v6
	v_and_b32_e32 v0, v0, v1
	;; [unrolled: 5-line block ×3, first 2 shown]
	v_not_b32_e32 v2, v4
	v_ashrrev_i32_e32 v1, 31, v1
	v_xor_b32_e32 v5, s10, v5
	v_cmp_gt_i32_e64 s10, 0, v4
	v_dual_mov_b32 v3, s14 :: v_dual_and_b32 v0, v0, v3
	v_ashrrev_i32_e32 v2, 31, v2
	v_xor_b32_e32 v1, s9, v1
	v_mov_b32_e32 v4, s15
	s_delay_alu instid0(VALU_DEP_4) | instskip(NEXT) | instid1(VALU_DEP_4)
	v_and_b32_e32 v0, v0, v5
	v_xor_b32_e32 v5, s10, v2
	s_delay_alu instid0(VALU_DEP_2)
	v_dual_mov_b32 v1, s20 :: v_dual_and_b32 v0, v0, v1
	v_mov_b32_e32 v2, s21
	ds_store_2addr_b64 v15, v[1:2], v[3:4] offset0:5 offset1:6
	ds_store_2addr_b64 v16, v[1:2], v[3:4] offset0:2 offset1:3
	v_and_b32_e32 v0, v0, v5
	v_and_b32_e32 v5, 0xff, v13
	s_waitcnt lgkmcnt(0)
	s_barrier
	buffer_gl0_inv
	v_mbcnt_lo_u32_b32 v24, v0, 0
	v_mad_u32_u24 v1, v5, 10, v22
	v_cmp_ne_u32_e64 s10, 0, v0
	; wave barrier
	s_delay_alu instid0(VALU_DEP_3) | instskip(NEXT) | instid1(VALU_DEP_3)
	v_cmp_eq_u32_e64 s9, 0, v24
	v_lshl_add_u32 v25, v1, 2, 40
	s_delay_alu instid0(VALU_DEP_2) | instskip(NEXT) | instid1(SALU_CYCLE_1)
	s_and_b32 s10, s10, s9
	s_and_saveexec_b32 s9, s10
	s_cbranch_execz .LBB176_36
; %bb.35:                               ;   in Loop: Header=BB176_2 Depth=1
	v_bcnt_u32_b32 v0, v0, 0
	ds_store_b32 v25, v0
.LBB176_36:                             ;   in Loop: Header=BB176_2 Depth=1
	s_or_b32 exec_lo, exec_lo, s9
	; wave barrier
	s_waitcnt lgkmcnt(0)
	s_barrier
	buffer_gl0_inv
	ds_load_2addr_b64 v[4:7], v15 offset0:5 offset1:6
	ds_load_2addr_b64 v[0:3], v16 offset0:2 offset1:3
	s_waitcnt lgkmcnt(1)
	v_add_nc_u32_e32 v26, v5, v4
	s_delay_alu instid0(VALU_DEP_1) | instskip(SKIP_1) | instid1(VALU_DEP_1)
	v_add3_u32 v26, v26, v6, v7
	s_waitcnt lgkmcnt(0)
	v_add3_u32 v26, v26, v0, v1
	s_delay_alu instid0(VALU_DEP_1) | instskip(NEXT) | instid1(VALU_DEP_1)
	v_add3_u32 v3, v26, v2, v3
	v_mov_b32_dpp v26, v3 row_shr:1 row_mask:0xf bank_mask:0xf
	s_delay_alu instid0(VALU_DEP_1) | instskip(NEXT) | instid1(VALU_DEP_1)
	v_cndmask_b32_e64 v26, v26, 0, s0
	v_add_nc_u32_e32 v3, v26, v3
	s_delay_alu instid0(VALU_DEP_1) | instskip(NEXT) | instid1(VALU_DEP_1)
	v_mov_b32_dpp v26, v3 row_shr:2 row_mask:0xf bank_mask:0xf
	v_cndmask_b32_e64 v26, 0, v26, s1
	s_delay_alu instid0(VALU_DEP_1) | instskip(NEXT) | instid1(VALU_DEP_1)
	v_add_nc_u32_e32 v3, v3, v26
	v_mov_b32_dpp v26, v3 row_shr:4 row_mask:0xf bank_mask:0xf
	s_delay_alu instid0(VALU_DEP_1) | instskip(NEXT) | instid1(VALU_DEP_1)
	v_cndmask_b32_e64 v26, 0, v26, s2
	v_add_nc_u32_e32 v3, v3, v26
	s_delay_alu instid0(VALU_DEP_1) | instskip(NEXT) | instid1(VALU_DEP_1)
	v_mov_b32_dpp v26, v3 row_shr:8 row_mask:0xf bank_mask:0xf
	v_cndmask_b32_e64 v26, 0, v26, s3
	s_delay_alu instid0(VALU_DEP_1) | instskip(SKIP_3) | instid1(VALU_DEP_1)
	v_add_nc_u32_e32 v3, v3, v26
	ds_swizzle_b32 v26, v3 offset:swizzle(BROADCAST,32,15)
	s_waitcnt lgkmcnt(0)
	v_cndmask_b32_e64 v26, v26, 0, s4
	v_add_nc_u32_e32 v3, v3, v26
	s_and_saveexec_b32 s9, s8
	s_cbranch_execz .LBB176_38
; %bb.37:                               ;   in Loop: Header=BB176_2 Depth=1
	ds_store_b32 v17, v3
.LBB176_38:                             ;   in Loop: Header=BB176_2 Depth=1
	s_or_b32 exec_lo, exec_lo, s9
	s_waitcnt lgkmcnt(0)
	s_barrier
	buffer_gl0_inv
	s_and_saveexec_b32 s9, s5
	s_cbranch_execz .LBB176_40
; %bb.39:                               ;   in Loop: Header=BB176_2 Depth=1
	ds_load_b32 v26, v19
	s_waitcnt lgkmcnt(0)
	v_mov_b32_dpp v27, v26 row_shr:1 row_mask:0xf bank_mask:0xf
	s_delay_alu instid0(VALU_DEP_1) | instskip(NEXT) | instid1(VALU_DEP_1)
	v_cndmask_b32_e64 v27, v27, 0, s0
	v_add_nc_u32_e32 v26, v27, v26
	s_delay_alu instid0(VALU_DEP_1) | instskip(NEXT) | instid1(VALU_DEP_1)
	v_mov_b32_dpp v27, v26 row_shr:2 row_mask:0xf bank_mask:0xf
	v_cndmask_b32_e64 v27, 0, v27, s1
	s_delay_alu instid0(VALU_DEP_1) | instskip(NEXT) | instid1(VALU_DEP_1)
	v_add_nc_u32_e32 v26, v26, v27
	v_mov_b32_dpp v27, v26 row_shr:4 row_mask:0xf bank_mask:0xf
	s_delay_alu instid0(VALU_DEP_1) | instskip(NEXT) | instid1(VALU_DEP_1)
	v_cndmask_b32_e64 v27, 0, v27, s2
	v_add_nc_u32_e32 v26, v26, v27
	s_delay_alu instid0(VALU_DEP_1) | instskip(NEXT) | instid1(VALU_DEP_1)
	v_mov_b32_dpp v27, v26 row_shr:8 row_mask:0xf bank_mask:0xf
	v_cndmask_b32_e64 v27, 0, v27, s3
	s_delay_alu instid0(VALU_DEP_1)
	v_add_nc_u32_e32 v26, v26, v27
	ds_store_b32 v19, v26
.LBB176_40:                             ;   in Loop: Header=BB176_2 Depth=1
	s_or_b32 exec_lo, exec_lo, s9
	v_mov_b32_e32 v26, 0
	s_waitcnt lgkmcnt(0)
	s_barrier
	buffer_gl0_inv
	s_and_saveexec_b32 s9, s6
	s_cbranch_execz .LBB176_42
; %bb.41:                               ;   in Loop: Header=BB176_2 Depth=1
	ds_load_b32 v26, v20
.LBB176_42:                             ;   in Loop: Header=BB176_2 Depth=1
	s_or_b32 exec_lo, exec_lo, s9
	s_waitcnt lgkmcnt(0)
	v_add_nc_u32_e32 v3, v26, v3
	ds_bpermute_b32 v3, v18, v3
	s_waitcnt lgkmcnt(0)
	v_cndmask_b32_e32 v3, v3, v26, vcc_lo
	s_delay_alu instid0(VALU_DEP_1) | instskip(NEXT) | instid1(VALU_DEP_1)
	v_cndmask_b32_e64 v3, v3, 0, s7
	v_add_nc_u32_e32 v4, v3, v4
	s_delay_alu instid0(VALU_DEP_1) | instskip(NEXT) | instid1(VALU_DEP_1)
	v_add_nc_u32_e32 v5, v4, v5
	v_add_nc_u32_e32 v6, v5, v6
	s_delay_alu instid0(VALU_DEP_1) | instskip(NEXT) | instid1(VALU_DEP_1)
	v_add_nc_u32_e32 v26, v6, v7
	;; [unrolled: 3-line block ×3, first 2 shown]
	v_add_nc_u32_e32 v1, v0, v2
	ds_store_2addr_b64 v15, v[3:4], v[5:6] offset0:5 offset1:6
	ds_store_2addr_b64 v16, v[26:27], v[0:1] offset0:2 offset1:3
	s_waitcnt lgkmcnt(0)
	s_barrier
	buffer_gl0_inv
	ds_load_b32 v0, v25
	v_lshlrev_b32_e32 v1, 3, v24
	s_waitcnt lgkmcnt(0)
	s_barrier
	buffer_gl0_inv
	v_lshl_add_u32 v0, v0, 3, v1
	ds_store_b64 v0, v[13:14]
	s_waitcnt lgkmcnt(0)
	s_barrier
	buffer_gl0_inv
	ds_load_b64 v[13:14], v21
	s_waitcnt lgkmcnt(0)
	s_barrier
	buffer_gl0_inv
	v_bfe_u32 v0, v13, 8, 1
	v_lshrrev_b32_e32 v1, 8, v13
	s_delay_alu instid0(VALU_DEP_2) | instskip(NEXT) | instid1(VALU_DEP_1)
	v_add_co_u32 v0, s9, v0, -1
	v_cndmask_b32_e64 v2, 0, 1, s9
	s_delay_alu instid0(VALU_DEP_3)
	v_lshlrev_b32_e32 v3, 30, v1
	v_lshlrev_b32_e32 v4, 29, v1
	;; [unrolled: 1-line block ×4, first 2 shown]
	v_cmp_ne_u32_e64 s9, 0, v2
	v_not_b32_e32 v2, v3
	v_cmp_gt_i32_e64 s10, 0, v3
	v_not_b32_e32 v3, v4
	v_lshlrev_b32_e32 v7, 26, v1
	v_xor_b32_e32 v0, s9, v0
	v_ashrrev_i32_e32 v2, 31, v2
	v_cmp_gt_i32_e64 s9, 0, v4
	v_not_b32_e32 v4, v5
	v_ashrrev_i32_e32 v3, 31, v3
	v_and_b32_e32 v0, exec_lo, v0
	v_xor_b32_e32 v2, s10, v2
	v_cmp_gt_i32_e64 s10, 0, v5
	v_not_b32_e32 v5, v6
	v_ashrrev_i32_e32 v4, 31, v4
	v_xor_b32_e32 v3, s9, v3
	v_and_b32_e32 v0, v0, v2
	v_lshlrev_b32_e32 v24, 25, v1
	v_cmp_gt_i32_e64 s9, 0, v6
	v_not_b32_e32 v2, v7
	v_ashrrev_i32_e32 v5, 31, v5
	v_xor_b32_e32 v4, s10, v4
	v_and_b32_e32 v0, v0, v3
	v_lshlrev_b32_e32 v1, 24, v1
	v_cmp_gt_i32_e64 s10, 0, v7
	v_not_b32_e32 v3, v24
	v_ashrrev_i32_e32 v2, 31, v2
	v_xor_b32_e32 v5, s9, v5
	v_and_b32_e32 v0, v0, v4
	v_cmp_gt_i32_e64 s9, 0, v24
	v_not_b32_e32 v4, v1
	v_ashrrev_i32_e32 v3, 31, v3
	v_xor_b32_e32 v2, s10, v2
	v_and_b32_e32 v0, v0, v5
	v_cmp_gt_i32_e64 s10, 0, v1
	v_ashrrev_i32_e32 v1, 31, v4
	v_xor_b32_e32 v3, s9, v3
	s_delay_alu instid0(VALU_DEP_4) | instskip(NEXT) | instid1(VALU_DEP_3)
	v_and_b32_e32 v0, v0, v2
	v_xor_b32_e32 v5, s10, v1
	v_dual_mov_b32 v1, s20 :: v_dual_mov_b32 v2, s21
	s_delay_alu instid0(VALU_DEP_3)
	v_dual_mov_b32 v3, s14 :: v_dual_and_b32 v0, v0, v3
	v_mov_b32_e32 v4, s15
	ds_store_2addr_b64 v15, v[1:2], v[3:4] offset0:5 offset1:6
	ds_store_2addr_b64 v16, v[1:2], v[3:4] offset0:2 offset1:3
	v_and_b32_e32 v0, v0, v5
	v_bfe_u32 v5, v13, 8, 8
	s_waitcnt lgkmcnt(0)
	s_barrier
	buffer_gl0_inv
	v_mbcnt_lo_u32_b32 v24, v0, 0
	v_mad_u32_u24 v1, v5, 10, v22
	v_cmp_ne_u32_e64 s10, 0, v0
	; wave barrier
	s_delay_alu instid0(VALU_DEP_3) | instskip(NEXT) | instid1(VALU_DEP_3)
	v_cmp_eq_u32_e64 s9, 0, v24
	v_lshl_add_u32 v25, v1, 2, 40
	s_delay_alu instid0(VALU_DEP_2) | instskip(NEXT) | instid1(SALU_CYCLE_1)
	s_and_b32 s10, s10, s9
	s_and_saveexec_b32 s9, s10
	s_cbranch_execz .LBB176_44
; %bb.43:                               ;   in Loop: Header=BB176_2 Depth=1
	v_bcnt_u32_b32 v0, v0, 0
	ds_store_b32 v25, v0
.LBB176_44:                             ;   in Loop: Header=BB176_2 Depth=1
	s_or_b32 exec_lo, exec_lo, s9
	; wave barrier
	s_waitcnt lgkmcnt(0)
	s_barrier
	buffer_gl0_inv
	ds_load_2addr_b64 v[4:7], v15 offset0:5 offset1:6
	ds_load_2addr_b64 v[0:3], v16 offset0:2 offset1:3
	s_waitcnt lgkmcnt(1)
	v_add_nc_u32_e32 v26, v5, v4
	s_delay_alu instid0(VALU_DEP_1) | instskip(SKIP_1) | instid1(VALU_DEP_1)
	v_add3_u32 v26, v26, v6, v7
	s_waitcnt lgkmcnt(0)
	v_add3_u32 v26, v26, v0, v1
	s_delay_alu instid0(VALU_DEP_1) | instskip(NEXT) | instid1(VALU_DEP_1)
	v_add3_u32 v3, v26, v2, v3
	v_mov_b32_dpp v26, v3 row_shr:1 row_mask:0xf bank_mask:0xf
	s_delay_alu instid0(VALU_DEP_1) | instskip(NEXT) | instid1(VALU_DEP_1)
	v_cndmask_b32_e64 v26, v26, 0, s0
	v_add_nc_u32_e32 v3, v26, v3
	s_delay_alu instid0(VALU_DEP_1) | instskip(NEXT) | instid1(VALU_DEP_1)
	v_mov_b32_dpp v26, v3 row_shr:2 row_mask:0xf bank_mask:0xf
	v_cndmask_b32_e64 v26, 0, v26, s1
	s_delay_alu instid0(VALU_DEP_1) | instskip(NEXT) | instid1(VALU_DEP_1)
	v_add_nc_u32_e32 v3, v3, v26
	v_mov_b32_dpp v26, v3 row_shr:4 row_mask:0xf bank_mask:0xf
	s_delay_alu instid0(VALU_DEP_1) | instskip(NEXT) | instid1(VALU_DEP_1)
	v_cndmask_b32_e64 v26, 0, v26, s2
	v_add_nc_u32_e32 v3, v3, v26
	s_delay_alu instid0(VALU_DEP_1) | instskip(NEXT) | instid1(VALU_DEP_1)
	v_mov_b32_dpp v26, v3 row_shr:8 row_mask:0xf bank_mask:0xf
	v_cndmask_b32_e64 v26, 0, v26, s3
	s_delay_alu instid0(VALU_DEP_1) | instskip(SKIP_3) | instid1(VALU_DEP_1)
	v_add_nc_u32_e32 v3, v3, v26
	ds_swizzle_b32 v26, v3 offset:swizzle(BROADCAST,32,15)
	s_waitcnt lgkmcnt(0)
	v_cndmask_b32_e64 v26, v26, 0, s4
	v_add_nc_u32_e32 v3, v3, v26
	s_and_saveexec_b32 s9, s8
	s_cbranch_execz .LBB176_46
; %bb.45:                               ;   in Loop: Header=BB176_2 Depth=1
	ds_store_b32 v17, v3
.LBB176_46:                             ;   in Loop: Header=BB176_2 Depth=1
	s_or_b32 exec_lo, exec_lo, s9
	s_waitcnt lgkmcnt(0)
	s_barrier
	buffer_gl0_inv
	s_and_saveexec_b32 s9, s5
	s_cbranch_execz .LBB176_48
; %bb.47:                               ;   in Loop: Header=BB176_2 Depth=1
	ds_load_b32 v26, v19
	s_waitcnt lgkmcnt(0)
	v_mov_b32_dpp v27, v26 row_shr:1 row_mask:0xf bank_mask:0xf
	s_delay_alu instid0(VALU_DEP_1) | instskip(NEXT) | instid1(VALU_DEP_1)
	v_cndmask_b32_e64 v27, v27, 0, s0
	v_add_nc_u32_e32 v26, v27, v26
	s_delay_alu instid0(VALU_DEP_1) | instskip(NEXT) | instid1(VALU_DEP_1)
	v_mov_b32_dpp v27, v26 row_shr:2 row_mask:0xf bank_mask:0xf
	v_cndmask_b32_e64 v27, 0, v27, s1
	s_delay_alu instid0(VALU_DEP_1) | instskip(NEXT) | instid1(VALU_DEP_1)
	v_add_nc_u32_e32 v26, v26, v27
	v_mov_b32_dpp v27, v26 row_shr:4 row_mask:0xf bank_mask:0xf
	s_delay_alu instid0(VALU_DEP_1) | instskip(NEXT) | instid1(VALU_DEP_1)
	v_cndmask_b32_e64 v27, 0, v27, s2
	v_add_nc_u32_e32 v26, v26, v27
	s_delay_alu instid0(VALU_DEP_1) | instskip(NEXT) | instid1(VALU_DEP_1)
	v_mov_b32_dpp v27, v26 row_shr:8 row_mask:0xf bank_mask:0xf
	v_cndmask_b32_e64 v27, 0, v27, s3
	s_delay_alu instid0(VALU_DEP_1)
	v_add_nc_u32_e32 v26, v26, v27
	ds_store_b32 v19, v26
.LBB176_48:                             ;   in Loop: Header=BB176_2 Depth=1
	s_or_b32 exec_lo, exec_lo, s9
	v_mov_b32_e32 v26, 0
	s_waitcnt lgkmcnt(0)
	s_barrier
	buffer_gl0_inv
	s_and_saveexec_b32 s9, s6
	s_cbranch_execz .LBB176_50
; %bb.49:                               ;   in Loop: Header=BB176_2 Depth=1
	ds_load_b32 v26, v20
.LBB176_50:                             ;   in Loop: Header=BB176_2 Depth=1
	s_or_b32 exec_lo, exec_lo, s9
	s_waitcnt lgkmcnt(0)
	v_add_nc_u32_e32 v3, v26, v3
	ds_bpermute_b32 v3, v18, v3
	s_waitcnt lgkmcnt(0)
	v_cndmask_b32_e32 v3, v3, v26, vcc_lo
	s_delay_alu instid0(VALU_DEP_1) | instskip(NEXT) | instid1(VALU_DEP_1)
	v_cndmask_b32_e64 v3, v3, 0, s7
	v_add_nc_u32_e32 v4, v3, v4
	s_delay_alu instid0(VALU_DEP_1) | instskip(NEXT) | instid1(VALU_DEP_1)
	v_add_nc_u32_e32 v5, v4, v5
	v_add_nc_u32_e32 v6, v5, v6
	s_delay_alu instid0(VALU_DEP_1) | instskip(NEXT) | instid1(VALU_DEP_1)
	v_add_nc_u32_e32 v26, v6, v7
	;; [unrolled: 3-line block ×3, first 2 shown]
	v_add_nc_u32_e32 v1, v0, v2
	ds_store_2addr_b64 v15, v[3:4], v[5:6] offset0:5 offset1:6
	ds_store_2addr_b64 v16, v[26:27], v[0:1] offset0:2 offset1:3
	s_waitcnt lgkmcnt(0)
	s_barrier
	buffer_gl0_inv
	ds_load_b32 v0, v25
	v_lshlrev_b32_e32 v1, 3, v24
	s_waitcnt lgkmcnt(0)
	s_barrier
	buffer_gl0_inv
	v_lshl_add_u32 v0, v0, 3, v1
	ds_store_b64 v0, v[13:14]
	s_waitcnt lgkmcnt(0)
	s_barrier
	buffer_gl0_inv
	ds_load_b64 v[13:14], v21
	s_waitcnt lgkmcnt(0)
	s_barrier
	buffer_gl0_inv
	v_bfe_u32 v0, v13, 16, 1
	v_lshrrev_b32_e32 v1, 16, v13
	s_delay_alu instid0(VALU_DEP_2) | instskip(NEXT) | instid1(VALU_DEP_1)
	v_add_co_u32 v0, s9, v0, -1
	v_cndmask_b32_e64 v2, 0, 1, s9
	s_delay_alu instid0(VALU_DEP_3)
	v_lshlrev_b32_e32 v3, 30, v1
	v_lshlrev_b32_e32 v4, 29, v1
	;; [unrolled: 1-line block ×4, first 2 shown]
	v_cmp_ne_u32_e64 s9, 0, v2
	v_not_b32_e32 v2, v3
	v_cmp_gt_i32_e64 s10, 0, v3
	v_not_b32_e32 v3, v4
	v_lshlrev_b32_e32 v7, 26, v1
	v_xor_b32_e32 v0, s9, v0
	v_ashrrev_i32_e32 v2, 31, v2
	v_cmp_gt_i32_e64 s9, 0, v4
	v_not_b32_e32 v4, v5
	v_ashrrev_i32_e32 v3, 31, v3
	v_and_b32_e32 v0, exec_lo, v0
	v_xor_b32_e32 v2, s10, v2
	v_cmp_gt_i32_e64 s10, 0, v5
	v_not_b32_e32 v5, v6
	v_ashrrev_i32_e32 v4, 31, v4
	v_xor_b32_e32 v3, s9, v3
	v_and_b32_e32 v0, v0, v2
	v_lshlrev_b32_e32 v24, 25, v1
	v_cmp_gt_i32_e64 s9, 0, v6
	v_not_b32_e32 v2, v7
	v_ashrrev_i32_e32 v5, 31, v5
	v_xor_b32_e32 v4, s10, v4
	v_and_b32_e32 v0, v0, v3
	v_lshlrev_b32_e32 v1, 24, v1
	v_cmp_gt_i32_e64 s10, 0, v7
	v_not_b32_e32 v3, v24
	v_ashrrev_i32_e32 v2, 31, v2
	v_xor_b32_e32 v5, s9, v5
	v_and_b32_e32 v0, v0, v4
	v_cmp_gt_i32_e64 s9, 0, v24
	v_not_b32_e32 v4, v1
	v_ashrrev_i32_e32 v3, 31, v3
	v_xor_b32_e32 v2, s10, v2
	v_and_b32_e32 v0, v0, v5
	v_cmp_gt_i32_e64 s10, 0, v1
	v_ashrrev_i32_e32 v1, 31, v4
	v_xor_b32_e32 v3, s9, v3
	s_delay_alu instid0(VALU_DEP_4) | instskip(NEXT) | instid1(VALU_DEP_3)
	v_and_b32_e32 v0, v0, v2
	v_xor_b32_e32 v5, s10, v1
	v_dual_mov_b32 v1, s20 :: v_dual_mov_b32 v2, s21
	s_delay_alu instid0(VALU_DEP_3)
	v_dual_mov_b32 v3, s14 :: v_dual_and_b32 v0, v0, v3
	v_mov_b32_e32 v4, s15
	ds_store_2addr_b64 v15, v[1:2], v[3:4] offset0:5 offset1:6
	ds_store_2addr_b64 v16, v[1:2], v[3:4] offset0:2 offset1:3
	v_and_b32_e32 v0, v0, v5
	v_bfe_u32 v5, v13, 16, 8
	s_waitcnt lgkmcnt(0)
	s_barrier
	buffer_gl0_inv
	v_mbcnt_lo_u32_b32 v24, v0, 0
	v_mad_u32_u24 v1, v5, 10, v22
	v_cmp_ne_u32_e64 s10, 0, v0
	; wave barrier
	s_delay_alu instid0(VALU_DEP_3) | instskip(NEXT) | instid1(VALU_DEP_3)
	v_cmp_eq_u32_e64 s9, 0, v24
	v_lshl_add_u32 v25, v1, 2, 40
	s_delay_alu instid0(VALU_DEP_2) | instskip(NEXT) | instid1(SALU_CYCLE_1)
	s_and_b32 s10, s10, s9
	s_and_saveexec_b32 s9, s10
	s_cbranch_execz .LBB176_52
; %bb.51:                               ;   in Loop: Header=BB176_2 Depth=1
	v_bcnt_u32_b32 v0, v0, 0
	ds_store_b32 v25, v0
.LBB176_52:                             ;   in Loop: Header=BB176_2 Depth=1
	s_or_b32 exec_lo, exec_lo, s9
	; wave barrier
	s_waitcnt lgkmcnt(0)
	s_barrier
	buffer_gl0_inv
	ds_load_2addr_b64 v[4:7], v15 offset0:5 offset1:6
	ds_load_2addr_b64 v[0:3], v16 offset0:2 offset1:3
	s_waitcnt lgkmcnt(1)
	v_add_nc_u32_e32 v26, v5, v4
	s_delay_alu instid0(VALU_DEP_1) | instskip(SKIP_1) | instid1(VALU_DEP_1)
	v_add3_u32 v26, v26, v6, v7
	s_waitcnt lgkmcnt(0)
	v_add3_u32 v26, v26, v0, v1
	s_delay_alu instid0(VALU_DEP_1) | instskip(NEXT) | instid1(VALU_DEP_1)
	v_add3_u32 v3, v26, v2, v3
	v_mov_b32_dpp v26, v3 row_shr:1 row_mask:0xf bank_mask:0xf
	s_delay_alu instid0(VALU_DEP_1) | instskip(NEXT) | instid1(VALU_DEP_1)
	v_cndmask_b32_e64 v26, v26, 0, s0
	v_add_nc_u32_e32 v3, v26, v3
	s_delay_alu instid0(VALU_DEP_1) | instskip(NEXT) | instid1(VALU_DEP_1)
	v_mov_b32_dpp v26, v3 row_shr:2 row_mask:0xf bank_mask:0xf
	v_cndmask_b32_e64 v26, 0, v26, s1
	s_delay_alu instid0(VALU_DEP_1) | instskip(NEXT) | instid1(VALU_DEP_1)
	v_add_nc_u32_e32 v3, v3, v26
	v_mov_b32_dpp v26, v3 row_shr:4 row_mask:0xf bank_mask:0xf
	s_delay_alu instid0(VALU_DEP_1) | instskip(NEXT) | instid1(VALU_DEP_1)
	v_cndmask_b32_e64 v26, 0, v26, s2
	v_add_nc_u32_e32 v3, v3, v26
	s_delay_alu instid0(VALU_DEP_1) | instskip(NEXT) | instid1(VALU_DEP_1)
	v_mov_b32_dpp v26, v3 row_shr:8 row_mask:0xf bank_mask:0xf
	v_cndmask_b32_e64 v26, 0, v26, s3
	s_delay_alu instid0(VALU_DEP_1) | instskip(SKIP_3) | instid1(VALU_DEP_1)
	v_add_nc_u32_e32 v3, v3, v26
	ds_swizzle_b32 v26, v3 offset:swizzle(BROADCAST,32,15)
	s_waitcnt lgkmcnt(0)
	v_cndmask_b32_e64 v26, v26, 0, s4
	v_add_nc_u32_e32 v3, v3, v26
	s_and_saveexec_b32 s9, s8
	s_cbranch_execz .LBB176_54
; %bb.53:                               ;   in Loop: Header=BB176_2 Depth=1
	ds_store_b32 v17, v3
.LBB176_54:                             ;   in Loop: Header=BB176_2 Depth=1
	s_or_b32 exec_lo, exec_lo, s9
	s_waitcnt lgkmcnt(0)
	s_barrier
	buffer_gl0_inv
	s_and_saveexec_b32 s9, s5
	s_cbranch_execz .LBB176_56
; %bb.55:                               ;   in Loop: Header=BB176_2 Depth=1
	ds_load_b32 v26, v19
	s_waitcnt lgkmcnt(0)
	v_mov_b32_dpp v27, v26 row_shr:1 row_mask:0xf bank_mask:0xf
	s_delay_alu instid0(VALU_DEP_1) | instskip(NEXT) | instid1(VALU_DEP_1)
	v_cndmask_b32_e64 v27, v27, 0, s0
	v_add_nc_u32_e32 v26, v27, v26
	s_delay_alu instid0(VALU_DEP_1) | instskip(NEXT) | instid1(VALU_DEP_1)
	v_mov_b32_dpp v27, v26 row_shr:2 row_mask:0xf bank_mask:0xf
	v_cndmask_b32_e64 v27, 0, v27, s1
	s_delay_alu instid0(VALU_DEP_1) | instskip(NEXT) | instid1(VALU_DEP_1)
	v_add_nc_u32_e32 v26, v26, v27
	v_mov_b32_dpp v27, v26 row_shr:4 row_mask:0xf bank_mask:0xf
	s_delay_alu instid0(VALU_DEP_1) | instskip(NEXT) | instid1(VALU_DEP_1)
	v_cndmask_b32_e64 v27, 0, v27, s2
	v_add_nc_u32_e32 v26, v26, v27
	s_delay_alu instid0(VALU_DEP_1) | instskip(NEXT) | instid1(VALU_DEP_1)
	v_mov_b32_dpp v27, v26 row_shr:8 row_mask:0xf bank_mask:0xf
	v_cndmask_b32_e64 v27, 0, v27, s3
	s_delay_alu instid0(VALU_DEP_1)
	v_add_nc_u32_e32 v26, v26, v27
	ds_store_b32 v19, v26
.LBB176_56:                             ;   in Loop: Header=BB176_2 Depth=1
	s_or_b32 exec_lo, exec_lo, s9
	v_mov_b32_e32 v26, 0
	s_waitcnt lgkmcnt(0)
	s_barrier
	buffer_gl0_inv
	s_and_saveexec_b32 s9, s6
	s_cbranch_execz .LBB176_58
; %bb.57:                               ;   in Loop: Header=BB176_2 Depth=1
	ds_load_b32 v26, v20
.LBB176_58:                             ;   in Loop: Header=BB176_2 Depth=1
	s_or_b32 exec_lo, exec_lo, s9
	s_waitcnt lgkmcnt(0)
	v_add_nc_u32_e32 v3, v26, v3
	ds_bpermute_b32 v3, v18, v3
	s_waitcnt lgkmcnt(0)
	v_cndmask_b32_e32 v3, v3, v26, vcc_lo
	s_delay_alu instid0(VALU_DEP_1) | instskip(NEXT) | instid1(VALU_DEP_1)
	v_cndmask_b32_e64 v3, v3, 0, s7
	v_add_nc_u32_e32 v4, v3, v4
	s_delay_alu instid0(VALU_DEP_1) | instskip(NEXT) | instid1(VALU_DEP_1)
	v_add_nc_u32_e32 v5, v4, v5
	v_add_nc_u32_e32 v6, v5, v6
	s_delay_alu instid0(VALU_DEP_1) | instskip(NEXT) | instid1(VALU_DEP_1)
	v_add_nc_u32_e32 v26, v6, v7
	;; [unrolled: 3-line block ×3, first 2 shown]
	v_add_nc_u32_e32 v1, v0, v2
	ds_store_2addr_b64 v15, v[3:4], v[5:6] offset0:5 offset1:6
	ds_store_2addr_b64 v16, v[26:27], v[0:1] offset0:2 offset1:3
	s_waitcnt lgkmcnt(0)
	s_barrier
	buffer_gl0_inv
	ds_load_b32 v0, v25
	v_lshlrev_b32_e32 v1, 3, v24
	s_waitcnt lgkmcnt(0)
	s_barrier
	buffer_gl0_inv
	v_lshl_add_u32 v0, v0, 3, v1
	ds_store_b64 v0, v[13:14]
	s_waitcnt lgkmcnt(0)
	s_barrier
	buffer_gl0_inv
	ds_load_b64 v[13:14], v21
	s_waitcnt lgkmcnt(0)
	s_barrier
	buffer_gl0_inv
	v_bfe_u32 v0, v13, 24, 1
	v_lshrrev_b32_e32 v5, 24, v13
	s_delay_alu instid0(VALU_DEP_2) | instskip(NEXT) | instid1(VALU_DEP_1)
	v_add_co_u32 v0, s9, v0, -1
	v_cndmask_b32_e64 v1, 0, 1, s9
	s_delay_alu instid0(VALU_DEP_3)
	v_lshlrev_b32_e32 v2, 30, v5
	v_lshlrev_b32_e32 v3, 29, v5
	;; [unrolled: 1-line block ×4, first 2 shown]
	v_cmp_ne_u32_e64 s9, 0, v1
	v_not_b32_e32 v1, v2
	v_cmp_gt_i32_e64 s10, 0, v2
	v_not_b32_e32 v2, v3
	v_lshlrev_b32_e32 v7, 26, v5
	v_xor_b32_e32 v0, s9, v0
	v_ashrrev_i32_e32 v1, 31, v1
	v_cmp_gt_i32_e64 s9, 0, v3
	v_not_b32_e32 v3, v4
	v_ashrrev_i32_e32 v2, 31, v2
	v_and_b32_e32 v0, exec_lo, v0
	v_xor_b32_e32 v1, s10, v1
	v_cmp_gt_i32_e64 s10, 0, v4
	v_not_b32_e32 v4, v6
	v_ashrrev_i32_e32 v3, 31, v3
	v_xor_b32_e32 v2, s9, v2
	v_and_b32_e32 v0, v0, v1
	v_lshlrev_b32_e32 v24, 25, v5
	v_cmp_gt_i32_e64 s9, 0, v6
	v_not_b32_e32 v1, v7
	v_ashrrev_i32_e32 v4, 31, v4
	v_xor_b32_e32 v3, s10, v3
	v_and_b32_e32 v0, v0, v2
	v_cmp_gt_i32_e64 s10, 0, v7
	v_not_b32_e32 v2, v24
	v_ashrrev_i32_e32 v1, 31, v1
	v_xor_b32_e32 v4, s9, v4
	v_and_b32_e32 v0, v0, v3
	v_not_b32_e32 v3, v13
	v_cmp_gt_i32_e64 s9, 0, v24
	v_ashrrev_i32_e32 v2, 31, v2
	v_xor_b32_e32 v1, s10, v1
	v_and_b32_e32 v0, v0, v4
	v_cmp_gt_i32_e64 s10, 0, v13
	v_ashrrev_i32_e32 v3, 31, v3
	v_xor_b32_e32 v2, s9, v2
	s_delay_alu instid0(VALU_DEP_4) | instskip(NEXT) | instid1(VALU_DEP_3)
	v_and_b32_e32 v0, v0, v1
	v_xor_b32_e32 v3, s10, v3
	s_delay_alu instid0(VALU_DEP_2) | instskip(SKIP_1) | instid1(VALU_DEP_2)
	v_dual_mov_b32 v1, s20 :: v_dual_and_b32 v0, v0, v2
	v_mov_b32_e32 v2, s21
	v_dual_mov_b32 v3, s14 :: v_dual_and_b32 v0, v0, v3
	v_mov_b32_e32 v4, s15
	ds_store_2addr_b64 v15, v[1:2], v[3:4] offset0:5 offset1:6
	ds_store_2addr_b64 v16, v[1:2], v[3:4] offset0:2 offset1:3
	v_mbcnt_lo_u32_b32 v24, v0, 0
	v_mad_u32_u24 v1, v5, 10, v22
	v_cmp_ne_u32_e64 s10, 0, v0
	s_waitcnt lgkmcnt(0)
	s_barrier
	v_cmp_eq_u32_e64 s9, 0, v24
	v_lshl_add_u32 v25, v1, 2, 40
	buffer_gl0_inv
	; wave barrier
	s_and_b32 s10, s10, s9
	s_delay_alu instid0(SALU_CYCLE_1)
	s_and_saveexec_b32 s9, s10
	s_cbranch_execz .LBB176_60
; %bb.59:                               ;   in Loop: Header=BB176_2 Depth=1
	v_bcnt_u32_b32 v0, v0, 0
	ds_store_b32 v25, v0
.LBB176_60:                             ;   in Loop: Header=BB176_2 Depth=1
	s_or_b32 exec_lo, exec_lo, s9
	; wave barrier
	s_waitcnt lgkmcnt(0)
	s_barrier
	buffer_gl0_inv
	ds_load_2addr_b64 v[4:7], v15 offset0:5 offset1:6
	ds_load_2addr_b64 v[0:3], v16 offset0:2 offset1:3
	s_waitcnt lgkmcnt(1)
	v_add_nc_u32_e32 v26, v5, v4
	s_delay_alu instid0(VALU_DEP_1) | instskip(SKIP_1) | instid1(VALU_DEP_1)
	v_add3_u32 v26, v26, v6, v7
	s_waitcnt lgkmcnt(0)
	v_add3_u32 v26, v26, v0, v1
	s_delay_alu instid0(VALU_DEP_1) | instskip(NEXT) | instid1(VALU_DEP_1)
	v_add3_u32 v3, v26, v2, v3
	v_mov_b32_dpp v26, v3 row_shr:1 row_mask:0xf bank_mask:0xf
	s_delay_alu instid0(VALU_DEP_1) | instskip(NEXT) | instid1(VALU_DEP_1)
	v_cndmask_b32_e64 v26, v26, 0, s0
	v_add_nc_u32_e32 v3, v26, v3
	s_delay_alu instid0(VALU_DEP_1) | instskip(NEXT) | instid1(VALU_DEP_1)
	v_mov_b32_dpp v26, v3 row_shr:2 row_mask:0xf bank_mask:0xf
	v_cndmask_b32_e64 v26, 0, v26, s1
	s_delay_alu instid0(VALU_DEP_1) | instskip(NEXT) | instid1(VALU_DEP_1)
	v_add_nc_u32_e32 v3, v3, v26
	v_mov_b32_dpp v26, v3 row_shr:4 row_mask:0xf bank_mask:0xf
	s_delay_alu instid0(VALU_DEP_1) | instskip(NEXT) | instid1(VALU_DEP_1)
	v_cndmask_b32_e64 v26, 0, v26, s2
	v_add_nc_u32_e32 v3, v3, v26
	s_delay_alu instid0(VALU_DEP_1) | instskip(NEXT) | instid1(VALU_DEP_1)
	v_mov_b32_dpp v26, v3 row_shr:8 row_mask:0xf bank_mask:0xf
	v_cndmask_b32_e64 v26, 0, v26, s3
	s_delay_alu instid0(VALU_DEP_1) | instskip(SKIP_3) | instid1(VALU_DEP_1)
	v_add_nc_u32_e32 v3, v3, v26
	ds_swizzle_b32 v26, v3 offset:swizzle(BROADCAST,32,15)
	s_waitcnt lgkmcnt(0)
	v_cndmask_b32_e64 v26, v26, 0, s4
	v_add_nc_u32_e32 v3, v3, v26
	s_and_saveexec_b32 s9, s8
	s_cbranch_execz .LBB176_62
; %bb.61:                               ;   in Loop: Header=BB176_2 Depth=1
	ds_store_b32 v17, v3
.LBB176_62:                             ;   in Loop: Header=BB176_2 Depth=1
	s_or_b32 exec_lo, exec_lo, s9
	s_waitcnt lgkmcnt(0)
	s_barrier
	buffer_gl0_inv
	s_and_saveexec_b32 s9, s5
	s_cbranch_execz .LBB176_64
; %bb.63:                               ;   in Loop: Header=BB176_2 Depth=1
	ds_load_b32 v26, v19
	s_waitcnt lgkmcnt(0)
	v_mov_b32_dpp v27, v26 row_shr:1 row_mask:0xf bank_mask:0xf
	s_delay_alu instid0(VALU_DEP_1) | instskip(NEXT) | instid1(VALU_DEP_1)
	v_cndmask_b32_e64 v27, v27, 0, s0
	v_add_nc_u32_e32 v26, v27, v26
	s_delay_alu instid0(VALU_DEP_1) | instskip(NEXT) | instid1(VALU_DEP_1)
	v_mov_b32_dpp v27, v26 row_shr:2 row_mask:0xf bank_mask:0xf
	v_cndmask_b32_e64 v27, 0, v27, s1
	s_delay_alu instid0(VALU_DEP_1) | instskip(NEXT) | instid1(VALU_DEP_1)
	v_add_nc_u32_e32 v26, v26, v27
	v_mov_b32_dpp v27, v26 row_shr:4 row_mask:0xf bank_mask:0xf
	s_delay_alu instid0(VALU_DEP_1) | instskip(NEXT) | instid1(VALU_DEP_1)
	v_cndmask_b32_e64 v27, 0, v27, s2
	v_add_nc_u32_e32 v26, v26, v27
	s_delay_alu instid0(VALU_DEP_1) | instskip(NEXT) | instid1(VALU_DEP_1)
	v_mov_b32_dpp v27, v26 row_shr:8 row_mask:0xf bank_mask:0xf
	v_cndmask_b32_e64 v27, 0, v27, s3
	s_delay_alu instid0(VALU_DEP_1)
	v_add_nc_u32_e32 v26, v26, v27
	ds_store_b32 v19, v26
.LBB176_64:                             ;   in Loop: Header=BB176_2 Depth=1
	s_or_b32 exec_lo, exec_lo, s9
	v_mov_b32_e32 v26, 0
	s_waitcnt lgkmcnt(0)
	s_barrier
	buffer_gl0_inv
	s_and_saveexec_b32 s9, s6
	s_cbranch_execz .LBB176_1
; %bb.65:                               ;   in Loop: Header=BB176_2 Depth=1
	ds_load_b32 v26, v20
	s_branch .LBB176_1
.LBB176_66:
	s_waitcnt lgkmcnt(0)
	v_xor_b32_e32 v1, 0x80000000, v14
	v_xor_b32_e32 v0, 0x80000000, v13
	v_lshlrev_b32_e32 v2, 3, v8
	s_add_u32 s0, s18, s12
	s_addc_u32 s1, s19, s13
	global_store_b64 v2, v[0:1], s[0:1]
	s_nop 0
	s_sendmsg sendmsg(MSG_DEALLOC_VGPRS)
	s_endpgm
	.section	.rodata,"a",@progbits
	.p2align	6, 0x0
	.amdhsa_kernel _Z16sort_keys_kernelI22helper_blocked_blockedN15benchmark_utils11custom_typeIiiEELj320ELj1ELj10EEvPKT0_PS4_
		.amdhsa_group_segment_fixed_size 10288
		.amdhsa_private_segment_fixed_size 0
		.amdhsa_kernarg_size 272
		.amdhsa_user_sgpr_count 15
		.amdhsa_user_sgpr_dispatch_ptr 0
		.amdhsa_user_sgpr_queue_ptr 0
		.amdhsa_user_sgpr_kernarg_segment_ptr 1
		.amdhsa_user_sgpr_dispatch_id 0
		.amdhsa_user_sgpr_private_segment_size 0
		.amdhsa_wavefront_size32 1
		.amdhsa_uses_dynamic_stack 0
		.amdhsa_enable_private_segment 0
		.amdhsa_system_sgpr_workgroup_id_x 1
		.amdhsa_system_sgpr_workgroup_id_y 0
		.amdhsa_system_sgpr_workgroup_id_z 0
		.amdhsa_system_sgpr_workgroup_info 0
		.amdhsa_system_vgpr_workitem_id 2
		.amdhsa_next_free_vgpr 28
		.amdhsa_next_free_sgpr 22
		.amdhsa_reserve_vcc 1
		.amdhsa_float_round_mode_32 0
		.amdhsa_float_round_mode_16_64 0
		.amdhsa_float_denorm_mode_32 3
		.amdhsa_float_denorm_mode_16_64 3
		.amdhsa_dx10_clamp 1
		.amdhsa_ieee_mode 1
		.amdhsa_fp16_overflow 0
		.amdhsa_workgroup_processor_mode 1
		.amdhsa_memory_ordered 1
		.amdhsa_forward_progress 0
		.amdhsa_shared_vgpr_count 0
		.amdhsa_exception_fp_ieee_invalid_op 0
		.amdhsa_exception_fp_denorm_src 0
		.amdhsa_exception_fp_ieee_div_zero 0
		.amdhsa_exception_fp_ieee_overflow 0
		.amdhsa_exception_fp_ieee_underflow 0
		.amdhsa_exception_fp_ieee_inexact 0
		.amdhsa_exception_int_div_zero 0
	.end_amdhsa_kernel
	.section	.text._Z16sort_keys_kernelI22helper_blocked_blockedN15benchmark_utils11custom_typeIiiEELj320ELj1ELj10EEvPKT0_PS4_,"axG",@progbits,_Z16sort_keys_kernelI22helper_blocked_blockedN15benchmark_utils11custom_typeIiiEELj320ELj1ELj10EEvPKT0_PS4_,comdat
.Lfunc_end176:
	.size	_Z16sort_keys_kernelI22helper_blocked_blockedN15benchmark_utils11custom_typeIiiEELj320ELj1ELj10EEvPKT0_PS4_, .Lfunc_end176-_Z16sort_keys_kernelI22helper_blocked_blockedN15benchmark_utils11custom_typeIiiEELj320ELj1ELj10EEvPKT0_PS4_
                                        ; -- End function
	.section	.AMDGPU.csdata,"",@progbits
; Kernel info:
; codeLenInByte = 8340
; NumSgprs: 24
; NumVgprs: 28
; ScratchSize: 0
; MemoryBound: 0
; FloatMode: 240
; IeeeMode: 1
; LDSByteSize: 10288 bytes/workgroup (compile time only)
; SGPRBlocks: 2
; VGPRBlocks: 3
; NumSGPRsForWavesPerEU: 24
; NumVGPRsForWavesPerEU: 28
; Occupancy: 15
; WaveLimiterHint : 0
; COMPUTE_PGM_RSRC2:SCRATCH_EN: 0
; COMPUTE_PGM_RSRC2:USER_SGPR: 15
; COMPUTE_PGM_RSRC2:TRAP_HANDLER: 0
; COMPUTE_PGM_RSRC2:TGID_X_EN: 1
; COMPUTE_PGM_RSRC2:TGID_Y_EN: 0
; COMPUTE_PGM_RSRC2:TGID_Z_EN: 0
; COMPUTE_PGM_RSRC2:TIDIG_COMP_CNT: 2
	.section	.text._Z17sort_pairs_kernelI22helper_blocked_blockedN15benchmark_utils11custom_typeIiiEELj320ELj1ELj10EEvPKT0_PS4_,"axG",@progbits,_Z17sort_pairs_kernelI22helper_blocked_blockedN15benchmark_utils11custom_typeIiiEELj320ELj1ELj10EEvPKT0_PS4_,comdat
	.protected	_Z17sort_pairs_kernelI22helper_blocked_blockedN15benchmark_utils11custom_typeIiiEELj320ELj1ELj10EEvPKT0_PS4_ ; -- Begin function _Z17sort_pairs_kernelI22helper_blocked_blockedN15benchmark_utils11custom_typeIiiEELj320ELj1ELj10EEvPKT0_PS4_
	.globl	_Z17sort_pairs_kernelI22helper_blocked_blockedN15benchmark_utils11custom_typeIiiEELj320ELj1ELj10EEvPKT0_PS4_
	.p2align	8
	.type	_Z17sort_pairs_kernelI22helper_blocked_blockedN15benchmark_utils11custom_typeIiiEELj320ELj1ELj10EEvPKT0_PS4_,@function
_Z17sort_pairs_kernelI22helper_blocked_blockedN15benchmark_utils11custom_typeIiiEELj320ELj1ELj10EEvPKT0_PS4_: ; @_Z17sort_pairs_kernelI22helper_blocked_blockedN15benchmark_utils11custom_typeIiiEELj320ELj1ELj10EEvPKT0_PS4_
; %bb.0:
	s_clause 0x1
	s_load_b128 s[16:19], s[0:1], 0x0
	s_load_b32 s8, s[0:1], 0x1c
	s_mov_b32 s21, 0
	s_mul_i32 s20, s15, 0x140
	s_mov_b32 s14, s21
	s_mov_b32 s15, s21
	v_dual_mov_b32 v9, s14 :: v_dual_and_b32 v8, 0x3ff, v0
	s_lshl_b64 s[12:13], s[20:21], 3
	v_mov_b32_e32 v10, s15
	v_mbcnt_lo_u32_b32 v5, -1, 0
	s_delay_alu instid0(VALU_DEP_3)
	v_lshlrev_b32_e32 v1, 3, v8
	s_mov_b32 s20, s21
	v_bfe_u32 v3, v0, 10, 10
	v_bfe_u32 v0, v0, 20, 10
	v_and_b32_e32 v6, 16, v5
	v_dual_mov_b32 v11, s20 :: v_dual_and_b32 v4, 15, v5
	v_dual_mov_b32 v12, s21 :: v_dual_add_nc_u32 v7, -1, v5
	s_waitcnt lgkmcnt(0)
	s_add_u32 s0, s16, s12
	s_addc_u32 s1, s17, s13
	v_cmp_eq_u32_e64 s4, 0, v6
	global_load_b64 v[1:2], v1, s[0:1]
	v_and_b32_e32 v6, 0x1e0, v8
	s_lshr_b32 s9, s8, 16
	v_cmp_eq_u32_e64 s0, 0, v4
	v_cmp_lt_u32_e64 s1, 1, v4
	v_cmp_lt_u32_e64 s2, 3, v4
	;; [unrolled: 1-line block ×3, first 2 shown]
	v_lshrrev_b32_e32 v4, 3, v8
	v_mad_u32_u24 v0, v0, s9, v3
	v_lshlrev_b32_e32 v19, 5, v8
	v_cmp_gt_i32_e64 s7, 0, v7
	v_min_u32_e32 v13, 0x120, v6
	s_and_b32 s8, s8, 0xffff
	v_and_b32_e32 v21, 60, v4
	v_mad_u64_u32 v[3:4], null, v0, s8, v[8:9]
	v_cndmask_b32_e64 v7, v7, v5, s7
	v_lshlrev_b32_e32 v17, 2, v8
	v_or_b32_e32 v0, v5, v6
	v_or_b32_e32 v4, 31, v13
	v_mad_i32_i24 v23, 0xffffffe4, v8, v19
	v_cmp_eq_u32_e32 vcc_lo, 0, v5
	v_cmp_gt_u32_e64 s5, 10, v8
	v_cmp_lt_u32_e64 s6, 31, v8
	v_cmp_eq_u32_e64 s7, 0, v8
	v_add_nc_u32_e32 v20, 40, v19
	v_lshlrev_b32_e32 v22, 2, v7
	v_add_nc_u32_e32 v24, -4, v21
	v_lshlrev_b32_e32 v25, 3, v0
	v_cmp_eq_u32_e64 s8, v4, v8
	v_lshrrev_b32_e32 v26, 5, v3
	v_add_nc_u32_e32 v27, v23, v17
	s_mov_b32 s16, 10
	s_waitcnt vmcnt(0)
	v_add_nc_u32_e32 v13, 1, v1
	v_add_nc_u32_e32 v14, 1, v2
	v_xor_b32_e32 v15, 0x80000000, v1
	v_xor_b32_e32 v16, 0x80000000, v2
	s_branch .LBB177_2
.LBB177_1:                              ;   in Loop: Header=BB177_2 Depth=1
	s_or_b32 exec_lo, exec_lo, s9
	s_waitcnt lgkmcnt(0)
	v_add_nc_u32_e32 v3, v28, v3
	s_add_i32 s16, s16, -1
	s_delay_alu instid0(SALU_CYCLE_1) | instskip(SKIP_3) | instid1(VALU_DEP_1)
	s_cmp_lg_u32 s16, 0
	ds_bpermute_b32 v3, v22, v3
	s_waitcnt lgkmcnt(0)
	v_cndmask_b32_e32 v3, v3, v28, vcc_lo
	v_cndmask_b32_e64 v3, v3, 0, s7
	s_delay_alu instid0(VALU_DEP_1) | instskip(NEXT) | instid1(VALU_DEP_1)
	v_add_nc_u32_e32 v4, v3, v4
	v_add_nc_u32_e32 v5, v4, v5
	s_delay_alu instid0(VALU_DEP_1) | instskip(NEXT) | instid1(VALU_DEP_1)
	v_add_nc_u32_e32 v6, v5, v6
	v_add_nc_u32_e32 v28, v6, v7
	;; [unrolled: 3-line block ×3, first 2 shown]
	s_delay_alu instid0(VALU_DEP_1)
	v_add_nc_u32_e32 v1, v0, v2
	ds_store_2addr_b64 v19, v[3:4], v[5:6] offset0:5 offset1:6
	ds_store_2addr_b64 v20, v[28:29], v[0:1] offset0:2 offset1:3
	s_waitcnt lgkmcnt(0)
	s_barrier
	buffer_gl0_inv
	ds_load_b32 v0, v16
	v_lshlrev_b32_e32 v1, 3, v15
	s_waitcnt lgkmcnt(0)
	s_barrier
	buffer_gl0_inv
	v_lshl_add_u32 v0, v0, 3, v1
	ds_store_b64 v0, v[13:14]
	s_waitcnt lgkmcnt(0)
	s_barrier
	buffer_gl0_inv
	ds_load_b64 v[15:16], v27
	s_waitcnt lgkmcnt(0)
	s_barrier
	buffer_gl0_inv
	ds_store_b64 v0, v[17:18]
	s_waitcnt lgkmcnt(0)
	s_barrier
	buffer_gl0_inv
	ds_load_b64 v[13:14], v27
	s_cbranch_scc0 .LBB177_66
.LBB177_2:                              ; =>This Inner Loop Header: Depth=1
	s_delay_alu instid0(VALU_DEP_1)
	v_and_b32_e32 v0, 1, v16
	v_lshlrev_b32_e32 v1, 30, v16
	v_lshlrev_b32_e32 v2, 29, v16
	v_lshlrev_b32_e32 v4, 28, v16
	v_lshlrev_b32_e32 v5, 27, v16
	v_add_co_u32 v0, s9, v0, -1
	s_delay_alu instid0(VALU_DEP_1)
	v_cndmask_b32_e64 v3, 0, 1, s9
	v_not_b32_e32 v7, v1
	v_cmp_gt_i32_e64 s10, 0, v1
	v_not_b32_e32 v1, v2
	v_lshlrev_b32_e32 v6, 26, v16
	v_cmp_ne_u32_e64 s9, 0, v3
	v_ashrrev_i32_e32 v7, 31, v7
	v_lshlrev_b32_e32 v3, 25, v16
	v_ashrrev_i32_e32 v1, 31, v1
	v_cmp_gt_i32_e64 s11, 0, v5
	v_xor_b32_e32 v0, s9, v0
	v_cmp_gt_i32_e64 s9, 0, v2
	v_not_b32_e32 v2, v4
	v_xor_b32_e32 v7, s10, v7
	v_cmp_gt_i32_e64 s10, 0, v4
	v_and_b32_e32 v0, exec_lo, v0
	v_xor_b32_e32 v1, s9, v1
	v_ashrrev_i32_e32 v2, 31, v2
	v_not_b32_e32 v4, v5
	v_not_b32_e32 v5, v6
	v_and_b32_e32 v0, v0, v7
	v_cmp_gt_i32_e64 s9, 0, v6
	v_xor_b32_e32 v2, s10, v2
	v_not_b32_e32 v6, v3
	ds_store_2addr_b64 v19, v[11:12], v[9:10] offset0:5 offset1:6
	ds_store_2addr_b64 v20, v[11:12], v[9:10] offset0:2 offset1:3
	v_and_b32_e32 v0, v0, v1
	v_ashrrev_i32_e32 v1, 31, v4
	v_ashrrev_i32_e32 v4, 31, v5
	v_lshlrev_b32_e32 v5, 24, v16
	s_waitcnt lgkmcnt(0)
	v_and_b32_e32 v0, v0, v2
	v_xor_b32_e32 v1, s11, v1
	v_xor_b32_e32 v2, s9, v4
	v_cmp_gt_i32_e64 s9, 0, v3
	v_not_b32_e32 v3, v5
	v_ashrrev_i32_e32 v4, 31, v6
	v_and_b32_e32 v0, v0, v1
	v_cmp_gt_i32_e64 s10, 0, v5
	s_barrier
	v_ashrrev_i32_e32 v1, 31, v3
	v_xor_b32_e32 v3, s9, v4
	v_and_b32_e32 v0, v0, v2
	buffer_gl0_inv
	v_xor_b32_e32 v1, s10, v1
	; wave barrier
	v_and_b32_e32 v0, v0, v3
	s_delay_alu instid0(VALU_DEP_1) | instskip(SKIP_1) | instid1(VALU_DEP_2)
	v_and_b32_e32 v0, v0, v1
	v_and_b32_e32 v1, 0xff, v16
	v_mbcnt_lo_u32_b32 v17, v0, 0
	s_delay_alu instid0(VALU_DEP_2) | instskip(SKIP_1) | instid1(VALU_DEP_3)
	v_mad_u32_u24 v1, v1, 10, v26
	v_cmp_ne_u32_e64 s10, 0, v0
	v_cmp_eq_u32_e64 s9, 0, v17
	s_delay_alu instid0(VALU_DEP_3) | instskip(NEXT) | instid1(VALU_DEP_2)
	v_lshl_add_u32 v18, v1, 2, 40
	s_and_b32 s10, s10, s9
	s_delay_alu instid0(SALU_CYCLE_1)
	s_and_saveexec_b32 s9, s10
	s_cbranch_execz .LBB177_4
; %bb.3:                                ;   in Loop: Header=BB177_2 Depth=1
	v_bcnt_u32_b32 v0, v0, 0
	ds_store_b32 v18, v0
.LBB177_4:                              ;   in Loop: Header=BB177_2 Depth=1
	s_or_b32 exec_lo, exec_lo, s9
	; wave barrier
	s_waitcnt lgkmcnt(0)
	s_barrier
	buffer_gl0_inv
	ds_load_2addr_b64 v[4:7], v19 offset0:5 offset1:6
	ds_load_2addr_b64 v[0:3], v20 offset0:2 offset1:3
	s_waitcnt lgkmcnt(1)
	v_add_nc_u32_e32 v28, v5, v4
	s_delay_alu instid0(VALU_DEP_1) | instskip(SKIP_1) | instid1(VALU_DEP_1)
	v_add3_u32 v28, v28, v6, v7
	s_waitcnt lgkmcnt(0)
	v_add3_u32 v28, v28, v0, v1
	s_delay_alu instid0(VALU_DEP_1) | instskip(NEXT) | instid1(VALU_DEP_1)
	v_add3_u32 v3, v28, v2, v3
	v_mov_b32_dpp v28, v3 row_shr:1 row_mask:0xf bank_mask:0xf
	s_delay_alu instid0(VALU_DEP_1) | instskip(NEXT) | instid1(VALU_DEP_1)
	v_cndmask_b32_e64 v28, v28, 0, s0
	v_add_nc_u32_e32 v3, v28, v3
	s_delay_alu instid0(VALU_DEP_1) | instskip(NEXT) | instid1(VALU_DEP_1)
	v_mov_b32_dpp v28, v3 row_shr:2 row_mask:0xf bank_mask:0xf
	v_cndmask_b32_e64 v28, 0, v28, s1
	s_delay_alu instid0(VALU_DEP_1) | instskip(NEXT) | instid1(VALU_DEP_1)
	v_add_nc_u32_e32 v3, v3, v28
	v_mov_b32_dpp v28, v3 row_shr:4 row_mask:0xf bank_mask:0xf
	s_delay_alu instid0(VALU_DEP_1) | instskip(NEXT) | instid1(VALU_DEP_1)
	v_cndmask_b32_e64 v28, 0, v28, s2
	v_add_nc_u32_e32 v3, v3, v28
	s_delay_alu instid0(VALU_DEP_1) | instskip(NEXT) | instid1(VALU_DEP_1)
	v_mov_b32_dpp v28, v3 row_shr:8 row_mask:0xf bank_mask:0xf
	v_cndmask_b32_e64 v28, 0, v28, s3
	s_delay_alu instid0(VALU_DEP_1) | instskip(SKIP_3) | instid1(VALU_DEP_1)
	v_add_nc_u32_e32 v3, v3, v28
	ds_swizzle_b32 v28, v3 offset:swizzle(BROADCAST,32,15)
	s_waitcnt lgkmcnt(0)
	v_cndmask_b32_e64 v28, v28, 0, s4
	v_add_nc_u32_e32 v3, v3, v28
	s_and_saveexec_b32 s9, s8
	s_cbranch_execz .LBB177_6
; %bb.5:                                ;   in Loop: Header=BB177_2 Depth=1
	ds_store_b32 v21, v3
.LBB177_6:                              ;   in Loop: Header=BB177_2 Depth=1
	s_or_b32 exec_lo, exec_lo, s9
	s_waitcnt lgkmcnt(0)
	s_barrier
	buffer_gl0_inv
	s_and_saveexec_b32 s9, s5
	s_cbranch_execz .LBB177_8
; %bb.7:                                ;   in Loop: Header=BB177_2 Depth=1
	ds_load_b32 v28, v23
	s_waitcnt lgkmcnt(0)
	v_mov_b32_dpp v29, v28 row_shr:1 row_mask:0xf bank_mask:0xf
	s_delay_alu instid0(VALU_DEP_1) | instskip(NEXT) | instid1(VALU_DEP_1)
	v_cndmask_b32_e64 v29, v29, 0, s0
	v_add_nc_u32_e32 v28, v29, v28
	s_delay_alu instid0(VALU_DEP_1) | instskip(NEXT) | instid1(VALU_DEP_1)
	v_mov_b32_dpp v29, v28 row_shr:2 row_mask:0xf bank_mask:0xf
	v_cndmask_b32_e64 v29, 0, v29, s1
	s_delay_alu instid0(VALU_DEP_1) | instskip(NEXT) | instid1(VALU_DEP_1)
	v_add_nc_u32_e32 v28, v28, v29
	v_mov_b32_dpp v29, v28 row_shr:4 row_mask:0xf bank_mask:0xf
	s_delay_alu instid0(VALU_DEP_1) | instskip(NEXT) | instid1(VALU_DEP_1)
	v_cndmask_b32_e64 v29, 0, v29, s2
	v_add_nc_u32_e32 v28, v28, v29
	s_delay_alu instid0(VALU_DEP_1) | instskip(NEXT) | instid1(VALU_DEP_1)
	v_mov_b32_dpp v29, v28 row_shr:8 row_mask:0xf bank_mask:0xf
	v_cndmask_b32_e64 v29, 0, v29, s3
	s_delay_alu instid0(VALU_DEP_1)
	v_add_nc_u32_e32 v28, v28, v29
	ds_store_b32 v23, v28
.LBB177_8:                              ;   in Loop: Header=BB177_2 Depth=1
	s_or_b32 exec_lo, exec_lo, s9
	v_mov_b32_e32 v28, 0
	s_waitcnt lgkmcnt(0)
	s_barrier
	buffer_gl0_inv
	s_and_saveexec_b32 s9, s6
	s_cbranch_execz .LBB177_10
; %bb.9:                                ;   in Loop: Header=BB177_2 Depth=1
	ds_load_b32 v28, v24
.LBB177_10:                             ;   in Loop: Header=BB177_2 Depth=1
	s_or_b32 exec_lo, exec_lo, s9
	s_waitcnt lgkmcnt(0)
	v_add_nc_u32_e32 v3, v28, v3
	ds_bpermute_b32 v3, v22, v3
	s_waitcnt lgkmcnt(0)
	v_cndmask_b32_e32 v3, v3, v28, vcc_lo
	s_delay_alu instid0(VALU_DEP_1) | instskip(NEXT) | instid1(VALU_DEP_1)
	v_cndmask_b32_e64 v3, v3, 0, s7
	v_add_nc_u32_e32 v4, v3, v4
	s_delay_alu instid0(VALU_DEP_1) | instskip(NEXT) | instid1(VALU_DEP_1)
	v_add_nc_u32_e32 v5, v4, v5
	v_add_nc_u32_e32 v6, v5, v6
	s_delay_alu instid0(VALU_DEP_1) | instskip(NEXT) | instid1(VALU_DEP_1)
	v_add_nc_u32_e32 v28, v6, v7
	;; [unrolled: 3-line block ×3, first 2 shown]
	v_add_nc_u32_e32 v1, v0, v2
	ds_store_2addr_b64 v19, v[3:4], v[5:6] offset0:5 offset1:6
	ds_store_2addr_b64 v20, v[28:29], v[0:1] offset0:2 offset1:3
	s_waitcnt lgkmcnt(0)
	s_barrier
	buffer_gl0_inv
	ds_load_b32 v0, v18
	v_lshlrev_b32_e32 v1, 3, v17
	s_waitcnt lgkmcnt(0)
	s_barrier
	buffer_gl0_inv
	v_lshl_add_u32 v0, v0, 3, v1
	ds_store_b64 v0, v[15:16]
	s_waitcnt lgkmcnt(0)
	s_barrier
	buffer_gl0_inv
	ds_load_b64 v[17:18], v25
	s_waitcnt lgkmcnt(0)
	s_barrier
	buffer_gl0_inv
	ds_store_b64 v0, v[13:14]
	s_waitcnt lgkmcnt(0)
	s_barrier
	buffer_gl0_inv
	v_bfe_u32 v1, v18, 8, 1
	v_lshrrev_b32_e32 v2, 8, v18
	s_delay_alu instid0(VALU_DEP_2) | instskip(NEXT) | instid1(VALU_DEP_1)
	v_add_co_u32 v1, s9, v1, -1
	v_cndmask_b32_e64 v3, 0, 1, s9
	s_delay_alu instid0(VALU_DEP_3)
	v_lshlrev_b32_e32 v4, 30, v2
	v_lshlrev_b32_e32 v5, 29, v2
	;; [unrolled: 1-line block ×4, first 2 shown]
	v_cmp_ne_u32_e64 s9, 0, v3
	v_not_b32_e32 v3, v4
	v_cmp_gt_i32_e64 s10, 0, v4
	v_not_b32_e32 v4, v5
	v_lshlrev_b32_e32 v15, 26, v2
	v_xor_b32_e32 v1, s9, v1
	v_ashrrev_i32_e32 v3, 31, v3
	v_cmp_gt_i32_e64 s9, 0, v5
	v_not_b32_e32 v5, v6
	v_ashrrev_i32_e32 v4, 31, v4
	v_and_b32_e32 v1, exec_lo, v1
	v_xor_b32_e32 v3, s10, v3
	v_cmp_gt_i32_e64 s10, 0, v6
	v_not_b32_e32 v6, v7
	v_ashrrev_i32_e32 v5, 31, v5
	v_xor_b32_e32 v4, s9, v4
	v_and_b32_e32 v1, v1, v3
	v_lshlrev_b32_e32 v16, 25, v2
	v_cmp_gt_i32_e64 s9, 0, v7
	v_not_b32_e32 v3, v15
	v_ashrrev_i32_e32 v6, 31, v6
	v_xor_b32_e32 v5, s10, v5
	v_and_b32_e32 v1, v1, v4
	v_lshlrev_b32_e32 v2, 24, v2
	v_cmp_gt_i32_e64 s10, 0, v15
	v_not_b32_e32 v4, v16
	v_ashrrev_i32_e32 v3, 31, v3
	v_xor_b32_e32 v6, s9, v6
	v_and_b32_e32 v1, v1, v5
	v_cmp_gt_i32_e64 s9, 0, v16
	v_not_b32_e32 v5, v2
	v_ashrrev_i32_e32 v4, 31, v4
	v_xor_b32_e32 v3, s10, v3
	v_and_b32_e32 v1, v1, v6
	v_cmp_gt_i32_e64 s10, 0, v2
	v_ashrrev_i32_e32 v2, 31, v5
	v_xor_b32_e32 v4, s9, v4
	ds_load_b64 v[15:16], v25
	v_and_b32_e32 v1, v1, v3
	s_waitcnt lgkmcnt(0)
	v_xor_b32_e32 v0, s10, v2
	s_barrier
	buffer_gl0_inv
	v_and_b32_e32 v1, v1, v4
	ds_store_2addr_b64 v19, v[11:12], v[9:10] offset0:5 offset1:6
	ds_store_2addr_b64 v20, v[11:12], v[9:10] offset0:2 offset1:3
	s_waitcnt lgkmcnt(0)
	s_barrier
	buffer_gl0_inv
	v_and_b32_e32 v0, v1, v0
	v_bfe_u32 v1, v18, 8, 8
	; wave barrier
	s_delay_alu instid0(VALU_DEP_2) | instskip(NEXT) | instid1(VALU_DEP_2)
	v_mbcnt_lo_u32_b32 v13, v0, 0
	v_mad_u32_u24 v1, v1, 10, v26
	v_cmp_ne_u32_e64 s10, 0, v0
	s_delay_alu instid0(VALU_DEP_3) | instskip(NEXT) | instid1(VALU_DEP_3)
	v_cmp_eq_u32_e64 s9, 0, v13
	v_lshl_add_u32 v14, v1, 2, 40
	s_delay_alu instid0(VALU_DEP_2) | instskip(NEXT) | instid1(SALU_CYCLE_1)
	s_and_b32 s10, s10, s9
	s_and_saveexec_b32 s9, s10
	s_cbranch_execz .LBB177_12
; %bb.11:                               ;   in Loop: Header=BB177_2 Depth=1
	v_bcnt_u32_b32 v0, v0, 0
	ds_store_b32 v14, v0
.LBB177_12:                             ;   in Loop: Header=BB177_2 Depth=1
	s_or_b32 exec_lo, exec_lo, s9
	; wave barrier
	s_waitcnt lgkmcnt(0)
	s_barrier
	buffer_gl0_inv
	ds_load_2addr_b64 v[4:7], v19 offset0:5 offset1:6
	ds_load_2addr_b64 v[0:3], v20 offset0:2 offset1:3
	s_waitcnt lgkmcnt(1)
	v_add_nc_u32_e32 v28, v5, v4
	s_delay_alu instid0(VALU_DEP_1) | instskip(SKIP_1) | instid1(VALU_DEP_1)
	v_add3_u32 v28, v28, v6, v7
	s_waitcnt lgkmcnt(0)
	v_add3_u32 v28, v28, v0, v1
	s_delay_alu instid0(VALU_DEP_1) | instskip(NEXT) | instid1(VALU_DEP_1)
	v_add3_u32 v3, v28, v2, v3
	v_mov_b32_dpp v28, v3 row_shr:1 row_mask:0xf bank_mask:0xf
	s_delay_alu instid0(VALU_DEP_1) | instskip(NEXT) | instid1(VALU_DEP_1)
	v_cndmask_b32_e64 v28, v28, 0, s0
	v_add_nc_u32_e32 v3, v28, v3
	s_delay_alu instid0(VALU_DEP_1) | instskip(NEXT) | instid1(VALU_DEP_1)
	v_mov_b32_dpp v28, v3 row_shr:2 row_mask:0xf bank_mask:0xf
	v_cndmask_b32_e64 v28, 0, v28, s1
	s_delay_alu instid0(VALU_DEP_1) | instskip(NEXT) | instid1(VALU_DEP_1)
	v_add_nc_u32_e32 v3, v3, v28
	v_mov_b32_dpp v28, v3 row_shr:4 row_mask:0xf bank_mask:0xf
	s_delay_alu instid0(VALU_DEP_1) | instskip(NEXT) | instid1(VALU_DEP_1)
	v_cndmask_b32_e64 v28, 0, v28, s2
	v_add_nc_u32_e32 v3, v3, v28
	s_delay_alu instid0(VALU_DEP_1) | instskip(NEXT) | instid1(VALU_DEP_1)
	v_mov_b32_dpp v28, v3 row_shr:8 row_mask:0xf bank_mask:0xf
	v_cndmask_b32_e64 v28, 0, v28, s3
	s_delay_alu instid0(VALU_DEP_1) | instskip(SKIP_3) | instid1(VALU_DEP_1)
	v_add_nc_u32_e32 v3, v3, v28
	ds_swizzle_b32 v28, v3 offset:swizzle(BROADCAST,32,15)
	s_waitcnt lgkmcnt(0)
	v_cndmask_b32_e64 v28, v28, 0, s4
	v_add_nc_u32_e32 v3, v3, v28
	s_and_saveexec_b32 s9, s8
	s_cbranch_execz .LBB177_14
; %bb.13:                               ;   in Loop: Header=BB177_2 Depth=1
	ds_store_b32 v21, v3
.LBB177_14:                             ;   in Loop: Header=BB177_2 Depth=1
	s_or_b32 exec_lo, exec_lo, s9
	s_waitcnt lgkmcnt(0)
	s_barrier
	buffer_gl0_inv
	s_and_saveexec_b32 s9, s5
	s_cbranch_execz .LBB177_16
; %bb.15:                               ;   in Loop: Header=BB177_2 Depth=1
	ds_load_b32 v28, v23
	s_waitcnt lgkmcnt(0)
	v_mov_b32_dpp v29, v28 row_shr:1 row_mask:0xf bank_mask:0xf
	s_delay_alu instid0(VALU_DEP_1) | instskip(NEXT) | instid1(VALU_DEP_1)
	v_cndmask_b32_e64 v29, v29, 0, s0
	v_add_nc_u32_e32 v28, v29, v28
	s_delay_alu instid0(VALU_DEP_1) | instskip(NEXT) | instid1(VALU_DEP_1)
	v_mov_b32_dpp v29, v28 row_shr:2 row_mask:0xf bank_mask:0xf
	v_cndmask_b32_e64 v29, 0, v29, s1
	s_delay_alu instid0(VALU_DEP_1) | instskip(NEXT) | instid1(VALU_DEP_1)
	v_add_nc_u32_e32 v28, v28, v29
	v_mov_b32_dpp v29, v28 row_shr:4 row_mask:0xf bank_mask:0xf
	s_delay_alu instid0(VALU_DEP_1) | instskip(NEXT) | instid1(VALU_DEP_1)
	v_cndmask_b32_e64 v29, 0, v29, s2
	v_add_nc_u32_e32 v28, v28, v29
	s_delay_alu instid0(VALU_DEP_1) | instskip(NEXT) | instid1(VALU_DEP_1)
	v_mov_b32_dpp v29, v28 row_shr:8 row_mask:0xf bank_mask:0xf
	v_cndmask_b32_e64 v29, 0, v29, s3
	s_delay_alu instid0(VALU_DEP_1)
	v_add_nc_u32_e32 v28, v28, v29
	ds_store_b32 v23, v28
.LBB177_16:                             ;   in Loop: Header=BB177_2 Depth=1
	s_or_b32 exec_lo, exec_lo, s9
	v_mov_b32_e32 v28, 0
	s_waitcnt lgkmcnt(0)
	s_barrier
	buffer_gl0_inv
	s_and_saveexec_b32 s9, s6
	s_cbranch_execz .LBB177_18
; %bb.17:                               ;   in Loop: Header=BB177_2 Depth=1
	ds_load_b32 v28, v24
.LBB177_18:                             ;   in Loop: Header=BB177_2 Depth=1
	s_or_b32 exec_lo, exec_lo, s9
	s_waitcnt lgkmcnt(0)
	v_add_nc_u32_e32 v3, v28, v3
	ds_bpermute_b32 v3, v22, v3
	s_waitcnt lgkmcnt(0)
	v_cndmask_b32_e32 v3, v3, v28, vcc_lo
	s_delay_alu instid0(VALU_DEP_1) | instskip(NEXT) | instid1(VALU_DEP_1)
	v_cndmask_b32_e64 v3, v3, 0, s7
	v_add_nc_u32_e32 v4, v3, v4
	s_delay_alu instid0(VALU_DEP_1) | instskip(NEXT) | instid1(VALU_DEP_1)
	v_add_nc_u32_e32 v5, v4, v5
	v_add_nc_u32_e32 v6, v5, v6
	s_delay_alu instid0(VALU_DEP_1) | instskip(NEXT) | instid1(VALU_DEP_1)
	v_add_nc_u32_e32 v28, v6, v7
	;; [unrolled: 3-line block ×3, first 2 shown]
	v_add_nc_u32_e32 v1, v0, v2
	ds_store_2addr_b64 v19, v[3:4], v[5:6] offset0:5 offset1:6
	ds_store_2addr_b64 v20, v[28:29], v[0:1] offset0:2 offset1:3
	s_waitcnt lgkmcnt(0)
	s_barrier
	buffer_gl0_inv
	ds_load_b32 v0, v14
	v_lshlrev_b32_e32 v1, 3, v13
	s_waitcnt lgkmcnt(0)
	s_barrier
	buffer_gl0_inv
	v_lshl_add_u32 v0, v0, 3, v1
	v_dual_mov_b32 v1, s20 :: v_dual_mov_b32 v2, s21
	ds_store_b64 v0, v[17:18]
	s_waitcnt lgkmcnt(0)
	s_barrier
	buffer_gl0_inv
	ds_load_b64 v[13:14], v25
	s_waitcnt lgkmcnt(0)
	s_barrier
	buffer_gl0_inv
	ds_store_b64 v0, v[15:16]
	s_waitcnt lgkmcnt(0)
	s_barrier
	buffer_gl0_inv
	ds_load_b64 v[15:16], v25
	s_waitcnt lgkmcnt(0)
	s_barrier
	buffer_gl0_inv
	v_bfe_u32 v3, v14, 16, 1
	v_lshrrev_b32_e32 v4, 16, v14
	s_delay_alu instid0(VALU_DEP_2) | instskip(NEXT) | instid1(VALU_DEP_1)
	v_add_co_u32 v3, s9, v3, -1
	v_cndmask_b32_e64 v5, 0, 1, s9
	s_delay_alu instid0(VALU_DEP_3)
	v_lshlrev_b32_e32 v6, 30, v4
	v_lshlrev_b32_e32 v7, 29, v4
	;; [unrolled: 1-line block ×4, first 2 shown]
	v_cmp_ne_u32_e64 s9, 0, v5
	v_not_b32_e32 v5, v6
	v_cmp_gt_i32_e64 s10, 0, v6
	v_not_b32_e32 v6, v7
	v_lshlrev_b32_e32 v28, 26, v4
	v_xor_b32_e32 v3, s9, v3
	v_ashrrev_i32_e32 v5, 31, v5
	v_cmp_gt_i32_e64 s9, 0, v7
	v_not_b32_e32 v7, v17
	v_ashrrev_i32_e32 v6, 31, v6
	v_and_b32_e32 v3, exec_lo, v3
	v_xor_b32_e32 v5, s10, v5
	v_cmp_gt_i32_e64 s10, 0, v17
	v_not_b32_e32 v17, v18
	v_ashrrev_i32_e32 v7, 31, v7
	v_xor_b32_e32 v6, s9, v6
	v_and_b32_e32 v3, v3, v5
	v_lshlrev_b32_e32 v29, 25, v4
	v_cmp_gt_i32_e64 s9, 0, v18
	v_not_b32_e32 v5, v28
	v_ashrrev_i32_e32 v17, 31, v17
	v_xor_b32_e32 v7, s10, v7
	v_and_b32_e32 v3, v3, v6
	v_lshlrev_b32_e32 v4, 24, v4
	v_cmp_gt_i32_e64 s10, 0, v28
	v_not_b32_e32 v6, v29
	v_ashrrev_i32_e32 v5, 31, v5
	v_xor_b32_e32 v17, s9, v17
	v_and_b32_e32 v3, v3, v7
	v_cmp_gt_i32_e64 s9, 0, v29
	v_not_b32_e32 v7, v4
	v_ashrrev_i32_e32 v6, 31, v6
	v_xor_b32_e32 v5, s10, v5
	v_and_b32_e32 v3, v3, v17
	v_cmp_gt_i32_e64 s10, 0, v4
	v_ashrrev_i32_e32 v4, 31, v7
	v_xor_b32_e32 v6, s9, v6
	s_delay_alu instid0(VALU_DEP_4) | instskip(NEXT) | instid1(VALU_DEP_3)
	v_and_b32_e32 v3, v3, v5
	v_xor_b32_e32 v0, s10, v4
	s_delay_alu instid0(VALU_DEP_2)
	v_and_b32_e32 v5, v3, v6
	v_dual_mov_b32 v3, s14 :: v_dual_mov_b32 v4, s15
	ds_store_2addr_b64 v19, v[1:2], v[3:4] offset0:5 offset1:6
	ds_store_2addr_b64 v20, v[1:2], v[3:4] offset0:2 offset1:3
	v_and_b32_e32 v0, v5, v0
	v_bfe_u32 v5, v14, 16, 8
	s_waitcnt lgkmcnt(0)
	s_barrier
	buffer_gl0_inv
	v_mbcnt_lo_u32_b32 v17, v0, 0
	v_mad_u32_u24 v1, v5, 10, v26
	v_cmp_ne_u32_e64 s10, 0, v0
	; wave barrier
	s_delay_alu instid0(VALU_DEP_3) | instskip(NEXT) | instid1(VALU_DEP_3)
	v_cmp_eq_u32_e64 s9, 0, v17
	v_lshl_add_u32 v18, v1, 2, 40
	s_delay_alu instid0(VALU_DEP_2) | instskip(NEXT) | instid1(SALU_CYCLE_1)
	s_and_b32 s10, s10, s9
	s_and_saveexec_b32 s9, s10
	s_cbranch_execz .LBB177_20
; %bb.19:                               ;   in Loop: Header=BB177_2 Depth=1
	v_bcnt_u32_b32 v0, v0, 0
	ds_store_b32 v18, v0
.LBB177_20:                             ;   in Loop: Header=BB177_2 Depth=1
	s_or_b32 exec_lo, exec_lo, s9
	; wave barrier
	s_waitcnt lgkmcnt(0)
	s_barrier
	buffer_gl0_inv
	ds_load_2addr_b64 v[4:7], v19 offset0:5 offset1:6
	ds_load_2addr_b64 v[0:3], v20 offset0:2 offset1:3
	s_waitcnt lgkmcnt(1)
	v_add_nc_u32_e32 v28, v5, v4
	s_delay_alu instid0(VALU_DEP_1) | instskip(SKIP_1) | instid1(VALU_DEP_1)
	v_add3_u32 v28, v28, v6, v7
	s_waitcnt lgkmcnt(0)
	v_add3_u32 v28, v28, v0, v1
	s_delay_alu instid0(VALU_DEP_1) | instskip(NEXT) | instid1(VALU_DEP_1)
	v_add3_u32 v3, v28, v2, v3
	v_mov_b32_dpp v28, v3 row_shr:1 row_mask:0xf bank_mask:0xf
	s_delay_alu instid0(VALU_DEP_1) | instskip(NEXT) | instid1(VALU_DEP_1)
	v_cndmask_b32_e64 v28, v28, 0, s0
	v_add_nc_u32_e32 v3, v28, v3
	s_delay_alu instid0(VALU_DEP_1) | instskip(NEXT) | instid1(VALU_DEP_1)
	v_mov_b32_dpp v28, v3 row_shr:2 row_mask:0xf bank_mask:0xf
	v_cndmask_b32_e64 v28, 0, v28, s1
	s_delay_alu instid0(VALU_DEP_1) | instskip(NEXT) | instid1(VALU_DEP_1)
	v_add_nc_u32_e32 v3, v3, v28
	v_mov_b32_dpp v28, v3 row_shr:4 row_mask:0xf bank_mask:0xf
	s_delay_alu instid0(VALU_DEP_1) | instskip(NEXT) | instid1(VALU_DEP_1)
	v_cndmask_b32_e64 v28, 0, v28, s2
	v_add_nc_u32_e32 v3, v3, v28
	s_delay_alu instid0(VALU_DEP_1) | instskip(NEXT) | instid1(VALU_DEP_1)
	v_mov_b32_dpp v28, v3 row_shr:8 row_mask:0xf bank_mask:0xf
	v_cndmask_b32_e64 v28, 0, v28, s3
	s_delay_alu instid0(VALU_DEP_1) | instskip(SKIP_3) | instid1(VALU_DEP_1)
	v_add_nc_u32_e32 v3, v3, v28
	ds_swizzle_b32 v28, v3 offset:swizzle(BROADCAST,32,15)
	s_waitcnt lgkmcnt(0)
	v_cndmask_b32_e64 v28, v28, 0, s4
	v_add_nc_u32_e32 v3, v3, v28
	s_and_saveexec_b32 s9, s8
	s_cbranch_execz .LBB177_22
; %bb.21:                               ;   in Loop: Header=BB177_2 Depth=1
	ds_store_b32 v21, v3
.LBB177_22:                             ;   in Loop: Header=BB177_2 Depth=1
	s_or_b32 exec_lo, exec_lo, s9
	s_waitcnt lgkmcnt(0)
	s_barrier
	buffer_gl0_inv
	s_and_saveexec_b32 s9, s5
	s_cbranch_execz .LBB177_24
; %bb.23:                               ;   in Loop: Header=BB177_2 Depth=1
	ds_load_b32 v28, v23
	s_waitcnt lgkmcnt(0)
	v_mov_b32_dpp v29, v28 row_shr:1 row_mask:0xf bank_mask:0xf
	s_delay_alu instid0(VALU_DEP_1) | instskip(NEXT) | instid1(VALU_DEP_1)
	v_cndmask_b32_e64 v29, v29, 0, s0
	v_add_nc_u32_e32 v28, v29, v28
	s_delay_alu instid0(VALU_DEP_1) | instskip(NEXT) | instid1(VALU_DEP_1)
	v_mov_b32_dpp v29, v28 row_shr:2 row_mask:0xf bank_mask:0xf
	v_cndmask_b32_e64 v29, 0, v29, s1
	s_delay_alu instid0(VALU_DEP_1) | instskip(NEXT) | instid1(VALU_DEP_1)
	v_add_nc_u32_e32 v28, v28, v29
	v_mov_b32_dpp v29, v28 row_shr:4 row_mask:0xf bank_mask:0xf
	s_delay_alu instid0(VALU_DEP_1) | instskip(NEXT) | instid1(VALU_DEP_1)
	v_cndmask_b32_e64 v29, 0, v29, s2
	v_add_nc_u32_e32 v28, v28, v29
	s_delay_alu instid0(VALU_DEP_1) | instskip(NEXT) | instid1(VALU_DEP_1)
	v_mov_b32_dpp v29, v28 row_shr:8 row_mask:0xf bank_mask:0xf
	v_cndmask_b32_e64 v29, 0, v29, s3
	s_delay_alu instid0(VALU_DEP_1)
	v_add_nc_u32_e32 v28, v28, v29
	ds_store_b32 v23, v28
.LBB177_24:                             ;   in Loop: Header=BB177_2 Depth=1
	s_or_b32 exec_lo, exec_lo, s9
	v_mov_b32_e32 v28, 0
	s_waitcnt lgkmcnt(0)
	s_barrier
	buffer_gl0_inv
	s_and_saveexec_b32 s9, s6
	s_cbranch_execz .LBB177_26
; %bb.25:                               ;   in Loop: Header=BB177_2 Depth=1
	ds_load_b32 v28, v24
.LBB177_26:                             ;   in Loop: Header=BB177_2 Depth=1
	s_or_b32 exec_lo, exec_lo, s9
	s_waitcnt lgkmcnt(0)
	v_add_nc_u32_e32 v3, v28, v3
	ds_bpermute_b32 v3, v22, v3
	s_waitcnt lgkmcnt(0)
	v_cndmask_b32_e32 v3, v3, v28, vcc_lo
	s_delay_alu instid0(VALU_DEP_1) | instskip(NEXT) | instid1(VALU_DEP_1)
	v_cndmask_b32_e64 v3, v3, 0, s7
	v_add_nc_u32_e32 v4, v3, v4
	s_delay_alu instid0(VALU_DEP_1) | instskip(NEXT) | instid1(VALU_DEP_1)
	v_add_nc_u32_e32 v5, v4, v5
	v_add_nc_u32_e32 v6, v5, v6
	s_delay_alu instid0(VALU_DEP_1) | instskip(NEXT) | instid1(VALU_DEP_1)
	v_add_nc_u32_e32 v28, v6, v7
	;; [unrolled: 3-line block ×3, first 2 shown]
	v_add_nc_u32_e32 v1, v0, v2
	ds_store_2addr_b64 v19, v[3:4], v[5:6] offset0:5 offset1:6
	ds_store_2addr_b64 v20, v[28:29], v[0:1] offset0:2 offset1:3
	s_waitcnt lgkmcnt(0)
	s_barrier
	buffer_gl0_inv
	ds_load_b32 v0, v18
	v_lshlrev_b32_e32 v1, 3, v17
	s_waitcnt lgkmcnt(0)
	s_barrier
	buffer_gl0_inv
	v_lshl_add_u32 v0, v0, 3, v1
	ds_store_b64 v0, v[13:14]
	s_waitcnt lgkmcnt(0)
	s_barrier
	buffer_gl0_inv
	ds_load_b64 v[13:14], v25
	s_waitcnt lgkmcnt(0)
	s_barrier
	buffer_gl0_inv
	ds_store_b64 v0, v[15:16]
	s_waitcnt lgkmcnt(0)
	s_barrier
	buffer_gl0_inv
	ds_load_b64 v[15:16], v25
	s_waitcnt lgkmcnt(0)
	s_barrier
	buffer_gl0_inv
	v_bfe_u32 v1, v14, 24, 1
	v_lshrrev_b32_e32 v5, 24, v14
	s_delay_alu instid0(VALU_DEP_2) | instskip(NEXT) | instid1(VALU_DEP_1)
	v_add_co_u32 v1, s9, v1, -1
	v_cndmask_b32_e64 v2, 0, 1, s9
	s_delay_alu instid0(VALU_DEP_3)
	v_lshlrev_b32_e32 v3, 30, v5
	v_lshlrev_b32_e32 v4, 29, v5
	;; [unrolled: 1-line block ×4, first 2 shown]
	v_cmp_ne_u32_e64 s9, 0, v2
	v_not_b32_e32 v2, v3
	v_cmp_gt_i32_e64 s10, 0, v3
	v_not_b32_e32 v3, v4
	v_lshlrev_b32_e32 v17, 26, v5
	v_xor_b32_e32 v1, s9, v1
	v_ashrrev_i32_e32 v2, 31, v2
	v_cmp_gt_i32_e64 s9, 0, v4
	v_not_b32_e32 v4, v6
	v_ashrrev_i32_e32 v3, 31, v3
	v_and_b32_e32 v1, exec_lo, v1
	v_xor_b32_e32 v2, s10, v2
	v_cmp_gt_i32_e64 s10, 0, v6
	v_not_b32_e32 v6, v7
	v_ashrrev_i32_e32 v4, 31, v4
	v_xor_b32_e32 v3, s9, v3
	v_and_b32_e32 v1, v1, v2
	v_lshlrev_b32_e32 v18, 25, v5
	v_cmp_gt_i32_e64 s9, 0, v7
	v_not_b32_e32 v2, v17
	v_ashrrev_i32_e32 v6, 31, v6
	v_xor_b32_e32 v4, s10, v4
	v_and_b32_e32 v1, v1, v3
	v_cmp_gt_i32_e64 s10, 0, v17
	v_not_b32_e32 v3, v18
	v_ashrrev_i32_e32 v2, 31, v2
	v_xor_b32_e32 v6, s9, v6
	v_and_b32_e32 v1, v1, v4
	v_not_b32_e32 v4, v14
	v_cmp_gt_i32_e64 s9, 0, v18
	v_ashrrev_i32_e32 v3, 31, v3
	v_xor_b32_e32 v2, s10, v2
	v_and_b32_e32 v1, v1, v6
	v_cmp_gt_i32_e64 s10, 0, v14
	v_ashrrev_i32_e32 v4, 31, v4
	v_xor_b32_e32 v3, s9, v3
	s_delay_alu instid0(VALU_DEP_4) | instskip(NEXT) | instid1(VALU_DEP_3)
	v_and_b32_e32 v1, v1, v2
	v_xor_b32_e32 v0, s10, v4
	s_delay_alu instid0(VALU_DEP_2) | instskip(SKIP_1) | instid1(VALU_DEP_2)
	v_and_b32_e32 v3, v1, v3
	v_dual_mov_b32 v1, s20 :: v_dual_mov_b32 v2, s21
	v_dual_mov_b32 v3, s14 :: v_dual_and_b32 v0, v3, v0
	v_mov_b32_e32 v4, s15
	ds_store_2addr_b64 v19, v[1:2], v[3:4] offset0:5 offset1:6
	ds_store_2addr_b64 v20, v[1:2], v[3:4] offset0:2 offset1:3
	v_mbcnt_lo_u32_b32 v17, v0, 0
	v_mad_u32_u24 v1, v5, 10, v26
	v_cmp_ne_u32_e64 s10, 0, v0
	s_waitcnt lgkmcnt(0)
	s_barrier
	v_cmp_eq_u32_e64 s9, 0, v17
	v_lshl_add_u32 v18, v1, 2, 40
	buffer_gl0_inv
	; wave barrier
	s_and_b32 s10, s10, s9
	s_delay_alu instid0(SALU_CYCLE_1)
	s_and_saveexec_b32 s9, s10
	s_cbranch_execz .LBB177_28
; %bb.27:                               ;   in Loop: Header=BB177_2 Depth=1
	v_bcnt_u32_b32 v0, v0, 0
	ds_store_b32 v18, v0
.LBB177_28:                             ;   in Loop: Header=BB177_2 Depth=1
	s_or_b32 exec_lo, exec_lo, s9
	; wave barrier
	s_waitcnt lgkmcnt(0)
	s_barrier
	buffer_gl0_inv
	ds_load_2addr_b64 v[4:7], v19 offset0:5 offset1:6
	ds_load_2addr_b64 v[0:3], v20 offset0:2 offset1:3
	s_waitcnt lgkmcnt(1)
	v_add_nc_u32_e32 v28, v5, v4
	s_delay_alu instid0(VALU_DEP_1) | instskip(SKIP_1) | instid1(VALU_DEP_1)
	v_add3_u32 v28, v28, v6, v7
	s_waitcnt lgkmcnt(0)
	v_add3_u32 v28, v28, v0, v1
	s_delay_alu instid0(VALU_DEP_1) | instskip(NEXT) | instid1(VALU_DEP_1)
	v_add3_u32 v3, v28, v2, v3
	v_mov_b32_dpp v28, v3 row_shr:1 row_mask:0xf bank_mask:0xf
	s_delay_alu instid0(VALU_DEP_1) | instskip(NEXT) | instid1(VALU_DEP_1)
	v_cndmask_b32_e64 v28, v28, 0, s0
	v_add_nc_u32_e32 v3, v28, v3
	s_delay_alu instid0(VALU_DEP_1) | instskip(NEXT) | instid1(VALU_DEP_1)
	v_mov_b32_dpp v28, v3 row_shr:2 row_mask:0xf bank_mask:0xf
	v_cndmask_b32_e64 v28, 0, v28, s1
	s_delay_alu instid0(VALU_DEP_1) | instskip(NEXT) | instid1(VALU_DEP_1)
	v_add_nc_u32_e32 v3, v3, v28
	v_mov_b32_dpp v28, v3 row_shr:4 row_mask:0xf bank_mask:0xf
	s_delay_alu instid0(VALU_DEP_1) | instskip(NEXT) | instid1(VALU_DEP_1)
	v_cndmask_b32_e64 v28, 0, v28, s2
	v_add_nc_u32_e32 v3, v3, v28
	s_delay_alu instid0(VALU_DEP_1) | instskip(NEXT) | instid1(VALU_DEP_1)
	v_mov_b32_dpp v28, v3 row_shr:8 row_mask:0xf bank_mask:0xf
	v_cndmask_b32_e64 v28, 0, v28, s3
	s_delay_alu instid0(VALU_DEP_1) | instskip(SKIP_3) | instid1(VALU_DEP_1)
	v_add_nc_u32_e32 v3, v3, v28
	ds_swizzle_b32 v28, v3 offset:swizzle(BROADCAST,32,15)
	s_waitcnt lgkmcnt(0)
	v_cndmask_b32_e64 v28, v28, 0, s4
	v_add_nc_u32_e32 v3, v3, v28
	s_and_saveexec_b32 s9, s8
	s_cbranch_execz .LBB177_30
; %bb.29:                               ;   in Loop: Header=BB177_2 Depth=1
	ds_store_b32 v21, v3
.LBB177_30:                             ;   in Loop: Header=BB177_2 Depth=1
	s_or_b32 exec_lo, exec_lo, s9
	s_waitcnt lgkmcnt(0)
	s_barrier
	buffer_gl0_inv
	s_and_saveexec_b32 s9, s5
	s_cbranch_execz .LBB177_32
; %bb.31:                               ;   in Loop: Header=BB177_2 Depth=1
	ds_load_b32 v28, v23
	s_waitcnt lgkmcnt(0)
	v_mov_b32_dpp v29, v28 row_shr:1 row_mask:0xf bank_mask:0xf
	s_delay_alu instid0(VALU_DEP_1) | instskip(NEXT) | instid1(VALU_DEP_1)
	v_cndmask_b32_e64 v29, v29, 0, s0
	v_add_nc_u32_e32 v28, v29, v28
	s_delay_alu instid0(VALU_DEP_1) | instskip(NEXT) | instid1(VALU_DEP_1)
	v_mov_b32_dpp v29, v28 row_shr:2 row_mask:0xf bank_mask:0xf
	v_cndmask_b32_e64 v29, 0, v29, s1
	s_delay_alu instid0(VALU_DEP_1) | instskip(NEXT) | instid1(VALU_DEP_1)
	v_add_nc_u32_e32 v28, v28, v29
	v_mov_b32_dpp v29, v28 row_shr:4 row_mask:0xf bank_mask:0xf
	s_delay_alu instid0(VALU_DEP_1) | instskip(NEXT) | instid1(VALU_DEP_1)
	v_cndmask_b32_e64 v29, 0, v29, s2
	v_add_nc_u32_e32 v28, v28, v29
	s_delay_alu instid0(VALU_DEP_1) | instskip(NEXT) | instid1(VALU_DEP_1)
	v_mov_b32_dpp v29, v28 row_shr:8 row_mask:0xf bank_mask:0xf
	v_cndmask_b32_e64 v29, 0, v29, s3
	s_delay_alu instid0(VALU_DEP_1)
	v_add_nc_u32_e32 v28, v28, v29
	ds_store_b32 v23, v28
.LBB177_32:                             ;   in Loop: Header=BB177_2 Depth=1
	s_or_b32 exec_lo, exec_lo, s9
	v_mov_b32_e32 v28, 0
	s_waitcnt lgkmcnt(0)
	s_barrier
	buffer_gl0_inv
	s_and_saveexec_b32 s9, s6
	s_cbranch_execz .LBB177_34
; %bb.33:                               ;   in Loop: Header=BB177_2 Depth=1
	ds_load_b32 v28, v24
.LBB177_34:                             ;   in Loop: Header=BB177_2 Depth=1
	s_or_b32 exec_lo, exec_lo, s9
	s_waitcnt lgkmcnt(0)
	v_add_nc_u32_e32 v3, v28, v3
	ds_bpermute_b32 v3, v22, v3
	s_waitcnt lgkmcnt(0)
	v_cndmask_b32_e32 v3, v3, v28, vcc_lo
	s_delay_alu instid0(VALU_DEP_1) | instskip(NEXT) | instid1(VALU_DEP_1)
	v_cndmask_b32_e64 v3, v3, 0, s7
	v_add_nc_u32_e32 v4, v3, v4
	s_delay_alu instid0(VALU_DEP_1) | instskip(NEXT) | instid1(VALU_DEP_1)
	v_add_nc_u32_e32 v5, v4, v5
	v_add_nc_u32_e32 v6, v5, v6
	s_delay_alu instid0(VALU_DEP_1) | instskip(NEXT) | instid1(VALU_DEP_1)
	v_add_nc_u32_e32 v28, v6, v7
	;; [unrolled: 3-line block ×3, first 2 shown]
	v_add_nc_u32_e32 v1, v0, v2
	ds_store_2addr_b64 v19, v[3:4], v[5:6] offset0:5 offset1:6
	ds_store_2addr_b64 v20, v[28:29], v[0:1] offset0:2 offset1:3
	s_waitcnt lgkmcnt(0)
	s_barrier
	buffer_gl0_inv
	ds_load_b32 v0, v18
	v_lshlrev_b32_e32 v1, 3, v17
	s_waitcnt lgkmcnt(0)
	s_barrier
	buffer_gl0_inv
	v_lshl_add_u32 v0, v0, 3, v1
	v_dual_mov_b32 v1, s20 :: v_dual_mov_b32 v2, s21
	ds_store_b64 v0, v[13:14]
	s_waitcnt lgkmcnt(0)
	s_barrier
	buffer_gl0_inv
	ds_load_b64 v[13:14], v25
	s_waitcnt lgkmcnt(0)
	s_barrier
	buffer_gl0_inv
	ds_store_b64 v0, v[15:16]
	s_waitcnt lgkmcnt(0)
	s_barrier
	buffer_gl0_inv
	ds_load_b64 v[15:16], v25
	s_waitcnt lgkmcnt(0)
	s_barrier
	buffer_gl0_inv
	v_and_b32_e32 v3, 1, v13
	v_lshlrev_b32_e32 v4, 30, v13
	v_lshlrev_b32_e32 v5, 29, v13
	;; [unrolled: 1-line block ×4, first 2 shown]
	v_add_co_u32 v3, s9, v3, -1
	s_delay_alu instid0(VALU_DEP_1)
	v_cndmask_b32_e64 v7, 0, 1, s9
	v_not_b32_e32 v29, v4
	v_cmp_gt_i32_e64 s10, 0, v4
	v_not_b32_e32 v4, v5
	v_lshlrev_b32_e32 v18, 26, v13
	v_cmp_ne_u32_e64 s9, 0, v7
	v_ashrrev_i32_e32 v29, 31, v29
	v_lshlrev_b32_e32 v28, 25, v13
	v_ashrrev_i32_e32 v4, 31, v4
	v_lshlrev_b32_e32 v7, 24, v13
	v_xor_b32_e32 v3, s9, v3
	v_cmp_gt_i32_e64 s9, 0, v5
	v_not_b32_e32 v5, v6
	v_xor_b32_e32 v29, s10, v29
	v_cmp_gt_i32_e64 s10, 0, v6
	v_and_b32_e32 v3, exec_lo, v3
	v_not_b32_e32 v6, v17
	v_ashrrev_i32_e32 v5, 31, v5
	v_xor_b32_e32 v4, s9, v4
	v_cmp_gt_i32_e64 s9, 0, v17
	v_and_b32_e32 v3, v3, v29
	v_not_b32_e32 v17, v18
	v_ashrrev_i32_e32 v6, 31, v6
	v_xor_b32_e32 v5, s10, v5
	v_cmp_gt_i32_e64 s10, 0, v18
	v_and_b32_e32 v3, v3, v4
	;; [unrolled: 5-line block ×4, first 2 shown]
	v_ashrrev_i32_e32 v5, 31, v5
	v_xor_b32_e32 v4, s9, v4
	s_delay_alu instid0(VALU_DEP_3) | instskip(NEXT) | instid1(VALU_DEP_3)
	v_and_b32_e32 v3, v3, v17
	v_xor_b32_e32 v0, s10, v5
	s_delay_alu instid0(VALU_DEP_2)
	v_and_b32_e32 v5, v3, v4
	v_dual_mov_b32 v3, s14 :: v_dual_mov_b32 v4, s15
	ds_store_2addr_b64 v19, v[1:2], v[3:4] offset0:5 offset1:6
	ds_store_2addr_b64 v20, v[1:2], v[3:4] offset0:2 offset1:3
	v_and_b32_e32 v0, v5, v0
	v_and_b32_e32 v5, 0xff, v13
	s_waitcnt lgkmcnt(0)
	s_barrier
	buffer_gl0_inv
	v_mbcnt_lo_u32_b32 v17, v0, 0
	v_mad_u32_u24 v1, v5, 10, v26
	v_cmp_ne_u32_e64 s10, 0, v0
	; wave barrier
	s_delay_alu instid0(VALU_DEP_3) | instskip(NEXT) | instid1(VALU_DEP_3)
	v_cmp_eq_u32_e64 s9, 0, v17
	v_lshl_add_u32 v18, v1, 2, 40
	s_delay_alu instid0(VALU_DEP_2) | instskip(NEXT) | instid1(SALU_CYCLE_1)
	s_and_b32 s10, s10, s9
	s_and_saveexec_b32 s9, s10
	s_cbranch_execz .LBB177_36
; %bb.35:                               ;   in Loop: Header=BB177_2 Depth=1
	v_bcnt_u32_b32 v0, v0, 0
	ds_store_b32 v18, v0
.LBB177_36:                             ;   in Loop: Header=BB177_2 Depth=1
	s_or_b32 exec_lo, exec_lo, s9
	; wave barrier
	s_waitcnt lgkmcnt(0)
	s_barrier
	buffer_gl0_inv
	ds_load_2addr_b64 v[4:7], v19 offset0:5 offset1:6
	ds_load_2addr_b64 v[0:3], v20 offset0:2 offset1:3
	s_waitcnt lgkmcnt(1)
	v_add_nc_u32_e32 v28, v5, v4
	s_delay_alu instid0(VALU_DEP_1) | instskip(SKIP_1) | instid1(VALU_DEP_1)
	v_add3_u32 v28, v28, v6, v7
	s_waitcnt lgkmcnt(0)
	v_add3_u32 v28, v28, v0, v1
	s_delay_alu instid0(VALU_DEP_1) | instskip(NEXT) | instid1(VALU_DEP_1)
	v_add3_u32 v3, v28, v2, v3
	v_mov_b32_dpp v28, v3 row_shr:1 row_mask:0xf bank_mask:0xf
	s_delay_alu instid0(VALU_DEP_1) | instskip(NEXT) | instid1(VALU_DEP_1)
	v_cndmask_b32_e64 v28, v28, 0, s0
	v_add_nc_u32_e32 v3, v28, v3
	s_delay_alu instid0(VALU_DEP_1) | instskip(NEXT) | instid1(VALU_DEP_1)
	v_mov_b32_dpp v28, v3 row_shr:2 row_mask:0xf bank_mask:0xf
	v_cndmask_b32_e64 v28, 0, v28, s1
	s_delay_alu instid0(VALU_DEP_1) | instskip(NEXT) | instid1(VALU_DEP_1)
	v_add_nc_u32_e32 v3, v3, v28
	v_mov_b32_dpp v28, v3 row_shr:4 row_mask:0xf bank_mask:0xf
	s_delay_alu instid0(VALU_DEP_1) | instskip(NEXT) | instid1(VALU_DEP_1)
	v_cndmask_b32_e64 v28, 0, v28, s2
	v_add_nc_u32_e32 v3, v3, v28
	s_delay_alu instid0(VALU_DEP_1) | instskip(NEXT) | instid1(VALU_DEP_1)
	v_mov_b32_dpp v28, v3 row_shr:8 row_mask:0xf bank_mask:0xf
	v_cndmask_b32_e64 v28, 0, v28, s3
	s_delay_alu instid0(VALU_DEP_1) | instskip(SKIP_3) | instid1(VALU_DEP_1)
	v_add_nc_u32_e32 v3, v3, v28
	ds_swizzle_b32 v28, v3 offset:swizzle(BROADCAST,32,15)
	s_waitcnt lgkmcnt(0)
	v_cndmask_b32_e64 v28, v28, 0, s4
	v_add_nc_u32_e32 v3, v3, v28
	s_and_saveexec_b32 s9, s8
	s_cbranch_execz .LBB177_38
; %bb.37:                               ;   in Loop: Header=BB177_2 Depth=1
	ds_store_b32 v21, v3
.LBB177_38:                             ;   in Loop: Header=BB177_2 Depth=1
	s_or_b32 exec_lo, exec_lo, s9
	s_waitcnt lgkmcnt(0)
	s_barrier
	buffer_gl0_inv
	s_and_saveexec_b32 s9, s5
	s_cbranch_execz .LBB177_40
; %bb.39:                               ;   in Loop: Header=BB177_2 Depth=1
	ds_load_b32 v28, v23
	s_waitcnt lgkmcnt(0)
	v_mov_b32_dpp v29, v28 row_shr:1 row_mask:0xf bank_mask:0xf
	s_delay_alu instid0(VALU_DEP_1) | instskip(NEXT) | instid1(VALU_DEP_1)
	v_cndmask_b32_e64 v29, v29, 0, s0
	v_add_nc_u32_e32 v28, v29, v28
	s_delay_alu instid0(VALU_DEP_1) | instskip(NEXT) | instid1(VALU_DEP_1)
	v_mov_b32_dpp v29, v28 row_shr:2 row_mask:0xf bank_mask:0xf
	v_cndmask_b32_e64 v29, 0, v29, s1
	s_delay_alu instid0(VALU_DEP_1) | instskip(NEXT) | instid1(VALU_DEP_1)
	v_add_nc_u32_e32 v28, v28, v29
	v_mov_b32_dpp v29, v28 row_shr:4 row_mask:0xf bank_mask:0xf
	s_delay_alu instid0(VALU_DEP_1) | instskip(NEXT) | instid1(VALU_DEP_1)
	v_cndmask_b32_e64 v29, 0, v29, s2
	v_add_nc_u32_e32 v28, v28, v29
	s_delay_alu instid0(VALU_DEP_1) | instskip(NEXT) | instid1(VALU_DEP_1)
	v_mov_b32_dpp v29, v28 row_shr:8 row_mask:0xf bank_mask:0xf
	v_cndmask_b32_e64 v29, 0, v29, s3
	s_delay_alu instid0(VALU_DEP_1)
	v_add_nc_u32_e32 v28, v28, v29
	ds_store_b32 v23, v28
.LBB177_40:                             ;   in Loop: Header=BB177_2 Depth=1
	s_or_b32 exec_lo, exec_lo, s9
	v_mov_b32_e32 v28, 0
	s_waitcnt lgkmcnt(0)
	s_barrier
	buffer_gl0_inv
	s_and_saveexec_b32 s9, s6
	s_cbranch_execz .LBB177_42
; %bb.41:                               ;   in Loop: Header=BB177_2 Depth=1
	ds_load_b32 v28, v24
.LBB177_42:                             ;   in Loop: Header=BB177_2 Depth=1
	s_or_b32 exec_lo, exec_lo, s9
	s_waitcnt lgkmcnt(0)
	v_add_nc_u32_e32 v3, v28, v3
	ds_bpermute_b32 v3, v22, v3
	s_waitcnt lgkmcnt(0)
	v_cndmask_b32_e32 v3, v3, v28, vcc_lo
	s_delay_alu instid0(VALU_DEP_1) | instskip(NEXT) | instid1(VALU_DEP_1)
	v_cndmask_b32_e64 v3, v3, 0, s7
	v_add_nc_u32_e32 v4, v3, v4
	s_delay_alu instid0(VALU_DEP_1) | instskip(NEXT) | instid1(VALU_DEP_1)
	v_add_nc_u32_e32 v5, v4, v5
	v_add_nc_u32_e32 v6, v5, v6
	s_delay_alu instid0(VALU_DEP_1) | instskip(NEXT) | instid1(VALU_DEP_1)
	v_add_nc_u32_e32 v28, v6, v7
	;; [unrolled: 3-line block ×3, first 2 shown]
	v_add_nc_u32_e32 v1, v0, v2
	ds_store_2addr_b64 v19, v[3:4], v[5:6] offset0:5 offset1:6
	ds_store_2addr_b64 v20, v[28:29], v[0:1] offset0:2 offset1:3
	s_waitcnt lgkmcnt(0)
	s_barrier
	buffer_gl0_inv
	ds_load_b32 v0, v18
	v_lshlrev_b32_e32 v1, 3, v17
	s_waitcnt lgkmcnt(0)
	s_barrier
	buffer_gl0_inv
	v_lshl_add_u32 v0, v0, 3, v1
	v_dual_mov_b32 v1, s20 :: v_dual_mov_b32 v2, s21
	ds_store_b64 v0, v[13:14]
	s_waitcnt lgkmcnt(0)
	s_barrier
	buffer_gl0_inv
	ds_load_b64 v[13:14], v25
	s_waitcnt lgkmcnt(0)
	s_barrier
	buffer_gl0_inv
	ds_store_b64 v0, v[15:16]
	s_waitcnt lgkmcnt(0)
	s_barrier
	buffer_gl0_inv
	ds_load_b64 v[15:16], v25
	s_waitcnt lgkmcnt(0)
	s_barrier
	buffer_gl0_inv
	v_bfe_u32 v3, v13, 8, 1
	v_lshrrev_b32_e32 v4, 8, v13
	s_delay_alu instid0(VALU_DEP_2) | instskip(NEXT) | instid1(VALU_DEP_1)
	v_add_co_u32 v3, s9, v3, -1
	v_cndmask_b32_e64 v5, 0, 1, s9
	s_delay_alu instid0(VALU_DEP_3)
	v_lshlrev_b32_e32 v6, 30, v4
	v_lshlrev_b32_e32 v7, 29, v4
	;; [unrolled: 1-line block ×4, first 2 shown]
	v_cmp_ne_u32_e64 s9, 0, v5
	v_not_b32_e32 v5, v6
	v_cmp_gt_i32_e64 s10, 0, v6
	v_not_b32_e32 v6, v7
	v_lshlrev_b32_e32 v28, 26, v4
	v_xor_b32_e32 v3, s9, v3
	v_ashrrev_i32_e32 v5, 31, v5
	v_cmp_gt_i32_e64 s9, 0, v7
	v_not_b32_e32 v7, v17
	v_ashrrev_i32_e32 v6, 31, v6
	v_and_b32_e32 v3, exec_lo, v3
	v_xor_b32_e32 v5, s10, v5
	v_cmp_gt_i32_e64 s10, 0, v17
	v_not_b32_e32 v17, v18
	v_ashrrev_i32_e32 v7, 31, v7
	v_xor_b32_e32 v6, s9, v6
	v_and_b32_e32 v3, v3, v5
	v_lshlrev_b32_e32 v29, 25, v4
	v_cmp_gt_i32_e64 s9, 0, v18
	v_not_b32_e32 v5, v28
	v_ashrrev_i32_e32 v17, 31, v17
	v_xor_b32_e32 v7, s10, v7
	v_and_b32_e32 v3, v3, v6
	v_lshlrev_b32_e32 v4, 24, v4
	v_cmp_gt_i32_e64 s10, 0, v28
	v_not_b32_e32 v6, v29
	v_ashrrev_i32_e32 v5, 31, v5
	v_xor_b32_e32 v17, s9, v17
	v_and_b32_e32 v3, v3, v7
	v_cmp_gt_i32_e64 s9, 0, v29
	v_not_b32_e32 v7, v4
	v_ashrrev_i32_e32 v6, 31, v6
	v_xor_b32_e32 v5, s10, v5
	v_and_b32_e32 v3, v3, v17
	v_cmp_gt_i32_e64 s10, 0, v4
	v_ashrrev_i32_e32 v4, 31, v7
	v_xor_b32_e32 v6, s9, v6
	s_delay_alu instid0(VALU_DEP_4) | instskip(NEXT) | instid1(VALU_DEP_3)
	v_and_b32_e32 v3, v3, v5
	v_xor_b32_e32 v0, s10, v4
	s_delay_alu instid0(VALU_DEP_2)
	v_and_b32_e32 v5, v3, v6
	v_dual_mov_b32 v3, s14 :: v_dual_mov_b32 v4, s15
	ds_store_2addr_b64 v19, v[1:2], v[3:4] offset0:5 offset1:6
	ds_store_2addr_b64 v20, v[1:2], v[3:4] offset0:2 offset1:3
	v_and_b32_e32 v0, v5, v0
	v_bfe_u32 v5, v13, 8, 8
	s_waitcnt lgkmcnt(0)
	s_barrier
	buffer_gl0_inv
	v_mbcnt_lo_u32_b32 v17, v0, 0
	v_mad_u32_u24 v1, v5, 10, v26
	v_cmp_ne_u32_e64 s10, 0, v0
	; wave barrier
	s_delay_alu instid0(VALU_DEP_3) | instskip(NEXT) | instid1(VALU_DEP_3)
	v_cmp_eq_u32_e64 s9, 0, v17
	v_lshl_add_u32 v18, v1, 2, 40
	s_delay_alu instid0(VALU_DEP_2) | instskip(NEXT) | instid1(SALU_CYCLE_1)
	s_and_b32 s10, s10, s9
	s_and_saveexec_b32 s9, s10
	s_cbranch_execz .LBB177_44
; %bb.43:                               ;   in Loop: Header=BB177_2 Depth=1
	v_bcnt_u32_b32 v0, v0, 0
	ds_store_b32 v18, v0
.LBB177_44:                             ;   in Loop: Header=BB177_2 Depth=1
	s_or_b32 exec_lo, exec_lo, s9
	; wave barrier
	s_waitcnt lgkmcnt(0)
	s_barrier
	buffer_gl0_inv
	ds_load_2addr_b64 v[4:7], v19 offset0:5 offset1:6
	ds_load_2addr_b64 v[0:3], v20 offset0:2 offset1:3
	s_waitcnt lgkmcnt(1)
	v_add_nc_u32_e32 v28, v5, v4
	s_delay_alu instid0(VALU_DEP_1) | instskip(SKIP_1) | instid1(VALU_DEP_1)
	v_add3_u32 v28, v28, v6, v7
	s_waitcnt lgkmcnt(0)
	v_add3_u32 v28, v28, v0, v1
	s_delay_alu instid0(VALU_DEP_1) | instskip(NEXT) | instid1(VALU_DEP_1)
	v_add3_u32 v3, v28, v2, v3
	v_mov_b32_dpp v28, v3 row_shr:1 row_mask:0xf bank_mask:0xf
	s_delay_alu instid0(VALU_DEP_1) | instskip(NEXT) | instid1(VALU_DEP_1)
	v_cndmask_b32_e64 v28, v28, 0, s0
	v_add_nc_u32_e32 v3, v28, v3
	s_delay_alu instid0(VALU_DEP_1) | instskip(NEXT) | instid1(VALU_DEP_1)
	v_mov_b32_dpp v28, v3 row_shr:2 row_mask:0xf bank_mask:0xf
	v_cndmask_b32_e64 v28, 0, v28, s1
	s_delay_alu instid0(VALU_DEP_1) | instskip(NEXT) | instid1(VALU_DEP_1)
	v_add_nc_u32_e32 v3, v3, v28
	v_mov_b32_dpp v28, v3 row_shr:4 row_mask:0xf bank_mask:0xf
	s_delay_alu instid0(VALU_DEP_1) | instskip(NEXT) | instid1(VALU_DEP_1)
	v_cndmask_b32_e64 v28, 0, v28, s2
	v_add_nc_u32_e32 v3, v3, v28
	s_delay_alu instid0(VALU_DEP_1) | instskip(NEXT) | instid1(VALU_DEP_1)
	v_mov_b32_dpp v28, v3 row_shr:8 row_mask:0xf bank_mask:0xf
	v_cndmask_b32_e64 v28, 0, v28, s3
	s_delay_alu instid0(VALU_DEP_1) | instskip(SKIP_3) | instid1(VALU_DEP_1)
	v_add_nc_u32_e32 v3, v3, v28
	ds_swizzle_b32 v28, v3 offset:swizzle(BROADCAST,32,15)
	s_waitcnt lgkmcnt(0)
	v_cndmask_b32_e64 v28, v28, 0, s4
	v_add_nc_u32_e32 v3, v3, v28
	s_and_saveexec_b32 s9, s8
	s_cbranch_execz .LBB177_46
; %bb.45:                               ;   in Loop: Header=BB177_2 Depth=1
	ds_store_b32 v21, v3
.LBB177_46:                             ;   in Loop: Header=BB177_2 Depth=1
	s_or_b32 exec_lo, exec_lo, s9
	s_waitcnt lgkmcnt(0)
	s_barrier
	buffer_gl0_inv
	s_and_saveexec_b32 s9, s5
	s_cbranch_execz .LBB177_48
; %bb.47:                               ;   in Loop: Header=BB177_2 Depth=1
	ds_load_b32 v28, v23
	s_waitcnt lgkmcnt(0)
	v_mov_b32_dpp v29, v28 row_shr:1 row_mask:0xf bank_mask:0xf
	s_delay_alu instid0(VALU_DEP_1) | instskip(NEXT) | instid1(VALU_DEP_1)
	v_cndmask_b32_e64 v29, v29, 0, s0
	v_add_nc_u32_e32 v28, v29, v28
	s_delay_alu instid0(VALU_DEP_1) | instskip(NEXT) | instid1(VALU_DEP_1)
	v_mov_b32_dpp v29, v28 row_shr:2 row_mask:0xf bank_mask:0xf
	v_cndmask_b32_e64 v29, 0, v29, s1
	s_delay_alu instid0(VALU_DEP_1) | instskip(NEXT) | instid1(VALU_DEP_1)
	v_add_nc_u32_e32 v28, v28, v29
	v_mov_b32_dpp v29, v28 row_shr:4 row_mask:0xf bank_mask:0xf
	s_delay_alu instid0(VALU_DEP_1) | instskip(NEXT) | instid1(VALU_DEP_1)
	v_cndmask_b32_e64 v29, 0, v29, s2
	v_add_nc_u32_e32 v28, v28, v29
	s_delay_alu instid0(VALU_DEP_1) | instskip(NEXT) | instid1(VALU_DEP_1)
	v_mov_b32_dpp v29, v28 row_shr:8 row_mask:0xf bank_mask:0xf
	v_cndmask_b32_e64 v29, 0, v29, s3
	s_delay_alu instid0(VALU_DEP_1)
	v_add_nc_u32_e32 v28, v28, v29
	ds_store_b32 v23, v28
.LBB177_48:                             ;   in Loop: Header=BB177_2 Depth=1
	s_or_b32 exec_lo, exec_lo, s9
	v_mov_b32_e32 v28, 0
	s_waitcnt lgkmcnt(0)
	s_barrier
	buffer_gl0_inv
	s_and_saveexec_b32 s9, s6
	s_cbranch_execz .LBB177_50
; %bb.49:                               ;   in Loop: Header=BB177_2 Depth=1
	ds_load_b32 v28, v24
.LBB177_50:                             ;   in Loop: Header=BB177_2 Depth=1
	s_or_b32 exec_lo, exec_lo, s9
	s_waitcnt lgkmcnt(0)
	v_add_nc_u32_e32 v3, v28, v3
	ds_bpermute_b32 v3, v22, v3
	s_waitcnt lgkmcnt(0)
	v_cndmask_b32_e32 v3, v3, v28, vcc_lo
	s_delay_alu instid0(VALU_DEP_1) | instskip(NEXT) | instid1(VALU_DEP_1)
	v_cndmask_b32_e64 v3, v3, 0, s7
	v_add_nc_u32_e32 v4, v3, v4
	s_delay_alu instid0(VALU_DEP_1) | instskip(NEXT) | instid1(VALU_DEP_1)
	v_add_nc_u32_e32 v5, v4, v5
	v_add_nc_u32_e32 v6, v5, v6
	s_delay_alu instid0(VALU_DEP_1) | instskip(NEXT) | instid1(VALU_DEP_1)
	v_add_nc_u32_e32 v28, v6, v7
	;; [unrolled: 3-line block ×3, first 2 shown]
	v_add_nc_u32_e32 v1, v0, v2
	ds_store_2addr_b64 v19, v[3:4], v[5:6] offset0:5 offset1:6
	ds_store_2addr_b64 v20, v[28:29], v[0:1] offset0:2 offset1:3
	s_waitcnt lgkmcnt(0)
	s_barrier
	buffer_gl0_inv
	ds_load_b32 v0, v18
	v_lshlrev_b32_e32 v1, 3, v17
	s_waitcnt lgkmcnt(0)
	s_barrier
	buffer_gl0_inv
	v_lshl_add_u32 v0, v0, 3, v1
	v_dual_mov_b32 v1, s20 :: v_dual_mov_b32 v2, s21
	ds_store_b64 v0, v[13:14]
	s_waitcnt lgkmcnt(0)
	s_barrier
	buffer_gl0_inv
	ds_load_b64 v[13:14], v25
	s_waitcnt lgkmcnt(0)
	s_barrier
	buffer_gl0_inv
	ds_store_b64 v0, v[15:16]
	s_waitcnt lgkmcnt(0)
	s_barrier
	buffer_gl0_inv
	ds_load_b64 v[15:16], v25
	s_waitcnt lgkmcnt(0)
	s_barrier
	buffer_gl0_inv
	v_bfe_u32 v3, v13, 16, 1
	v_lshrrev_b32_e32 v4, 16, v13
	s_delay_alu instid0(VALU_DEP_2) | instskip(NEXT) | instid1(VALU_DEP_1)
	v_add_co_u32 v3, s9, v3, -1
	v_cndmask_b32_e64 v5, 0, 1, s9
	s_delay_alu instid0(VALU_DEP_3)
	v_lshlrev_b32_e32 v6, 30, v4
	v_lshlrev_b32_e32 v7, 29, v4
	;; [unrolled: 1-line block ×4, first 2 shown]
	v_cmp_ne_u32_e64 s9, 0, v5
	v_not_b32_e32 v5, v6
	v_cmp_gt_i32_e64 s10, 0, v6
	v_not_b32_e32 v6, v7
	v_lshlrev_b32_e32 v28, 26, v4
	v_xor_b32_e32 v3, s9, v3
	v_ashrrev_i32_e32 v5, 31, v5
	v_cmp_gt_i32_e64 s9, 0, v7
	v_not_b32_e32 v7, v17
	v_ashrrev_i32_e32 v6, 31, v6
	v_and_b32_e32 v3, exec_lo, v3
	v_xor_b32_e32 v5, s10, v5
	v_cmp_gt_i32_e64 s10, 0, v17
	v_not_b32_e32 v17, v18
	v_ashrrev_i32_e32 v7, 31, v7
	v_xor_b32_e32 v6, s9, v6
	v_and_b32_e32 v3, v3, v5
	v_lshlrev_b32_e32 v29, 25, v4
	v_cmp_gt_i32_e64 s9, 0, v18
	v_not_b32_e32 v5, v28
	v_ashrrev_i32_e32 v17, 31, v17
	v_xor_b32_e32 v7, s10, v7
	v_and_b32_e32 v3, v3, v6
	v_lshlrev_b32_e32 v4, 24, v4
	v_cmp_gt_i32_e64 s10, 0, v28
	v_not_b32_e32 v6, v29
	v_ashrrev_i32_e32 v5, 31, v5
	v_xor_b32_e32 v17, s9, v17
	v_and_b32_e32 v3, v3, v7
	v_cmp_gt_i32_e64 s9, 0, v29
	v_not_b32_e32 v7, v4
	v_ashrrev_i32_e32 v6, 31, v6
	v_xor_b32_e32 v5, s10, v5
	v_and_b32_e32 v3, v3, v17
	v_cmp_gt_i32_e64 s10, 0, v4
	v_ashrrev_i32_e32 v4, 31, v7
	v_xor_b32_e32 v6, s9, v6
	s_delay_alu instid0(VALU_DEP_4) | instskip(NEXT) | instid1(VALU_DEP_3)
	v_and_b32_e32 v3, v3, v5
	v_xor_b32_e32 v0, s10, v4
	s_delay_alu instid0(VALU_DEP_2)
	v_and_b32_e32 v5, v3, v6
	v_dual_mov_b32 v3, s14 :: v_dual_mov_b32 v4, s15
	ds_store_2addr_b64 v19, v[1:2], v[3:4] offset0:5 offset1:6
	ds_store_2addr_b64 v20, v[1:2], v[3:4] offset0:2 offset1:3
	v_and_b32_e32 v0, v5, v0
	v_bfe_u32 v5, v13, 16, 8
	s_waitcnt lgkmcnt(0)
	s_barrier
	buffer_gl0_inv
	v_mbcnt_lo_u32_b32 v17, v0, 0
	v_mad_u32_u24 v1, v5, 10, v26
	v_cmp_ne_u32_e64 s10, 0, v0
	; wave barrier
	s_delay_alu instid0(VALU_DEP_3) | instskip(NEXT) | instid1(VALU_DEP_3)
	v_cmp_eq_u32_e64 s9, 0, v17
	v_lshl_add_u32 v18, v1, 2, 40
	s_delay_alu instid0(VALU_DEP_2) | instskip(NEXT) | instid1(SALU_CYCLE_1)
	s_and_b32 s10, s10, s9
	s_and_saveexec_b32 s9, s10
	s_cbranch_execz .LBB177_52
; %bb.51:                               ;   in Loop: Header=BB177_2 Depth=1
	v_bcnt_u32_b32 v0, v0, 0
	ds_store_b32 v18, v0
.LBB177_52:                             ;   in Loop: Header=BB177_2 Depth=1
	s_or_b32 exec_lo, exec_lo, s9
	; wave barrier
	s_waitcnt lgkmcnt(0)
	s_barrier
	buffer_gl0_inv
	ds_load_2addr_b64 v[4:7], v19 offset0:5 offset1:6
	ds_load_2addr_b64 v[0:3], v20 offset0:2 offset1:3
	s_waitcnt lgkmcnt(1)
	v_add_nc_u32_e32 v28, v5, v4
	s_delay_alu instid0(VALU_DEP_1) | instskip(SKIP_1) | instid1(VALU_DEP_1)
	v_add3_u32 v28, v28, v6, v7
	s_waitcnt lgkmcnt(0)
	v_add3_u32 v28, v28, v0, v1
	s_delay_alu instid0(VALU_DEP_1) | instskip(NEXT) | instid1(VALU_DEP_1)
	v_add3_u32 v3, v28, v2, v3
	v_mov_b32_dpp v28, v3 row_shr:1 row_mask:0xf bank_mask:0xf
	s_delay_alu instid0(VALU_DEP_1) | instskip(NEXT) | instid1(VALU_DEP_1)
	v_cndmask_b32_e64 v28, v28, 0, s0
	v_add_nc_u32_e32 v3, v28, v3
	s_delay_alu instid0(VALU_DEP_1) | instskip(NEXT) | instid1(VALU_DEP_1)
	v_mov_b32_dpp v28, v3 row_shr:2 row_mask:0xf bank_mask:0xf
	v_cndmask_b32_e64 v28, 0, v28, s1
	s_delay_alu instid0(VALU_DEP_1) | instskip(NEXT) | instid1(VALU_DEP_1)
	v_add_nc_u32_e32 v3, v3, v28
	v_mov_b32_dpp v28, v3 row_shr:4 row_mask:0xf bank_mask:0xf
	s_delay_alu instid0(VALU_DEP_1) | instskip(NEXT) | instid1(VALU_DEP_1)
	v_cndmask_b32_e64 v28, 0, v28, s2
	v_add_nc_u32_e32 v3, v3, v28
	s_delay_alu instid0(VALU_DEP_1) | instskip(NEXT) | instid1(VALU_DEP_1)
	v_mov_b32_dpp v28, v3 row_shr:8 row_mask:0xf bank_mask:0xf
	v_cndmask_b32_e64 v28, 0, v28, s3
	s_delay_alu instid0(VALU_DEP_1) | instskip(SKIP_3) | instid1(VALU_DEP_1)
	v_add_nc_u32_e32 v3, v3, v28
	ds_swizzle_b32 v28, v3 offset:swizzle(BROADCAST,32,15)
	s_waitcnt lgkmcnt(0)
	v_cndmask_b32_e64 v28, v28, 0, s4
	v_add_nc_u32_e32 v3, v3, v28
	s_and_saveexec_b32 s9, s8
	s_cbranch_execz .LBB177_54
; %bb.53:                               ;   in Loop: Header=BB177_2 Depth=1
	ds_store_b32 v21, v3
.LBB177_54:                             ;   in Loop: Header=BB177_2 Depth=1
	s_or_b32 exec_lo, exec_lo, s9
	s_waitcnt lgkmcnt(0)
	s_barrier
	buffer_gl0_inv
	s_and_saveexec_b32 s9, s5
	s_cbranch_execz .LBB177_56
; %bb.55:                               ;   in Loop: Header=BB177_2 Depth=1
	ds_load_b32 v28, v23
	s_waitcnt lgkmcnt(0)
	v_mov_b32_dpp v29, v28 row_shr:1 row_mask:0xf bank_mask:0xf
	s_delay_alu instid0(VALU_DEP_1) | instskip(NEXT) | instid1(VALU_DEP_1)
	v_cndmask_b32_e64 v29, v29, 0, s0
	v_add_nc_u32_e32 v28, v29, v28
	s_delay_alu instid0(VALU_DEP_1) | instskip(NEXT) | instid1(VALU_DEP_1)
	v_mov_b32_dpp v29, v28 row_shr:2 row_mask:0xf bank_mask:0xf
	v_cndmask_b32_e64 v29, 0, v29, s1
	s_delay_alu instid0(VALU_DEP_1) | instskip(NEXT) | instid1(VALU_DEP_1)
	v_add_nc_u32_e32 v28, v28, v29
	v_mov_b32_dpp v29, v28 row_shr:4 row_mask:0xf bank_mask:0xf
	s_delay_alu instid0(VALU_DEP_1) | instskip(NEXT) | instid1(VALU_DEP_1)
	v_cndmask_b32_e64 v29, 0, v29, s2
	v_add_nc_u32_e32 v28, v28, v29
	s_delay_alu instid0(VALU_DEP_1) | instskip(NEXT) | instid1(VALU_DEP_1)
	v_mov_b32_dpp v29, v28 row_shr:8 row_mask:0xf bank_mask:0xf
	v_cndmask_b32_e64 v29, 0, v29, s3
	s_delay_alu instid0(VALU_DEP_1)
	v_add_nc_u32_e32 v28, v28, v29
	ds_store_b32 v23, v28
.LBB177_56:                             ;   in Loop: Header=BB177_2 Depth=1
	s_or_b32 exec_lo, exec_lo, s9
	v_mov_b32_e32 v28, 0
	s_waitcnt lgkmcnt(0)
	s_barrier
	buffer_gl0_inv
	s_and_saveexec_b32 s9, s6
	s_cbranch_execz .LBB177_58
; %bb.57:                               ;   in Loop: Header=BB177_2 Depth=1
	ds_load_b32 v28, v24
.LBB177_58:                             ;   in Loop: Header=BB177_2 Depth=1
	s_or_b32 exec_lo, exec_lo, s9
	s_waitcnt lgkmcnt(0)
	v_add_nc_u32_e32 v3, v28, v3
	ds_bpermute_b32 v3, v22, v3
	s_waitcnt lgkmcnt(0)
	v_cndmask_b32_e32 v3, v3, v28, vcc_lo
	s_delay_alu instid0(VALU_DEP_1) | instskip(NEXT) | instid1(VALU_DEP_1)
	v_cndmask_b32_e64 v3, v3, 0, s7
	v_add_nc_u32_e32 v4, v3, v4
	s_delay_alu instid0(VALU_DEP_1) | instskip(NEXT) | instid1(VALU_DEP_1)
	v_add_nc_u32_e32 v5, v4, v5
	v_add_nc_u32_e32 v6, v5, v6
	s_delay_alu instid0(VALU_DEP_1) | instskip(NEXT) | instid1(VALU_DEP_1)
	v_add_nc_u32_e32 v28, v6, v7
	;; [unrolled: 3-line block ×3, first 2 shown]
	v_add_nc_u32_e32 v1, v0, v2
	ds_store_2addr_b64 v19, v[3:4], v[5:6] offset0:5 offset1:6
	ds_store_2addr_b64 v20, v[28:29], v[0:1] offset0:2 offset1:3
	s_waitcnt lgkmcnt(0)
	s_barrier
	buffer_gl0_inv
	ds_load_b32 v0, v18
	v_lshlrev_b32_e32 v1, 3, v17
	s_waitcnt lgkmcnt(0)
	s_barrier
	buffer_gl0_inv
	v_lshl_add_u32 v0, v0, 3, v1
	ds_store_b64 v0, v[13:14]
	s_waitcnt lgkmcnt(0)
	s_barrier
	buffer_gl0_inv
	ds_load_b64 v[13:14], v25
	s_waitcnt lgkmcnt(0)
	s_barrier
	buffer_gl0_inv
	ds_store_b64 v0, v[15:16]
	s_waitcnt lgkmcnt(0)
	s_barrier
	buffer_gl0_inv
	v_bfe_u32 v1, v13, 24, 1
	v_lshrrev_b32_e32 v5, 24, v13
	s_delay_alu instid0(VALU_DEP_2) | instskip(NEXT) | instid1(VALU_DEP_1)
	v_add_co_u32 v1, s9, v1, -1
	v_cndmask_b32_e64 v2, 0, 1, s9
	s_delay_alu instid0(VALU_DEP_3)
	v_lshlrev_b32_e32 v3, 30, v5
	v_lshlrev_b32_e32 v4, 29, v5
	;; [unrolled: 1-line block ×4, first 2 shown]
	v_cmp_ne_u32_e64 s9, 0, v2
	v_not_b32_e32 v2, v3
	v_cmp_gt_i32_e64 s10, 0, v3
	v_not_b32_e32 v3, v4
	v_lshlrev_b32_e32 v17, 26, v5
	v_xor_b32_e32 v1, s9, v1
	v_ashrrev_i32_e32 v2, 31, v2
	v_cmp_gt_i32_e64 s9, 0, v4
	v_not_b32_e32 v4, v6
	v_ashrrev_i32_e32 v3, 31, v3
	v_and_b32_e32 v1, exec_lo, v1
	v_xor_b32_e32 v2, s10, v2
	v_cmp_gt_i32_e64 s10, 0, v6
	v_not_b32_e32 v6, v7
	v_ashrrev_i32_e32 v4, 31, v4
	v_xor_b32_e32 v3, s9, v3
	v_and_b32_e32 v1, v1, v2
	v_lshlrev_b32_e32 v18, 25, v5
	v_cmp_gt_i32_e64 s9, 0, v7
	v_not_b32_e32 v2, v17
	v_ashrrev_i32_e32 v6, 31, v6
	v_xor_b32_e32 v4, s10, v4
	v_and_b32_e32 v1, v1, v3
	v_cmp_gt_i32_e64 s10, 0, v17
	v_not_b32_e32 v3, v18
	v_ashrrev_i32_e32 v2, 31, v2
	v_xor_b32_e32 v6, s9, v6
	v_and_b32_e32 v1, v1, v4
	v_not_b32_e32 v4, v13
	v_cmp_gt_i32_e64 s9, 0, v18
	v_ashrrev_i32_e32 v3, 31, v3
	v_xor_b32_e32 v2, s10, v2
	v_and_b32_e32 v1, v1, v6
	v_cmp_gt_i32_e64 s10, 0, v13
	v_ashrrev_i32_e32 v4, 31, v4
	v_xor_b32_e32 v3, s9, v3
	ds_load_b64 v[17:18], v25
	v_and_b32_e32 v1, v1, v2
	s_waitcnt lgkmcnt(0)
	v_xor_b32_e32 v0, s10, v4
	s_barrier
	buffer_gl0_inv
	v_and_b32_e32 v3, v1, v3
	v_dual_mov_b32 v1, s20 :: v_dual_mov_b32 v2, s21
	s_delay_alu instid0(VALU_DEP_2)
	v_dual_mov_b32 v3, s14 :: v_dual_and_b32 v0, v3, v0
	v_mov_b32_e32 v4, s15
	ds_store_2addr_b64 v19, v[1:2], v[3:4] offset0:5 offset1:6
	ds_store_2addr_b64 v20, v[1:2], v[3:4] offset0:2 offset1:3
	v_mbcnt_lo_u32_b32 v15, v0, 0
	v_mad_u32_u24 v1, v5, 10, v26
	v_cmp_ne_u32_e64 s10, 0, v0
	s_waitcnt lgkmcnt(0)
	s_barrier
	v_cmp_eq_u32_e64 s9, 0, v15
	v_lshl_add_u32 v16, v1, 2, 40
	buffer_gl0_inv
	; wave barrier
	s_and_b32 s10, s10, s9
	s_delay_alu instid0(SALU_CYCLE_1)
	s_and_saveexec_b32 s9, s10
	s_cbranch_execz .LBB177_60
; %bb.59:                               ;   in Loop: Header=BB177_2 Depth=1
	v_bcnt_u32_b32 v0, v0, 0
	ds_store_b32 v16, v0
.LBB177_60:                             ;   in Loop: Header=BB177_2 Depth=1
	s_or_b32 exec_lo, exec_lo, s9
	; wave barrier
	s_waitcnt lgkmcnt(0)
	s_barrier
	buffer_gl0_inv
	ds_load_2addr_b64 v[4:7], v19 offset0:5 offset1:6
	ds_load_2addr_b64 v[0:3], v20 offset0:2 offset1:3
	s_waitcnt lgkmcnt(1)
	v_add_nc_u32_e32 v28, v5, v4
	s_delay_alu instid0(VALU_DEP_1) | instskip(SKIP_1) | instid1(VALU_DEP_1)
	v_add3_u32 v28, v28, v6, v7
	s_waitcnt lgkmcnt(0)
	v_add3_u32 v28, v28, v0, v1
	s_delay_alu instid0(VALU_DEP_1) | instskip(NEXT) | instid1(VALU_DEP_1)
	v_add3_u32 v3, v28, v2, v3
	v_mov_b32_dpp v28, v3 row_shr:1 row_mask:0xf bank_mask:0xf
	s_delay_alu instid0(VALU_DEP_1) | instskip(NEXT) | instid1(VALU_DEP_1)
	v_cndmask_b32_e64 v28, v28, 0, s0
	v_add_nc_u32_e32 v3, v28, v3
	s_delay_alu instid0(VALU_DEP_1) | instskip(NEXT) | instid1(VALU_DEP_1)
	v_mov_b32_dpp v28, v3 row_shr:2 row_mask:0xf bank_mask:0xf
	v_cndmask_b32_e64 v28, 0, v28, s1
	s_delay_alu instid0(VALU_DEP_1) | instskip(NEXT) | instid1(VALU_DEP_1)
	v_add_nc_u32_e32 v3, v3, v28
	v_mov_b32_dpp v28, v3 row_shr:4 row_mask:0xf bank_mask:0xf
	s_delay_alu instid0(VALU_DEP_1) | instskip(NEXT) | instid1(VALU_DEP_1)
	v_cndmask_b32_e64 v28, 0, v28, s2
	v_add_nc_u32_e32 v3, v3, v28
	s_delay_alu instid0(VALU_DEP_1) | instskip(NEXT) | instid1(VALU_DEP_1)
	v_mov_b32_dpp v28, v3 row_shr:8 row_mask:0xf bank_mask:0xf
	v_cndmask_b32_e64 v28, 0, v28, s3
	s_delay_alu instid0(VALU_DEP_1) | instskip(SKIP_3) | instid1(VALU_DEP_1)
	v_add_nc_u32_e32 v3, v3, v28
	ds_swizzle_b32 v28, v3 offset:swizzle(BROADCAST,32,15)
	s_waitcnt lgkmcnt(0)
	v_cndmask_b32_e64 v28, v28, 0, s4
	v_add_nc_u32_e32 v3, v3, v28
	s_and_saveexec_b32 s9, s8
	s_cbranch_execz .LBB177_62
; %bb.61:                               ;   in Loop: Header=BB177_2 Depth=1
	ds_store_b32 v21, v3
.LBB177_62:                             ;   in Loop: Header=BB177_2 Depth=1
	s_or_b32 exec_lo, exec_lo, s9
	s_waitcnt lgkmcnt(0)
	s_barrier
	buffer_gl0_inv
	s_and_saveexec_b32 s9, s5
	s_cbranch_execz .LBB177_64
; %bb.63:                               ;   in Loop: Header=BB177_2 Depth=1
	ds_load_b32 v28, v23
	s_waitcnt lgkmcnt(0)
	v_mov_b32_dpp v29, v28 row_shr:1 row_mask:0xf bank_mask:0xf
	s_delay_alu instid0(VALU_DEP_1) | instskip(NEXT) | instid1(VALU_DEP_1)
	v_cndmask_b32_e64 v29, v29, 0, s0
	v_add_nc_u32_e32 v28, v29, v28
	s_delay_alu instid0(VALU_DEP_1) | instskip(NEXT) | instid1(VALU_DEP_1)
	v_mov_b32_dpp v29, v28 row_shr:2 row_mask:0xf bank_mask:0xf
	v_cndmask_b32_e64 v29, 0, v29, s1
	s_delay_alu instid0(VALU_DEP_1) | instskip(NEXT) | instid1(VALU_DEP_1)
	v_add_nc_u32_e32 v28, v28, v29
	v_mov_b32_dpp v29, v28 row_shr:4 row_mask:0xf bank_mask:0xf
	s_delay_alu instid0(VALU_DEP_1) | instskip(NEXT) | instid1(VALU_DEP_1)
	v_cndmask_b32_e64 v29, 0, v29, s2
	v_add_nc_u32_e32 v28, v28, v29
	s_delay_alu instid0(VALU_DEP_1) | instskip(NEXT) | instid1(VALU_DEP_1)
	v_mov_b32_dpp v29, v28 row_shr:8 row_mask:0xf bank_mask:0xf
	v_cndmask_b32_e64 v29, 0, v29, s3
	s_delay_alu instid0(VALU_DEP_1)
	v_add_nc_u32_e32 v28, v28, v29
	ds_store_b32 v23, v28
.LBB177_64:                             ;   in Loop: Header=BB177_2 Depth=1
	s_or_b32 exec_lo, exec_lo, s9
	v_mov_b32_e32 v28, 0
	s_waitcnt lgkmcnt(0)
	s_barrier
	buffer_gl0_inv
	s_and_saveexec_b32 s9, s6
	s_cbranch_execz .LBB177_1
; %bb.65:                               ;   in Loop: Header=BB177_2 Depth=1
	ds_load_b32 v28, v24
	s_branch .LBB177_1
.LBB177_66:
	s_waitcnt lgkmcnt(0)
	v_add3_u32 v0, v13, v15, 0x80000000
	v_add3_u32 v1, v14, v16, 0x80000000
	v_lshlrev_b32_e32 v2, 3, v8
	s_add_u32 s0, s18, s12
	s_addc_u32 s1, s19, s13
	global_store_b64 v2, v[0:1], s[0:1]
	s_nop 0
	s_sendmsg sendmsg(MSG_DEALLOC_VGPRS)
	s_endpgm
	.section	.rodata,"a",@progbits
	.p2align	6, 0x0
	.amdhsa_kernel _Z17sort_pairs_kernelI22helper_blocked_blockedN15benchmark_utils11custom_typeIiiEELj320ELj1ELj10EEvPKT0_PS4_
		.amdhsa_group_segment_fixed_size 10288
		.amdhsa_private_segment_fixed_size 0
		.amdhsa_kernarg_size 272
		.amdhsa_user_sgpr_count 15
		.amdhsa_user_sgpr_dispatch_ptr 0
		.amdhsa_user_sgpr_queue_ptr 0
		.amdhsa_user_sgpr_kernarg_segment_ptr 1
		.amdhsa_user_sgpr_dispatch_id 0
		.amdhsa_user_sgpr_private_segment_size 0
		.amdhsa_wavefront_size32 1
		.amdhsa_uses_dynamic_stack 0
		.amdhsa_enable_private_segment 0
		.amdhsa_system_sgpr_workgroup_id_x 1
		.amdhsa_system_sgpr_workgroup_id_y 0
		.amdhsa_system_sgpr_workgroup_id_z 0
		.amdhsa_system_sgpr_workgroup_info 0
		.amdhsa_system_vgpr_workitem_id 2
		.amdhsa_next_free_vgpr 30
		.amdhsa_next_free_sgpr 22
		.amdhsa_reserve_vcc 1
		.amdhsa_float_round_mode_32 0
		.amdhsa_float_round_mode_16_64 0
		.amdhsa_float_denorm_mode_32 3
		.amdhsa_float_denorm_mode_16_64 3
		.amdhsa_dx10_clamp 1
		.amdhsa_ieee_mode 1
		.amdhsa_fp16_overflow 0
		.amdhsa_workgroup_processor_mode 1
		.amdhsa_memory_ordered 1
		.amdhsa_forward_progress 0
		.amdhsa_shared_vgpr_count 0
		.amdhsa_exception_fp_ieee_invalid_op 0
		.amdhsa_exception_fp_denorm_src 0
		.amdhsa_exception_fp_ieee_div_zero 0
		.amdhsa_exception_fp_ieee_overflow 0
		.amdhsa_exception_fp_ieee_underflow 0
		.amdhsa_exception_fp_ieee_inexact 0
		.amdhsa_exception_int_div_zero 0
	.end_amdhsa_kernel
	.section	.text._Z17sort_pairs_kernelI22helper_blocked_blockedN15benchmark_utils11custom_typeIiiEELj320ELj1ELj10EEvPKT0_PS4_,"axG",@progbits,_Z17sort_pairs_kernelI22helper_blocked_blockedN15benchmark_utils11custom_typeIiiEELj320ELj1ELj10EEvPKT0_PS4_,comdat
.Lfunc_end177:
	.size	_Z17sort_pairs_kernelI22helper_blocked_blockedN15benchmark_utils11custom_typeIiiEELj320ELj1ELj10EEvPKT0_PS4_, .Lfunc_end177-_Z17sort_pairs_kernelI22helper_blocked_blockedN15benchmark_utils11custom_typeIiiEELj320ELj1ELj10EEvPKT0_PS4_
                                        ; -- End function
	.section	.AMDGPU.csdata,"",@progbits
; Kernel info:
; codeLenInByte = 8724
; NumSgprs: 24
; NumVgprs: 30
; ScratchSize: 0
; MemoryBound: 0
; FloatMode: 240
; IeeeMode: 1
; LDSByteSize: 10288 bytes/workgroup (compile time only)
; SGPRBlocks: 2
; VGPRBlocks: 3
; NumSGPRsForWavesPerEU: 24
; NumVGPRsForWavesPerEU: 30
; Occupancy: 15
; WaveLimiterHint : 0
; COMPUTE_PGM_RSRC2:SCRATCH_EN: 0
; COMPUTE_PGM_RSRC2:USER_SGPR: 15
; COMPUTE_PGM_RSRC2:TRAP_HANDLER: 0
; COMPUTE_PGM_RSRC2:TGID_X_EN: 1
; COMPUTE_PGM_RSRC2:TGID_Y_EN: 0
; COMPUTE_PGM_RSRC2:TGID_Z_EN: 0
; COMPUTE_PGM_RSRC2:TIDIG_COMP_CNT: 2
	.section	.text._Z16sort_keys_kernelI22helper_blocked_blockedN15benchmark_utils11custom_typeIiiEELj320ELj3ELj10EEvPKT0_PS4_,"axG",@progbits,_Z16sort_keys_kernelI22helper_blocked_blockedN15benchmark_utils11custom_typeIiiEELj320ELj3ELj10EEvPKT0_PS4_,comdat
	.protected	_Z16sort_keys_kernelI22helper_blocked_blockedN15benchmark_utils11custom_typeIiiEELj320ELj3ELj10EEvPKT0_PS4_ ; -- Begin function _Z16sort_keys_kernelI22helper_blocked_blockedN15benchmark_utils11custom_typeIiiEELj320ELj3ELj10EEvPKT0_PS4_
	.globl	_Z16sort_keys_kernelI22helper_blocked_blockedN15benchmark_utils11custom_typeIiiEELj320ELj3ELj10EEvPKT0_PS4_
	.p2align	8
	.type	_Z16sort_keys_kernelI22helper_blocked_blockedN15benchmark_utils11custom_typeIiiEELj320ELj3ELj10EEvPKT0_PS4_,@function
_Z16sort_keys_kernelI22helper_blocked_blockedN15benchmark_utils11custom_typeIiiEELj320ELj3ELj10EEvPKT0_PS4_: ; @_Z16sort_keys_kernelI22helper_blocked_blockedN15benchmark_utils11custom_typeIiiEELj320ELj3ELj10EEvPKT0_PS4_
; %bb.0:
	s_clause 0x1
	s_load_b128 s[16:19], s[0:1], 0x0
	s_load_b32 s2, s[0:1], 0x1c
	s_mov_b32 s13, 0
	s_mul_i32 s12, s15, 0x3c0
	v_bfe_u32 v9, v0, 10, 10
	s_lshl_b64 s[14:15], s[12:13], 3
	s_mov_b32 s12, s13
	v_and_b32_e32 v8, 0x3ff, v0
	v_bfe_u32 v0, v0, 20, 10
	v_mbcnt_lo_u32_b32 v12, -1, 0
	s_mov_b32 s10, s13
	s_mov_b32 s11, s13
	v_lshlrev_b32_e32 v3, 3, v8
	v_lshrrev_b32_e32 v7, 5, v8
	v_add_nc_u32_e32 v14, -1, v12
	v_cmp_eq_u32_e64 s8, 0, v12
	s_delay_alu instid0(VALU_DEP_3)
	v_mul_u32_u24_e32 v11, 0x60, v7
	v_lshlrev_b32_e32 v25, 2, v7
	s_waitcnt lgkmcnt(0)
	s_add_u32 s0, s16, s14
	s_addc_u32 s1, s17, s15
	v_add_co_u32 v1, s3, s0, v3
	s_delay_alu instid0(VALU_DEP_1) | instskip(SKIP_1) | instid1(VALU_DEP_3)
	v_add_co_ci_u32_e64 v2, null, s1, 0, s3
	v_add_nc_u32_e32 v27, -4, v25
	v_add_co_u32 v5, vcc_lo, 0x1000, v1
	s_delay_alu instid0(VALU_DEP_3)
	v_add_co_ci_u32_e32 v6, vcc_lo, 0, v2, vcc_lo
	v_cmp_gt_i32_e32 vcc_lo, 0, v14
	s_clause 0x2
	global_load_b64 v[1:2], v3, s[0:1]
	global_load_b64 v[3:4], v3, s[0:1] offset:2560
	global_load_b64 v[5:6], v[5:6], off offset:1024
	s_lshr_b32 s0, s2, 16
	v_lshlrev_b32_e32 v13, 3, v11
	v_mad_u32_u24 v0, v0, s0, v9
	s_and_b32 s0, s2, 0xffff
	s_delay_alu instid0(VALU_DEP_1) | instid1(SALU_CYCLE_1)
	v_mad_u64_u32 v[9:10], null, v0, s0, v[8:9]
	v_or_b32_e32 v0, v12, v11
	v_and_b32_e32 v11, 0x1e0, v8
	v_and_b32_e32 v10, 15, v12
	s_delay_alu instid0(VALU_DEP_3) | instskip(NEXT) | instid1(VALU_DEP_3)
	v_lshlrev_b32_e32 v22, 3, v0
	v_min_u32_e32 v0, 0x120, v11
	s_delay_alu instid0(VALU_DEP_3)
	v_cmp_eq_u32_e64 s0, 0, v10
	v_cmp_lt_u32_e64 s1, 1, v10
	v_cmp_lt_u32_e64 s2, 3, v10
	;; [unrolled: 1-line block ×3, first 2 shown]
	v_or_b32_e32 v0, 31, v0
	v_cndmask_b32_e32 v10, v14, v12, vcc_lo
	v_mad_u32_u24 v21, v12, 24, v13
	v_and_b32_e32 v13, 16, v12
	v_lshrrev_b32_e32 v9, 5, v9
	v_cmp_eq_u32_e64 s5, v0, v8
	v_mul_u32_u24_e32 v0, 3, v11
	v_lshlrev_b32_e32 v24, 2, v10
	v_dual_mov_b32 v10, s12 :: v_dual_mov_b32 v11, s13
	v_lshlrev_b32_e32 v20, 5, v8
	s_delay_alu instid0(VALU_DEP_4)
	v_or_b32_e32 v0, v12, v0
	v_cmp_eq_u32_e64 s4, 0, v13
	v_mov_b32_e32 v13, s11
	v_cmp_gt_u32_e64 s6, 10, v8
	v_mad_i32_i24 v26, 0xffffffe4, v8, v20
	v_lshlrev_b32_e32 v28, 3, v0
	v_mul_u32_u24_e32 v0, 20, v8
	v_add_nc_u32_e32 v23, 40, v20
	v_cmp_lt_u32_e64 s7, 31, v8
	v_cmp_eq_u32_e64 s9, 0, v8
	s_delay_alu instid0(VALU_DEP_4)
	v_dual_mov_b32 v12, s10 :: v_dual_add_nc_u32 v29, v26, v0
	s_branch .LBB178_2
.LBB178_1:                              ;   in Loop: Header=BB178_2 Depth=1
	s_barrier
	buffer_gl0_inv
	ds_store_b64 v6, v[14:15]
	ds_store_b64 v7, v[18:19]
	ds_store_b64 v30, v[16:17]
	s_waitcnt lgkmcnt(0)
	s_barrier
	buffer_gl0_inv
	ds_load_2addr_b64 v[1:4], v29 offset1:1
	ds_load_b64 v[5:6], v29 offset:16
	s_add_i32 s13, s13, 1
	s_delay_alu instid0(SALU_CYCLE_1)
	s_cmp_eq_u32 s13, 10
	s_waitcnt lgkmcnt(1)
	v_xor_b32_e32 v1, 0x80000000, v1
	v_xor_b32_e32 v2, 0x80000000, v2
	;; [unrolled: 1-line block ×4, first 2 shown]
	s_waitcnt lgkmcnt(0)
	v_xor_b32_e32 v5, 0x80000000, v5
	v_xor_b32_e32 v6, 0x80000000, v6
	s_cbranch_scc1 .LBB178_18
.LBB178_2:                              ; =>This Loop Header: Depth=1
                                        ;     Child Loop BB178_4 Depth 2
	s_waitcnt vmcnt(2)
	v_xor_b32_e32 v2, 0x80000000, v2
	v_xor_b32_e32 v1, 0x80000000, v1
	s_waitcnt vmcnt(1)
	v_xor_b32_e32 v4, 0x80000000, v4
	v_xor_b32_e32 v3, 0x80000000, v3
	;; [unrolled: 3-line block ×3, first 2 shown]
	ds_store_2addr_b64 v21, v[1:2], v[3:4] offset1:1
	ds_store_b64 v21, v[5:6] offset:16
	; wave barrier
	ds_load_2addr_b64 v[0:3], v22 offset1:32
	ds_load_b64 v[4:5], v22 offset:512
	s_mov_b32 s16, 8
	s_mov_b32 s17, 32
	;; [unrolled: 1-line block ×3, first 2 shown]
	s_waitcnt lgkmcnt(0)
	s_barrier
	buffer_gl0_inv
	; wave barrier
	s_barrier
	s_branch .LBB178_4
.LBB178_3:                              ;   in Loop: Header=BB178_4 Depth=2
	s_barrier
	buffer_gl0_inv
	ds_store_b64 v6, v[14:15]
	ds_store_b64 v7, v[18:19]
	;; [unrolled: 1-line block ×3, first 2 shown]
	s_waitcnt lgkmcnt(0)
	s_barrier
	buffer_gl0_inv
	ds_load_2addr_b64 v[0:3], v28 offset1:32
	ds_load_b64 v[4:5], v28 offset:512
	s_add_i32 s17, s17, -8
	s_add_i32 s16, s16, 8
	s_add_i32 s20, s20, 8
	s_waitcnt lgkmcnt(0)
	s_barrier
	s_cbranch_execz .LBB178_1
.LBB178_4:                              ;   Parent Loop BB178_2 Depth=1
                                        ; =>  This Inner Loop Header: Depth=2
	s_min_i32 s11, s16, 32
	s_cmp_lt_u32 s20, 32
	v_dual_mov_b32 v15, v1 :: v_dual_mov_b32 v14, v0
	s_cselect_b32 vcc_lo, -1, 0
	s_cmp_gt_u32 s20, 24
	buffer_gl0_inv
	s_cselect_b32 s10, -1, 0
	s_sub_i32 s11, s11, 32
	v_lshrrev_b32_e32 v1, s20, v15
	s_add_i32 s12, s11, s17
	ds_store_2addr_b64 v20, v[10:11], v[12:13] offset0:5 offset1:6
	ds_store_2addr_b64 v23, v[10:11], v[12:13] offset0:2 offset1:3
	s_lshl_b32 s12, -1, s12
	s_waitcnt lgkmcnt(0)
	s_not_b32 s12, s12
	s_cmp_lg_u32 s11, s20
	s_barrier
	s_cselect_b32 s21, s12, -1
	s_max_i32 s22, s17, 0
	s_max_i32 s11, s20, 32
	v_and_b32_e32 v1, s21, v1
	s_sub_i32 s12, s11, s22
	s_sub_i32 s23, s11, 32
	;; [unrolled: 1-line block ×3, first 2 shown]
	v_lshrrev_b32_e32 v0, s23, v14
	s_min_i32 s11, s12, 32
	buffer_gl0_inv
	s_sub_i32 s11, s11, s23
	s_delay_alu instid0(SALU_CYCLE_1) | instskip(NEXT) | instid1(SALU_CYCLE_1)
	s_lshl_b32 s12, -1, s11
	; wave barrier
	s_not_b32 s12, s12
	s_cmp_lg_u32 s11, 32
	v_cndmask_b32_e32 v1, 0, v1, vcc_lo
	s_cselect_b32 s24, s12, -1
	s_delay_alu instid0(SALU_CYCLE_1) | instskip(NEXT) | instid1(VALU_DEP_1)
	v_and_b32_e32 v0, s24, v0
	v_lshlrev_b32_e32 v0, s22, v0
	s_delay_alu instid0(VALU_DEP_1) | instskip(NEXT) | instid1(VALU_DEP_1)
	v_cndmask_b32_e64 v0, 0, v0, s10
	v_or_b32_e32 v6, v1, v0
	s_delay_alu instid0(VALU_DEP_1)
	v_and_b32_e32 v0, 1, v6
	v_lshlrev_b32_e32 v1, 30, v6
	v_lshlrev_b32_e32 v7, 29, v6
	;; [unrolled: 1-line block ×4, first 2 shown]
	v_add_co_u32 v0, s11, v0, -1
	s_delay_alu instid0(VALU_DEP_1)
	v_cndmask_b32_e64 v17, 0, 1, s11
	v_not_b32_e32 v31, v1
	v_cmp_gt_i32_e64 s12, 0, v1
	v_not_b32_e32 v1, v7
	v_lshlrev_b32_e32 v19, 26, v6
	v_cmp_ne_u32_e64 s11, 0, v17
	v_ashrrev_i32_e32 v31, 31, v31
	v_lshlrev_b32_e32 v30, 25, v6
	v_ashrrev_i32_e32 v1, 31, v1
	v_lshlrev_b32_e32 v17, 24, v6
	v_xor_b32_e32 v0, s11, v0
	v_cmp_gt_i32_e64 s11, 0, v7
	v_not_b32_e32 v7, v16
	v_xor_b32_e32 v31, s12, v31
	v_cmp_gt_i32_e64 s12, 0, v16
	v_and_b32_e32 v0, exec_lo, v0
	v_not_b32_e32 v16, v18
	v_ashrrev_i32_e32 v7, 31, v7
	v_xor_b32_e32 v1, s11, v1
	v_cmp_gt_i32_e64 s11, 0, v18
	v_and_b32_e32 v0, v0, v31
	v_not_b32_e32 v18, v19
	v_ashrrev_i32_e32 v16, 31, v16
	v_xor_b32_e32 v7, s12, v7
	v_cmp_gt_i32_e64 s12, 0, v19
	v_and_b32_e32 v0, v0, v1
	;; [unrolled: 5-line block ×4, first 2 shown]
	v_ashrrev_i32_e32 v7, 31, v7
	v_xor_b32_e32 v1, s11, v1
	v_dual_mov_b32 v17, v5 :: v_dual_mov_b32 v16, v4
	s_delay_alu instid0(VALU_DEP_4) | instskip(NEXT) | instid1(VALU_DEP_4)
	v_and_b32_e32 v0, v0, v18
	v_xor_b32_e32 v7, s12, v7
	v_dual_mov_b32 v19, v3 :: v_dual_mov_b32 v18, v2
	s_delay_alu instid0(VALU_DEP_3) | instskip(SKIP_1) | instid1(VALU_DEP_2)
	v_and_b32_e32 v0, v0, v1
	v_mad_u64_u32 v[1:2], null, v6, 10, v[9:10]
	v_and_b32_e32 v0, v0, v7
	s_delay_alu instid0(VALU_DEP_2) | instskip(NEXT) | instid1(VALU_DEP_2)
	v_lshl_add_u32 v31, v1, 2, 40
	v_mbcnt_lo_u32_b32 v30, v0, 0
	v_cmp_ne_u32_e64 s12, 0, v0
	s_delay_alu instid0(VALU_DEP_2) | instskip(NEXT) | instid1(VALU_DEP_1)
	v_cmp_eq_u32_e64 s11, 0, v30
	s_and_b32 s12, s11, s12
	s_delay_alu instid0(SALU_CYCLE_1)
	s_and_saveexec_b32 s11, s12
	s_cbranch_execz .LBB178_6
; %bb.5:                                ;   in Loop: Header=BB178_4 Depth=2
	v_bcnt_u32_b32 v0, v0, 0
	ds_store_b32 v31, v0
.LBB178_6:                              ;   in Loop: Header=BB178_4 Depth=2
	s_or_b32 exec_lo, exec_lo, s11
	v_lshrrev_b32_e32 v0, s23, v18
	v_lshrrev_b32_e32 v1, s20, v19
	; wave barrier
	s_delay_alu instid0(VALU_DEP_1) | instskip(NEXT) | instid1(VALU_DEP_1)
	v_and_b32_e32 v1, s21, v1
	v_dual_cndmask_b32 v1, 0, v1 :: v_dual_and_b32 v0, s24, v0
	s_delay_alu instid0(VALU_DEP_1) | instskip(NEXT) | instid1(VALU_DEP_1)
	v_lshlrev_b32_e32 v0, s22, v0
	v_cndmask_b32_e64 v0, 0, v0, s10
	s_delay_alu instid0(VALU_DEP_1) | instskip(NEXT) | instid1(VALU_DEP_1)
	v_or_b32_e32 v0, v1, v0
	v_and_b32_e32 v2, 1, v0
	v_lshlrev_b32_e32 v3, 30, v0
	v_lshlrev_b32_e32 v4, 29, v0
	;; [unrolled: 1-line block ×4, first 2 shown]
	v_add_co_u32 v2, s11, v2, -1
	s_delay_alu instid0(VALU_DEP_1)
	v_cndmask_b32_e64 v6, 0, 1, s11
	v_not_b32_e32 v34, v3
	v_cmp_gt_i32_e64 s12, 0, v3
	v_not_b32_e32 v3, v4
	v_lshlrev_b32_e32 v32, 26, v0
	v_cmp_ne_u32_e64 s11, 0, v6
	v_ashrrev_i32_e32 v6, 31, v34
	v_lshlrev_b32_e32 v33, 25, v0
	v_ashrrev_i32_e32 v3, 31, v3
	v_mul_lo_u32 v1, v0, 10
	v_xor_b32_e32 v2, s11, v2
	v_cmp_gt_i32_e64 s11, 0, v4
	v_not_b32_e32 v4, v5
	v_xor_b32_e32 v6, s12, v6
	v_cmp_gt_i32_e64 s12, 0, v5
	v_and_b32_e32 v2, exec_lo, v2
	v_not_b32_e32 v5, v7
	v_ashrrev_i32_e32 v4, 31, v4
	v_xor_b32_e32 v3, s11, v3
	v_cmp_gt_i32_e64 s11, 0, v7
	v_and_b32_e32 v2, v2, v6
	v_not_b32_e32 v6, v32
	v_ashrrev_i32_e32 v5, 31, v5
	v_xor_b32_e32 v4, s12, v4
	v_lshlrev_b32_e32 v0, 24, v0
	v_and_b32_e32 v2, v2, v3
	v_cmp_gt_i32_e64 s12, 0, v32
	v_not_b32_e32 v3, v33
	v_ashrrev_i32_e32 v6, 31, v6
	v_xor_b32_e32 v5, s11, v5
	v_and_b32_e32 v2, v2, v4
	v_cmp_gt_i32_e64 s11, 0, v33
	v_not_b32_e32 v4, v0
	v_ashrrev_i32_e32 v3, 31, v3
	v_xor_b32_e32 v6, s12, v6
	v_and_b32_e32 v2, v2, v5
	v_cmp_gt_i32_e64 s12, 0, v0
	v_ashrrev_i32_e32 v0, 31, v4
	v_xor_b32_e32 v3, s11, v3
	v_add_lshl_u32 v1, v1, v9, 2
	v_and_b32_e32 v2, v2, v6
	s_delay_alu instid0(VALU_DEP_4) | instskip(SKIP_3) | instid1(VALU_DEP_2)
	v_xor_b32_e32 v0, s12, v0
	ds_load_b32 v32, v1 offset:40
	v_and_b32_e32 v2, v2, v3
	v_add_nc_u32_e32 v34, 40, v1
	; wave barrier
	v_and_b32_e32 v0, v2, v0
	s_delay_alu instid0(VALU_DEP_1) | instskip(SKIP_1) | instid1(VALU_DEP_2)
	v_mbcnt_lo_u32_b32 v33, v0, 0
	v_cmp_ne_u32_e64 s12, 0, v0
	v_cmp_eq_u32_e64 s11, 0, v33
	s_delay_alu instid0(VALU_DEP_1) | instskip(NEXT) | instid1(SALU_CYCLE_1)
	s_and_b32 s12, s11, s12
	s_and_saveexec_b32 s11, s12
	s_cbranch_execz .LBB178_8
; %bb.7:                                ;   in Loop: Header=BB178_4 Depth=2
	s_waitcnt lgkmcnt(0)
	v_bcnt_u32_b32 v0, v0, v32
	ds_store_b32 v34, v0
.LBB178_8:                              ;   in Loop: Header=BB178_4 Depth=2
	s_or_b32 exec_lo, exec_lo, s11
	v_lshrrev_b32_e32 v0, s23, v16
	v_lshrrev_b32_e32 v1, s20, v17
	; wave barrier
	s_delay_alu instid0(VALU_DEP_1) | instskip(NEXT) | instid1(VALU_DEP_1)
	v_and_b32_e32 v1, s21, v1
	v_dual_cndmask_b32 v1, 0, v1 :: v_dual_and_b32 v0, s24, v0
	s_delay_alu instid0(VALU_DEP_1) | instskip(NEXT) | instid1(VALU_DEP_1)
	v_lshlrev_b32_e32 v0, s22, v0
	v_cndmask_b32_e64 v0, 0, v0, s10
	s_delay_alu instid0(VALU_DEP_1) | instskip(NEXT) | instid1(VALU_DEP_1)
	v_or_b32_e32 v0, v1, v0
	v_and_b32_e32 v2, 1, v0
	v_lshlrev_b32_e32 v3, 30, v0
	v_lshlrev_b32_e32 v4, 29, v0
	;; [unrolled: 1-line block ×4, first 2 shown]
	v_add_co_u32 v2, s10, v2, -1
	s_delay_alu instid0(VALU_DEP_1)
	v_cndmask_b32_e64 v6, 0, 1, s10
	v_not_b32_e32 v37, v3
	v_cmp_gt_i32_e64 s10, 0, v3
	v_not_b32_e32 v3, v4
	v_lshlrev_b32_e32 v35, 26, v0
	v_cmp_ne_u32_e32 vcc_lo, 0, v6
	v_ashrrev_i32_e32 v6, 31, v37
	v_lshlrev_b32_e32 v36, 25, v0
	v_ashrrev_i32_e32 v3, 31, v3
	v_mul_lo_u32 v1, v0, 10
	v_xor_b32_e32 v2, vcc_lo, v2
	v_cmp_gt_i32_e32 vcc_lo, 0, v4
	v_not_b32_e32 v4, v5
	v_xor_b32_e32 v6, s10, v6
	v_cmp_gt_i32_e64 s10, 0, v5
	v_and_b32_e32 v2, exec_lo, v2
	v_not_b32_e32 v5, v7
	v_ashrrev_i32_e32 v4, 31, v4
	v_xor_b32_e32 v3, vcc_lo, v3
	v_cmp_gt_i32_e32 vcc_lo, 0, v7
	v_and_b32_e32 v2, v2, v6
	v_not_b32_e32 v6, v35
	v_ashrrev_i32_e32 v5, 31, v5
	v_xor_b32_e32 v4, s10, v4
	v_lshlrev_b32_e32 v0, 24, v0
	v_and_b32_e32 v2, v2, v3
	v_cmp_gt_i32_e64 s10, 0, v35
	v_not_b32_e32 v3, v36
	v_ashrrev_i32_e32 v6, 31, v6
	v_xor_b32_e32 v5, vcc_lo, v5
	v_and_b32_e32 v2, v2, v4
	v_cmp_gt_i32_e32 vcc_lo, 0, v36
	v_not_b32_e32 v4, v0
	v_ashrrev_i32_e32 v3, 31, v3
	v_xor_b32_e32 v6, s10, v6
	v_and_b32_e32 v2, v2, v5
	v_cmp_gt_i32_e64 s10, 0, v0
	v_ashrrev_i32_e32 v0, 31, v4
	v_xor_b32_e32 v3, vcc_lo, v3
	v_add_lshl_u32 v1, v1, v9, 2
	v_and_b32_e32 v2, v2, v6
	s_delay_alu instid0(VALU_DEP_4) | instskip(SKIP_3) | instid1(VALU_DEP_2)
	v_xor_b32_e32 v0, s10, v0
	ds_load_b32 v35, v1 offset:40
	v_and_b32_e32 v2, v2, v3
	v_add_nc_u32_e32 v37, 40, v1
	; wave barrier
	v_and_b32_e32 v0, v2, v0
	s_delay_alu instid0(VALU_DEP_1) | instskip(SKIP_1) | instid1(VALU_DEP_2)
	v_mbcnt_lo_u32_b32 v36, v0, 0
	v_cmp_ne_u32_e64 s10, 0, v0
	v_cmp_eq_u32_e32 vcc_lo, 0, v36
	s_delay_alu instid0(VALU_DEP_2) | instskip(NEXT) | instid1(SALU_CYCLE_1)
	s_and_b32 s11, vcc_lo, s10
	s_and_saveexec_b32 s10, s11
	s_cbranch_execz .LBB178_10
; %bb.9:                                ;   in Loop: Header=BB178_4 Depth=2
	s_waitcnt lgkmcnt(0)
	v_bcnt_u32_b32 v0, v0, v35
	ds_store_b32 v37, v0
.LBB178_10:                             ;   in Loop: Header=BB178_4 Depth=2
	s_or_b32 exec_lo, exec_lo, s10
	; wave barrier
	s_waitcnt lgkmcnt(0)
	s_barrier
	buffer_gl0_inv
	ds_load_2addr_b64 v[4:7], v20 offset0:5 offset1:6
	ds_load_2addr_b64 v[0:3], v23 offset0:2 offset1:3
	s_waitcnt lgkmcnt(1)
	v_add_nc_u32_e32 v38, v5, v4
	s_delay_alu instid0(VALU_DEP_1) | instskip(SKIP_1) | instid1(VALU_DEP_1)
	v_add3_u32 v38, v38, v6, v7
	s_waitcnt lgkmcnt(0)
	v_add3_u32 v38, v38, v0, v1
	s_delay_alu instid0(VALU_DEP_1) | instskip(NEXT) | instid1(VALU_DEP_1)
	v_add3_u32 v3, v38, v2, v3
	v_mov_b32_dpp v38, v3 row_shr:1 row_mask:0xf bank_mask:0xf
	s_delay_alu instid0(VALU_DEP_1) | instskip(NEXT) | instid1(VALU_DEP_1)
	v_cndmask_b32_e64 v38, v38, 0, s0
	v_add_nc_u32_e32 v3, v38, v3
	s_delay_alu instid0(VALU_DEP_1) | instskip(NEXT) | instid1(VALU_DEP_1)
	v_mov_b32_dpp v38, v3 row_shr:2 row_mask:0xf bank_mask:0xf
	v_cndmask_b32_e64 v38, 0, v38, s1
	s_delay_alu instid0(VALU_DEP_1) | instskip(NEXT) | instid1(VALU_DEP_1)
	v_add_nc_u32_e32 v3, v3, v38
	v_mov_b32_dpp v38, v3 row_shr:4 row_mask:0xf bank_mask:0xf
	s_delay_alu instid0(VALU_DEP_1) | instskip(NEXT) | instid1(VALU_DEP_1)
	v_cndmask_b32_e64 v38, 0, v38, s2
	v_add_nc_u32_e32 v3, v3, v38
	s_delay_alu instid0(VALU_DEP_1) | instskip(NEXT) | instid1(VALU_DEP_1)
	v_mov_b32_dpp v38, v3 row_shr:8 row_mask:0xf bank_mask:0xf
	v_cndmask_b32_e64 v38, 0, v38, s3
	s_delay_alu instid0(VALU_DEP_1) | instskip(SKIP_3) | instid1(VALU_DEP_1)
	v_add_nc_u32_e32 v3, v3, v38
	ds_swizzle_b32 v38, v3 offset:swizzle(BROADCAST,32,15)
	s_waitcnt lgkmcnt(0)
	v_cndmask_b32_e64 v38, v38, 0, s4
	v_add_nc_u32_e32 v3, v3, v38
	s_and_saveexec_b32 s10, s5
	s_cbranch_execz .LBB178_12
; %bb.11:                               ;   in Loop: Header=BB178_4 Depth=2
	ds_store_b32 v25, v3
.LBB178_12:                             ;   in Loop: Header=BB178_4 Depth=2
	s_or_b32 exec_lo, exec_lo, s10
	s_waitcnt lgkmcnt(0)
	s_barrier
	buffer_gl0_inv
	s_and_saveexec_b32 s10, s6
	s_cbranch_execz .LBB178_14
; %bb.13:                               ;   in Loop: Header=BB178_4 Depth=2
	ds_load_b32 v38, v26
	s_waitcnt lgkmcnt(0)
	v_mov_b32_dpp v39, v38 row_shr:1 row_mask:0xf bank_mask:0xf
	s_delay_alu instid0(VALU_DEP_1) | instskip(NEXT) | instid1(VALU_DEP_1)
	v_cndmask_b32_e64 v39, v39, 0, s0
	v_add_nc_u32_e32 v38, v39, v38
	s_delay_alu instid0(VALU_DEP_1) | instskip(NEXT) | instid1(VALU_DEP_1)
	v_mov_b32_dpp v39, v38 row_shr:2 row_mask:0xf bank_mask:0xf
	v_cndmask_b32_e64 v39, 0, v39, s1
	s_delay_alu instid0(VALU_DEP_1) | instskip(NEXT) | instid1(VALU_DEP_1)
	v_add_nc_u32_e32 v38, v38, v39
	v_mov_b32_dpp v39, v38 row_shr:4 row_mask:0xf bank_mask:0xf
	s_delay_alu instid0(VALU_DEP_1) | instskip(NEXT) | instid1(VALU_DEP_1)
	v_cndmask_b32_e64 v39, 0, v39, s2
	v_add_nc_u32_e32 v38, v38, v39
	s_delay_alu instid0(VALU_DEP_1) | instskip(NEXT) | instid1(VALU_DEP_1)
	v_mov_b32_dpp v39, v38 row_shr:8 row_mask:0xf bank_mask:0xf
	v_cndmask_b32_e64 v39, 0, v39, s3
	s_delay_alu instid0(VALU_DEP_1)
	v_add_nc_u32_e32 v38, v38, v39
	ds_store_b32 v26, v38
.LBB178_14:                             ;   in Loop: Header=BB178_4 Depth=2
	s_or_b32 exec_lo, exec_lo, s10
	v_mov_b32_e32 v38, 0
	s_waitcnt lgkmcnt(0)
	s_barrier
	buffer_gl0_inv
	s_and_saveexec_b32 s10, s7
	s_cbranch_execz .LBB178_16
; %bb.15:                               ;   in Loop: Header=BB178_4 Depth=2
	ds_load_b32 v38, v27
.LBB178_16:                             ;   in Loop: Header=BB178_4 Depth=2
	s_or_b32 exec_lo, exec_lo, s10
	s_waitcnt lgkmcnt(0)
	v_add_nc_u32_e32 v3, v38, v3
	s_cmp_gt_u32 s20, 55
	ds_bpermute_b32 v3, v24, v3
	s_waitcnt lgkmcnt(0)
	v_cndmask_b32_e64 v3, v3, v38, s8
	s_delay_alu instid0(VALU_DEP_1) | instskip(NEXT) | instid1(VALU_DEP_1)
	v_cndmask_b32_e64 v3, v3, 0, s9
	v_add_nc_u32_e32 v4, v3, v4
	s_delay_alu instid0(VALU_DEP_1) | instskip(NEXT) | instid1(VALU_DEP_1)
	v_add_nc_u32_e32 v5, v4, v5
	v_add_nc_u32_e32 v6, v5, v6
	s_delay_alu instid0(VALU_DEP_1) | instskip(NEXT) | instid1(VALU_DEP_1)
	v_add_nc_u32_e32 v38, v6, v7
	;; [unrolled: 3-line block ×3, first 2 shown]
	v_add_nc_u32_e32 v1, v0, v2
	ds_store_2addr_b64 v20, v[3:4], v[5:6] offset0:5 offset1:6
	ds_store_2addr_b64 v23, v[38:39], v[0:1] offset0:2 offset1:3
	s_waitcnt lgkmcnt(0)
	s_barrier
	buffer_gl0_inv
	ds_load_b32 v0, v34
	ds_load_b32 v1, v37
	;; [unrolled: 1-line block ×3, first 2 shown]
	v_lshlrev_b32_e32 v3, 3, v30
	v_lshlrev_b32_e32 v4, 3, v33
	;; [unrolled: 1-line block ×5, first 2 shown]
	s_waitcnt lgkmcnt(0)
	v_lshlrev_b32_e32 v0, 3, v0
	v_lshlrev_b32_e32 v1, 3, v1
	v_lshl_add_u32 v6, v2, 3, v3
	s_delay_alu instid0(VALU_DEP_3) | instskip(NEXT) | instid1(VALU_DEP_3)
	v_add3_u32 v7, v4, v5, v0
	v_add3_u32 v30, v30, v31, v1
	s_cbranch_scc0 .LBB178_3
; %bb.17:                               ;   in Loop: Header=BB178_2 Depth=1
                                        ; implicit-def: $sgpr20
                                        ; implicit-def: $vgpr0_vgpr1
                                        ; implicit-def: $vgpr4_vgpr5
                                        ; implicit-def: $sgpr17
                                        ; implicit-def: $sgpr16
	s_branch .LBB178_1
.LBB178_18:
	v_lshlrev_b32_e32 v0, 3, v8
	s_add_u32 s0, s18, s14
	s_addc_u32 s1, s19, s15
	s_delay_alu instid0(VALU_DEP_1) | instskip(NEXT) | instid1(VALU_DEP_1)
	v_add_co_u32 v7, s2, s0, v0
	v_add_co_ci_u32_e64 v8, null, s1, 0, s2
	s_delay_alu instid0(VALU_DEP_2) | instskip(NEXT) | instid1(VALU_DEP_2)
	v_add_co_u32 v7, vcc_lo, 0x1000, v7
	v_add_co_ci_u32_e32 v8, vcc_lo, 0, v8, vcc_lo
	s_clause 0x2
	global_store_b64 v0, v[1:2], s[0:1]
	global_store_b64 v0, v[3:4], s[0:1] offset:2560
	global_store_b64 v[7:8], v[5:6], off offset:1024
	s_nop 0
	s_sendmsg sendmsg(MSG_DEALLOC_VGPRS)
	s_endpgm
	.section	.rodata,"a",@progbits
	.p2align	6, 0x0
	.amdhsa_kernel _Z16sort_keys_kernelI22helper_blocked_blockedN15benchmark_utils11custom_typeIiiEELj320ELj3ELj10EEvPKT0_PS4_
		.amdhsa_group_segment_fixed_size 10288
		.amdhsa_private_segment_fixed_size 0
		.amdhsa_kernarg_size 272
		.amdhsa_user_sgpr_count 15
		.amdhsa_user_sgpr_dispatch_ptr 0
		.amdhsa_user_sgpr_queue_ptr 0
		.amdhsa_user_sgpr_kernarg_segment_ptr 1
		.amdhsa_user_sgpr_dispatch_id 0
		.amdhsa_user_sgpr_private_segment_size 0
		.amdhsa_wavefront_size32 1
		.amdhsa_uses_dynamic_stack 0
		.amdhsa_enable_private_segment 0
		.amdhsa_system_sgpr_workgroup_id_x 1
		.amdhsa_system_sgpr_workgroup_id_y 0
		.amdhsa_system_sgpr_workgroup_id_z 0
		.amdhsa_system_sgpr_workgroup_info 0
		.amdhsa_system_vgpr_workitem_id 2
		.amdhsa_next_free_vgpr 40
		.amdhsa_next_free_sgpr 25
		.amdhsa_reserve_vcc 1
		.amdhsa_float_round_mode_32 0
		.amdhsa_float_round_mode_16_64 0
		.amdhsa_float_denorm_mode_32 3
		.amdhsa_float_denorm_mode_16_64 3
		.amdhsa_dx10_clamp 1
		.amdhsa_ieee_mode 1
		.amdhsa_fp16_overflow 0
		.amdhsa_workgroup_processor_mode 1
		.amdhsa_memory_ordered 1
		.amdhsa_forward_progress 0
		.amdhsa_shared_vgpr_count 0
		.amdhsa_exception_fp_ieee_invalid_op 0
		.amdhsa_exception_fp_denorm_src 0
		.amdhsa_exception_fp_ieee_div_zero 0
		.amdhsa_exception_fp_ieee_overflow 0
		.amdhsa_exception_fp_ieee_underflow 0
		.amdhsa_exception_fp_ieee_inexact 0
		.amdhsa_exception_int_div_zero 0
	.end_amdhsa_kernel
	.section	.text._Z16sort_keys_kernelI22helper_blocked_blockedN15benchmark_utils11custom_typeIiiEELj320ELj3ELj10EEvPKT0_PS4_,"axG",@progbits,_Z16sort_keys_kernelI22helper_blocked_blockedN15benchmark_utils11custom_typeIiiEELj320ELj3ELj10EEvPKT0_PS4_,comdat
.Lfunc_end178:
	.size	_Z16sort_keys_kernelI22helper_blocked_blockedN15benchmark_utils11custom_typeIiiEELj320ELj3ELj10EEvPKT0_PS4_, .Lfunc_end178-_Z16sort_keys_kernelI22helper_blocked_blockedN15benchmark_utils11custom_typeIiiEELj320ELj3ELj10EEvPKT0_PS4_
                                        ; -- End function
	.section	.AMDGPU.csdata,"",@progbits
; Kernel info:
; codeLenInByte = 2800
; NumSgprs: 27
; NumVgprs: 40
; ScratchSize: 0
; MemoryBound: 0
; FloatMode: 240
; IeeeMode: 1
; LDSByteSize: 10288 bytes/workgroup (compile time only)
; SGPRBlocks: 3
; VGPRBlocks: 4
; NumSGPRsForWavesPerEU: 27
; NumVGPRsForWavesPerEU: 40
; Occupancy: 15
; WaveLimiterHint : 1
; COMPUTE_PGM_RSRC2:SCRATCH_EN: 0
; COMPUTE_PGM_RSRC2:USER_SGPR: 15
; COMPUTE_PGM_RSRC2:TRAP_HANDLER: 0
; COMPUTE_PGM_RSRC2:TGID_X_EN: 1
; COMPUTE_PGM_RSRC2:TGID_Y_EN: 0
; COMPUTE_PGM_RSRC2:TGID_Z_EN: 0
; COMPUTE_PGM_RSRC2:TIDIG_COMP_CNT: 2
	.section	.text._Z17sort_pairs_kernelI22helper_blocked_blockedN15benchmark_utils11custom_typeIiiEELj320ELj3ELj10EEvPKT0_PS4_,"axG",@progbits,_Z17sort_pairs_kernelI22helper_blocked_blockedN15benchmark_utils11custom_typeIiiEELj320ELj3ELj10EEvPKT0_PS4_,comdat
	.protected	_Z17sort_pairs_kernelI22helper_blocked_blockedN15benchmark_utils11custom_typeIiiEELj320ELj3ELj10EEvPKT0_PS4_ ; -- Begin function _Z17sort_pairs_kernelI22helper_blocked_blockedN15benchmark_utils11custom_typeIiiEELj320ELj3ELj10EEvPKT0_PS4_
	.globl	_Z17sort_pairs_kernelI22helper_blocked_blockedN15benchmark_utils11custom_typeIiiEELj320ELj3ELj10EEvPKT0_PS4_
	.p2align	8
	.type	_Z17sort_pairs_kernelI22helper_blocked_blockedN15benchmark_utils11custom_typeIiiEELj320ELj3ELj10EEvPKT0_PS4_,@function
_Z17sort_pairs_kernelI22helper_blocked_blockedN15benchmark_utils11custom_typeIiiEELj320ELj3ELj10EEvPKT0_PS4_: ; @_Z17sort_pairs_kernelI22helper_blocked_blockedN15benchmark_utils11custom_typeIiiEELj320ELj3ELj10EEvPKT0_PS4_
; %bb.0:
	s_clause 0x1
	s_load_b128 s[16:19], s[0:1], 0x0
	s_load_b32 s9, s[0:1], 0x1c
	s_mov_b32 s13, 0
	s_mul_i32 s12, s15, 0x3c0
	v_mbcnt_lo_u32_b32 v5, -1, 0
	s_lshl_b64 s[14:15], s[12:13], 3
	s_mov_b32 s12, s13
	s_delay_alu instid0(SALU_CYCLE_1) | instskip(SKIP_3) | instid1(VALU_DEP_2)
	v_dual_mov_b32 v9, s12 :: v_dual_and_b32 v8, 0x3ff, v0
	v_mov_b32_e32 v10, s13
	s_mov_b32 s10, s13
	s_mov_b32 s11, s13
	v_lshlrev_b32_e32 v3, 3, v8
	v_add_nc_u32_e32 v7, -1, v5
	v_and_b32_e32 v4, 15, v5
	v_and_b32_e32 v6, 16, v5
	v_lshrrev_b32_e32 v11, 5, v8
	v_lshlrev_b32_e32 v30, 5, v8
	v_cmp_gt_u32_e64 s6, 10, v8
	v_cmp_lt_u32_e64 s3, 3, v4
	s_waitcnt lgkmcnt(0)
	s_add_u32 s0, s16, s14
	s_addc_u32 s1, s17, s15
	v_add_co_u32 v1, s2, s0, v3
	s_delay_alu instid0(VALU_DEP_1) | instskip(SKIP_1) | instid1(VALU_DEP_3)
	v_add_co_ci_u32_e64 v2, null, s1, 0, s2
	v_cmp_lt_u32_e64 s2, 1, v4
	v_add_co_u32 v1, vcc_lo, 0x1000, v1
	s_delay_alu instid0(VALU_DEP_3)
	v_add_co_ci_u32_e32 v2, vcc_lo, 0, v2, vcc_lo
	v_cmp_gt_i32_e32 vcc_lo, 0, v7
	s_clause 0x2
	global_load_b64 v[14:15], v3, s[0:1]
	global_load_b64 v[16:17], v3, s[0:1] offset:2560
	global_load_b64 v[1:2], v[1:2], off offset:1024
	v_bfe_u32 v3, v0, 10, 10
	v_bfe_u32 v0, v0, 20, 10
	v_cmp_eq_u32_e64 s1, 0, v4
	v_cmp_lt_u32_e64 s4, 7, v4
	v_and_b32_e32 v4, 0x1e0, v8
	v_cmp_eq_u32_e64 s5, 0, v6
	v_dual_cndmask_b32 v6, v7, v5 :: v_dual_add_nc_u32 v31, 40, v30
	s_lshr_b32 s12, s9, 16
	v_mul_u32_u24_e32 v12, 0x60, v11
	v_mad_u32_u24 v0, v0, s12, v3
	v_min_u32_e32 v13, 0x120, v4
	v_lshlrev_b32_e32 v32, 2, v6
	v_mul_u32_u24_e32 v6, 3, v4
	s_and_b32 s9, s9, 0xffff
	v_lshlrev_b32_e32 v33, 2, v11
	v_mad_u64_u32 v[3:4], null, v0, s9, v[8:9]
	v_lshlrev_b32_e32 v11, 3, v12
	v_or_b32_e32 v12, v5, v12
	v_or_b32_e32 v13, 31, v13
	v_mul_u32_u24_e32 v7, 20, v8
	v_mad_i32_i24 v34, 0xffffffe4, v8, v30
	v_or_b32_e32 v0, v5, v6
	v_lshlrev_b32_e32 v38, 3, v12
	v_cmp_eq_u32_e64 s9, v13, v8
	v_mov_b32_e32 v13, s11
	v_cmp_eq_u32_e64 s0, 0, v5
	v_cmp_lt_u32_e64 s7, 31, v8
	v_cmp_eq_u32_e64 s8, 0, v8
	v_add_nc_u32_e32 v35, -4, v33
	v_add_nc_u32_e32 v36, v34, v7
	v_mad_u32_u24 v37, v5, 24, v11
	v_lshlrev_b32_e32 v39, 3, v0
	v_lshrrev_b32_e32 v11, 5, v3
	s_waitcnt vmcnt(2)
	v_dual_mov_b32 v12, s10 :: v_dual_add_nc_u32 v5, 1, v15
	v_add_nc_u32_e32 v4, 1, v14
	s_waitcnt vmcnt(1)
	v_add_nc_u32_e32 v7, 1, v17
	v_add_nc_u32_e32 v6, 1, v16
	s_waitcnt vmcnt(0)
	v_add_nc_u32_e32 v19, 1, v2
	v_add_nc_u32_e32 v18, 1, v1
	s_branch .LBB179_2
.LBB179_1:                              ;   in Loop: Header=BB179_2 Depth=1
	s_barrier
	buffer_gl0_inv
	ds_store_b64 v40, v[14:15]
	ds_store_b64 v41, v[24:25]
	;; [unrolled: 1-line block ×3, first 2 shown]
	s_waitcnt lgkmcnt(0)
	s_barrier
	buffer_gl0_inv
	ds_load_2addr_b64 v[0:3], v36 offset1:1
	ds_load_b64 v[22:23], v36 offset:16
	s_waitcnt lgkmcnt(0)
	s_barrier
	buffer_gl0_inv
	ds_store_b64 v40, v[20:21]
	ds_store_b64 v41, v[18:19]
	;; [unrolled: 1-line block ×3, first 2 shown]
	s_waitcnt lgkmcnt(0)
	s_barrier
	buffer_gl0_inv
	ds_load_2addr_b64 v[4:7], v36 offset1:1
	ds_load_b64 v[18:19], v36 offset:16
	s_add_i32 s13, s13, 1
	s_delay_alu instid0(SALU_CYCLE_1)
	s_cmp_lg_u32 s13, 10
	v_xor_b32_e32 v14, 0x80000000, v0
	v_xor_b32_e32 v15, 0x80000000, v1
	;; [unrolled: 1-line block ×6, first 2 shown]
	s_cbranch_scc0 .LBB179_18
.LBB179_2:                              ; =>This Loop Header: Depth=1
                                        ;     Child Loop BB179_4 Depth 2
	v_xor_b32_e32 v15, 0x80000000, v15
	v_xor_b32_e32 v14, 0x80000000, v14
	;; [unrolled: 1-line block ×6, first 2 shown]
	ds_store_2addr_b64 v37, v[14:15], v[16:17] offset1:1
	ds_store_b64 v37, v[1:2] offset:16
	; wave barrier
	ds_load_2addr_b64 v[0:3], v38 offset1:32
	ds_load_b64 v[26:27], v38 offset:512
	; wave barrier
	s_waitcnt lgkmcnt(5)
	ds_store_2addr_b64 v37, v[4:5], v[6:7] offset1:1
	s_waitcnt lgkmcnt(5)
	ds_store_b64 v37, v[18:19] offset:16
	; wave barrier
	ds_load_2addr_b64 v[4:7], v38 offset1:32
	ds_load_b64 v[28:29], v38 offset:512
	s_mov_b32 s16, 8
	s_mov_b32 s17, 32
	;; [unrolled: 1-line block ×3, first 2 shown]
	s_waitcnt lgkmcnt(0)
	s_barrier
	s_branch .LBB179_4
.LBB179_3:                              ;   in Loop: Header=BB179_4 Depth=2
	s_barrier
	buffer_gl0_inv
	ds_store_b64 v40, v[14:15]
	ds_store_b64 v41, v[24:25]
	;; [unrolled: 1-line block ×3, first 2 shown]
	s_waitcnt lgkmcnt(0)
	s_barrier
	buffer_gl0_inv
	ds_load_2addr_b64 v[0:3], v39 offset1:32
	ds_load_b64 v[26:27], v39 offset:512
	s_waitcnt lgkmcnt(0)
	s_barrier
	buffer_gl0_inv
	ds_store_b64 v40, v[20:21]
	ds_store_b64 v41, v[18:19]
	ds_store_b64 v42, v[16:17]
	s_waitcnt lgkmcnt(0)
	s_barrier
	buffer_gl0_inv
	ds_load_2addr_b64 v[4:7], v39 offset1:32
	ds_load_b64 v[28:29], v39 offset:512
	s_add_i32 s17, s17, -8
	s_add_i32 s16, s16, 8
	s_add_i32 s20, s20, 8
	s_waitcnt lgkmcnt(0)
	s_barrier
	s_cbranch_execz .LBB179_1
.LBB179_4:                              ;   Parent Loop BB179_2 Depth=1
                                        ; =>  This Inner Loop Header: Depth=2
	s_min_i32 s11, s16, 32
	s_cmp_lt_u32 s20, 32
	v_dual_mov_b32 v15, v1 :: v_dual_mov_b32 v14, v0
	s_cselect_b32 vcc_lo, -1, 0
	s_cmp_gt_u32 s20, 24
	buffer_gl0_inv
	s_cselect_b32 s10, -1, 0
	s_sub_i32 s11, s11, 32
	v_lshrrev_b32_e32 v1, s20, v15
	s_add_i32 s12, s11, s17
	ds_store_2addr_b64 v30, v[9:10], v[12:13] offset0:5 offset1:6
	ds_store_2addr_b64 v31, v[9:10], v[12:13] offset0:2 offset1:3
	s_lshl_b32 s12, -1, s12
	s_waitcnt lgkmcnt(0)
	s_not_b32 s12, s12
	s_cmp_lg_u32 s11, s20
	s_barrier
	s_cselect_b32 s21, s12, -1
	s_max_i32 s22, s17, 0
	s_max_i32 s11, s20, 32
	v_and_b32_e32 v1, s21, v1
	s_sub_i32 s12, s11, s22
	s_sub_i32 s23, s11, 32
	;; [unrolled: 1-line block ×3, first 2 shown]
	v_lshrrev_b32_e32 v0, s23, v14
	s_min_i32 s11, s12, 32
	buffer_gl0_inv
	s_sub_i32 s11, s11, s23
	s_delay_alu instid0(SALU_CYCLE_1) | instskip(NEXT) | instid1(SALU_CYCLE_1)
	s_lshl_b32 s12, -1, s11
	; wave barrier
	s_not_b32 s12, s12
	s_cmp_lg_u32 s11, 32
	v_cndmask_b32_e32 v1, 0, v1, vcc_lo
	s_cselect_b32 s24, s12, -1
	s_delay_alu instid0(SALU_CYCLE_1) | instskip(SKIP_1) | instid1(VALU_DEP_2)
	v_dual_mov_b32 v25, v3 :: v_dual_and_b32 v0, s24, v0
	v_mov_b32_e32 v24, v2
	v_lshlrev_b32_e32 v0, s22, v0
	s_delay_alu instid0(VALU_DEP_1) | instskip(NEXT) | instid1(VALU_DEP_1)
	v_cndmask_b32_e64 v0, 0, v0, s10
	v_or_b32_e32 v40, v1, v0
	s_delay_alu instid0(VALU_DEP_1)
	v_and_b32_e32 v0, 1, v40
	v_lshlrev_b32_e32 v1, 30, v40
	v_lshlrev_b32_e32 v16, 29, v40
	;; [unrolled: 1-line block ×4, first 2 shown]
	v_add_co_u32 v0, s11, v0, -1
	s_delay_alu instid0(VALU_DEP_1)
	v_cndmask_b32_e64 v18, 0, 1, s11
	v_not_b32_e32 v22, v1
	v_cmp_gt_i32_e64 s12, 0, v1
	v_not_b32_e32 v1, v16
	v_lshlrev_b32_e32 v19, 27, v40
	v_cmp_ne_u32_e64 s11, 0, v18
	v_ashrrev_i32_e32 v22, 31, v22
	v_lshlrev_b32_e32 v21, 25, v40
	v_ashrrev_i32_e32 v1, 31, v1
	v_lshlrev_b32_e32 v18, 24, v40
	v_xor_b32_e32 v0, s11, v0
	v_cmp_gt_i32_e64 s11, 0, v16
	v_not_b32_e32 v16, v17
	v_xor_b32_e32 v22, s12, v22
	v_cmp_gt_i32_e64 s12, 0, v17
	v_and_b32_e32 v0, exec_lo, v0
	v_not_b32_e32 v17, v19
	v_ashrrev_i32_e32 v16, 31, v16
	v_xor_b32_e32 v1, s11, v1
	v_cmp_gt_i32_e64 s11, 0, v19
	v_and_b32_e32 v0, v0, v22
	v_not_b32_e32 v19, v20
	v_ashrrev_i32_e32 v17, 31, v17
	v_xor_b32_e32 v16, s12, v16
	v_cmp_gt_i32_e64 s12, 0, v20
	v_and_b32_e32 v0, v0, v1
	;; [unrolled: 5-line block ×4, first 2 shown]
	v_ashrrev_i32_e32 v16, 31, v16
	v_xor_b32_e32 v1, s11, v1
	v_dual_mov_b32 v21, v5 :: v_dual_mov_b32 v20, v4
	s_delay_alu instid0(VALU_DEP_4) | instskip(NEXT) | instid1(VALU_DEP_4)
	v_and_b32_e32 v0, v0, v19
	v_xor_b32_e32 v22, s12, v16
	v_dual_mov_b32 v19, v7 :: v_dual_mov_b32 v16, v28
	v_mov_b32_e32 v18, v6
	s_delay_alu instid0(VALU_DEP_4) | instskip(SKIP_1) | instid1(VALU_DEP_2)
	v_and_b32_e32 v0, v0, v1
	v_mad_u64_u32 v[1:2], null, v40, 10, v[11:12]
	v_dual_mov_b32 v17, v29 :: v_dual_and_b32 v0, v0, v22
	v_dual_mov_b32 v22, v26 :: v_dual_mov_b32 v23, v27
	s_delay_alu instid0(VALU_DEP_3) | instskip(NEXT) | instid1(VALU_DEP_3)
	v_lshl_add_u32 v27, v1, 2, 40
	v_mbcnt_lo_u32_b32 v26, v0, 0
	v_cmp_ne_u32_e64 s12, 0, v0
	s_delay_alu instid0(VALU_DEP_2) | instskip(NEXT) | instid1(VALU_DEP_1)
	v_cmp_eq_u32_e64 s11, 0, v26
	s_and_b32 s12, s11, s12
	s_delay_alu instid0(SALU_CYCLE_1)
	s_and_saveexec_b32 s11, s12
	s_cbranch_execz .LBB179_6
; %bb.5:                                ;   in Loop: Header=BB179_4 Depth=2
	v_bcnt_u32_b32 v0, v0, 0
	ds_store_b32 v27, v0
.LBB179_6:                              ;   in Loop: Header=BB179_4 Depth=2
	s_or_b32 exec_lo, exec_lo, s11
	v_lshrrev_b32_e32 v0, s23, v24
	v_lshrrev_b32_e32 v1, s20, v25
	; wave barrier
	s_delay_alu instid0(VALU_DEP_1) | instskip(NEXT) | instid1(VALU_DEP_1)
	v_and_b32_e32 v1, s21, v1
	v_dual_cndmask_b32 v1, 0, v1 :: v_dual_and_b32 v0, s24, v0
	s_delay_alu instid0(VALU_DEP_1) | instskip(NEXT) | instid1(VALU_DEP_1)
	v_lshlrev_b32_e32 v0, s22, v0
	v_cndmask_b32_e64 v0, 0, v0, s10
	s_delay_alu instid0(VALU_DEP_1) | instskip(NEXT) | instid1(VALU_DEP_1)
	v_or_b32_e32 v0, v1, v0
	v_and_b32_e32 v2, 1, v0
	v_lshlrev_b32_e32 v3, 30, v0
	v_lshlrev_b32_e32 v4, 29, v0
	;; [unrolled: 1-line block ×4, first 2 shown]
	v_add_co_u32 v2, s11, v2, -1
	s_delay_alu instid0(VALU_DEP_1)
	v_cndmask_b32_e64 v6, 0, 1, s11
	v_not_b32_e32 v40, v3
	v_cmp_gt_i32_e64 s12, 0, v3
	v_not_b32_e32 v3, v4
	v_lshlrev_b32_e32 v28, 26, v0
	v_cmp_ne_u32_e64 s11, 0, v6
	v_ashrrev_i32_e32 v6, 31, v40
	v_lshlrev_b32_e32 v29, 25, v0
	v_ashrrev_i32_e32 v3, 31, v3
	v_mul_lo_u32 v1, v0, 10
	v_xor_b32_e32 v2, s11, v2
	v_cmp_gt_i32_e64 s11, 0, v4
	v_not_b32_e32 v4, v5
	v_xor_b32_e32 v6, s12, v6
	v_cmp_gt_i32_e64 s12, 0, v5
	v_and_b32_e32 v2, exec_lo, v2
	v_not_b32_e32 v5, v7
	v_ashrrev_i32_e32 v4, 31, v4
	v_xor_b32_e32 v3, s11, v3
	v_cmp_gt_i32_e64 s11, 0, v7
	v_and_b32_e32 v2, v2, v6
	v_not_b32_e32 v6, v28
	v_ashrrev_i32_e32 v5, 31, v5
	v_xor_b32_e32 v4, s12, v4
	v_lshlrev_b32_e32 v0, 24, v0
	v_and_b32_e32 v2, v2, v3
	v_cmp_gt_i32_e64 s12, 0, v28
	v_not_b32_e32 v3, v29
	v_ashrrev_i32_e32 v6, 31, v6
	v_xor_b32_e32 v5, s11, v5
	v_and_b32_e32 v2, v2, v4
	v_cmp_gt_i32_e64 s11, 0, v29
	v_not_b32_e32 v4, v0
	v_ashrrev_i32_e32 v3, 31, v3
	v_xor_b32_e32 v6, s12, v6
	v_and_b32_e32 v2, v2, v5
	v_cmp_gt_i32_e64 s12, 0, v0
	v_ashrrev_i32_e32 v0, 31, v4
	v_xor_b32_e32 v3, s11, v3
	v_add_lshl_u32 v1, v1, v11, 2
	v_and_b32_e32 v2, v2, v6
	s_delay_alu instid0(VALU_DEP_4) | instskip(SKIP_3) | instid1(VALU_DEP_2)
	v_xor_b32_e32 v0, s12, v0
	ds_load_b32 v28, v1 offset:40
	v_and_b32_e32 v2, v2, v3
	v_add_nc_u32_e32 v40, 40, v1
	; wave barrier
	v_and_b32_e32 v0, v2, v0
	s_delay_alu instid0(VALU_DEP_1) | instskip(SKIP_1) | instid1(VALU_DEP_2)
	v_mbcnt_lo_u32_b32 v29, v0, 0
	v_cmp_ne_u32_e64 s12, 0, v0
	v_cmp_eq_u32_e64 s11, 0, v29
	s_delay_alu instid0(VALU_DEP_1) | instskip(NEXT) | instid1(SALU_CYCLE_1)
	s_and_b32 s12, s11, s12
	s_and_saveexec_b32 s11, s12
	s_cbranch_execz .LBB179_8
; %bb.7:                                ;   in Loop: Header=BB179_4 Depth=2
	s_waitcnt lgkmcnt(0)
	v_bcnt_u32_b32 v0, v0, v28
	ds_store_b32 v40, v0
.LBB179_8:                              ;   in Loop: Header=BB179_4 Depth=2
	s_or_b32 exec_lo, exec_lo, s11
	v_lshrrev_b32_e32 v0, s23, v22
	v_lshrrev_b32_e32 v1, s20, v23
	; wave barrier
	s_delay_alu instid0(VALU_DEP_1) | instskip(NEXT) | instid1(VALU_DEP_1)
	v_and_b32_e32 v1, s21, v1
	v_dual_cndmask_b32 v1, 0, v1 :: v_dual_and_b32 v0, s24, v0
	s_delay_alu instid0(VALU_DEP_1) | instskip(NEXT) | instid1(VALU_DEP_1)
	v_lshlrev_b32_e32 v0, s22, v0
	v_cndmask_b32_e64 v0, 0, v0, s10
	s_delay_alu instid0(VALU_DEP_1) | instskip(NEXT) | instid1(VALU_DEP_1)
	v_or_b32_e32 v0, v1, v0
	v_and_b32_e32 v2, 1, v0
	v_lshlrev_b32_e32 v3, 30, v0
	v_lshlrev_b32_e32 v4, 29, v0
	;; [unrolled: 1-line block ×4, first 2 shown]
	v_add_co_u32 v2, s10, v2, -1
	s_delay_alu instid0(VALU_DEP_1)
	v_cndmask_b32_e64 v6, 0, 1, s10
	v_not_b32_e32 v43, v3
	v_cmp_gt_i32_e64 s10, 0, v3
	v_not_b32_e32 v3, v4
	v_lshlrev_b32_e32 v41, 26, v0
	v_cmp_ne_u32_e32 vcc_lo, 0, v6
	v_ashrrev_i32_e32 v6, 31, v43
	v_lshlrev_b32_e32 v42, 25, v0
	v_ashrrev_i32_e32 v3, 31, v3
	v_mul_lo_u32 v1, v0, 10
	v_xor_b32_e32 v2, vcc_lo, v2
	v_cmp_gt_i32_e32 vcc_lo, 0, v4
	v_not_b32_e32 v4, v5
	v_xor_b32_e32 v6, s10, v6
	v_cmp_gt_i32_e64 s10, 0, v5
	v_and_b32_e32 v2, exec_lo, v2
	v_not_b32_e32 v5, v7
	v_ashrrev_i32_e32 v4, 31, v4
	v_xor_b32_e32 v3, vcc_lo, v3
	v_cmp_gt_i32_e32 vcc_lo, 0, v7
	v_and_b32_e32 v2, v2, v6
	v_not_b32_e32 v6, v41
	v_ashrrev_i32_e32 v5, 31, v5
	v_xor_b32_e32 v4, s10, v4
	v_lshlrev_b32_e32 v0, 24, v0
	v_and_b32_e32 v2, v2, v3
	v_cmp_gt_i32_e64 s10, 0, v41
	v_not_b32_e32 v3, v42
	v_ashrrev_i32_e32 v6, 31, v6
	v_xor_b32_e32 v5, vcc_lo, v5
	v_and_b32_e32 v2, v2, v4
	v_cmp_gt_i32_e32 vcc_lo, 0, v42
	v_not_b32_e32 v4, v0
	v_ashrrev_i32_e32 v3, 31, v3
	v_xor_b32_e32 v6, s10, v6
	v_and_b32_e32 v2, v2, v5
	v_cmp_gt_i32_e64 s10, 0, v0
	v_ashrrev_i32_e32 v0, 31, v4
	v_xor_b32_e32 v3, vcc_lo, v3
	v_add_lshl_u32 v1, v1, v11, 2
	v_and_b32_e32 v2, v2, v6
	s_delay_alu instid0(VALU_DEP_4) | instskip(SKIP_3) | instid1(VALU_DEP_2)
	v_xor_b32_e32 v0, s10, v0
	ds_load_b32 v41, v1 offset:40
	v_and_b32_e32 v2, v2, v3
	v_add_nc_u32_e32 v43, 40, v1
	; wave barrier
	v_and_b32_e32 v0, v2, v0
	s_delay_alu instid0(VALU_DEP_1) | instskip(SKIP_1) | instid1(VALU_DEP_2)
	v_mbcnt_lo_u32_b32 v42, v0, 0
	v_cmp_ne_u32_e64 s10, 0, v0
	v_cmp_eq_u32_e32 vcc_lo, 0, v42
	s_delay_alu instid0(VALU_DEP_2) | instskip(NEXT) | instid1(SALU_CYCLE_1)
	s_and_b32 s11, vcc_lo, s10
	s_and_saveexec_b32 s10, s11
	s_cbranch_execz .LBB179_10
; %bb.9:                                ;   in Loop: Header=BB179_4 Depth=2
	s_waitcnt lgkmcnt(0)
	v_bcnt_u32_b32 v0, v0, v41
	ds_store_b32 v43, v0
.LBB179_10:                             ;   in Loop: Header=BB179_4 Depth=2
	s_or_b32 exec_lo, exec_lo, s10
	; wave barrier
	s_waitcnt lgkmcnt(0)
	s_barrier
	buffer_gl0_inv
	ds_load_2addr_b64 v[4:7], v30 offset0:5 offset1:6
	ds_load_2addr_b64 v[0:3], v31 offset0:2 offset1:3
	s_waitcnt lgkmcnt(1)
	v_add_nc_u32_e32 v44, v5, v4
	s_delay_alu instid0(VALU_DEP_1) | instskip(SKIP_1) | instid1(VALU_DEP_1)
	v_add3_u32 v44, v44, v6, v7
	s_waitcnt lgkmcnt(0)
	v_add3_u32 v44, v44, v0, v1
	s_delay_alu instid0(VALU_DEP_1) | instskip(NEXT) | instid1(VALU_DEP_1)
	v_add3_u32 v3, v44, v2, v3
	v_mov_b32_dpp v44, v3 row_shr:1 row_mask:0xf bank_mask:0xf
	s_delay_alu instid0(VALU_DEP_1) | instskip(NEXT) | instid1(VALU_DEP_1)
	v_cndmask_b32_e64 v44, v44, 0, s1
	v_add_nc_u32_e32 v3, v44, v3
	s_delay_alu instid0(VALU_DEP_1) | instskip(NEXT) | instid1(VALU_DEP_1)
	v_mov_b32_dpp v44, v3 row_shr:2 row_mask:0xf bank_mask:0xf
	v_cndmask_b32_e64 v44, 0, v44, s2
	s_delay_alu instid0(VALU_DEP_1) | instskip(NEXT) | instid1(VALU_DEP_1)
	v_add_nc_u32_e32 v3, v3, v44
	v_mov_b32_dpp v44, v3 row_shr:4 row_mask:0xf bank_mask:0xf
	s_delay_alu instid0(VALU_DEP_1) | instskip(NEXT) | instid1(VALU_DEP_1)
	v_cndmask_b32_e64 v44, 0, v44, s3
	v_add_nc_u32_e32 v3, v3, v44
	s_delay_alu instid0(VALU_DEP_1) | instskip(NEXT) | instid1(VALU_DEP_1)
	v_mov_b32_dpp v44, v3 row_shr:8 row_mask:0xf bank_mask:0xf
	v_cndmask_b32_e64 v44, 0, v44, s4
	s_delay_alu instid0(VALU_DEP_1) | instskip(SKIP_3) | instid1(VALU_DEP_1)
	v_add_nc_u32_e32 v3, v3, v44
	ds_swizzle_b32 v44, v3 offset:swizzle(BROADCAST,32,15)
	s_waitcnt lgkmcnt(0)
	v_cndmask_b32_e64 v44, v44, 0, s5
	v_add_nc_u32_e32 v3, v3, v44
	s_and_saveexec_b32 s10, s9
	s_cbranch_execz .LBB179_12
; %bb.11:                               ;   in Loop: Header=BB179_4 Depth=2
	ds_store_b32 v33, v3
.LBB179_12:                             ;   in Loop: Header=BB179_4 Depth=2
	s_or_b32 exec_lo, exec_lo, s10
	s_waitcnt lgkmcnt(0)
	s_barrier
	buffer_gl0_inv
	s_and_saveexec_b32 s10, s6
	s_cbranch_execz .LBB179_14
; %bb.13:                               ;   in Loop: Header=BB179_4 Depth=2
	ds_load_b32 v44, v34
	s_waitcnt lgkmcnt(0)
	v_mov_b32_dpp v45, v44 row_shr:1 row_mask:0xf bank_mask:0xf
	s_delay_alu instid0(VALU_DEP_1) | instskip(NEXT) | instid1(VALU_DEP_1)
	v_cndmask_b32_e64 v45, v45, 0, s1
	v_add_nc_u32_e32 v44, v45, v44
	s_delay_alu instid0(VALU_DEP_1) | instskip(NEXT) | instid1(VALU_DEP_1)
	v_mov_b32_dpp v45, v44 row_shr:2 row_mask:0xf bank_mask:0xf
	v_cndmask_b32_e64 v45, 0, v45, s2
	s_delay_alu instid0(VALU_DEP_1) | instskip(NEXT) | instid1(VALU_DEP_1)
	v_add_nc_u32_e32 v44, v44, v45
	v_mov_b32_dpp v45, v44 row_shr:4 row_mask:0xf bank_mask:0xf
	s_delay_alu instid0(VALU_DEP_1) | instskip(NEXT) | instid1(VALU_DEP_1)
	v_cndmask_b32_e64 v45, 0, v45, s3
	v_add_nc_u32_e32 v44, v44, v45
	s_delay_alu instid0(VALU_DEP_1) | instskip(NEXT) | instid1(VALU_DEP_1)
	v_mov_b32_dpp v45, v44 row_shr:8 row_mask:0xf bank_mask:0xf
	v_cndmask_b32_e64 v45, 0, v45, s4
	s_delay_alu instid0(VALU_DEP_1)
	v_add_nc_u32_e32 v44, v44, v45
	ds_store_b32 v34, v44
.LBB179_14:                             ;   in Loop: Header=BB179_4 Depth=2
	s_or_b32 exec_lo, exec_lo, s10
	v_mov_b32_e32 v44, 0
	s_waitcnt lgkmcnt(0)
	s_barrier
	buffer_gl0_inv
	s_and_saveexec_b32 s10, s7
	s_cbranch_execz .LBB179_16
; %bb.15:                               ;   in Loop: Header=BB179_4 Depth=2
	ds_load_b32 v44, v35
.LBB179_16:                             ;   in Loop: Header=BB179_4 Depth=2
	s_or_b32 exec_lo, exec_lo, s10
	s_waitcnt lgkmcnt(0)
	v_add_nc_u32_e32 v3, v44, v3
	s_cmp_gt_u32 s20, 55
	ds_bpermute_b32 v3, v32, v3
	s_waitcnt lgkmcnt(0)
	v_cndmask_b32_e64 v3, v3, v44, s0
	s_delay_alu instid0(VALU_DEP_1) | instskip(NEXT) | instid1(VALU_DEP_1)
	v_cndmask_b32_e64 v3, v3, 0, s8
	v_add_nc_u32_e32 v4, v3, v4
	s_delay_alu instid0(VALU_DEP_1) | instskip(NEXT) | instid1(VALU_DEP_1)
	v_add_nc_u32_e32 v5, v4, v5
	v_add_nc_u32_e32 v6, v5, v6
	s_delay_alu instid0(VALU_DEP_1) | instskip(SKIP_1) | instid1(VALU_DEP_2)
	v_add_nc_u32_e32 v44, v6, v7
	v_lshlrev_b32_e32 v7, 3, v41
	v_add_nc_u32_e32 v45, v44, v0
	s_delay_alu instid0(VALU_DEP_1) | instskip(NEXT) | instid1(VALU_DEP_1)
	v_add_nc_u32_e32 v0, v45, v1
	v_add_nc_u32_e32 v1, v0, v2
	ds_store_2addr_b64 v30, v[3:4], v[5:6] offset0:5 offset1:6
	ds_store_2addr_b64 v31, v[44:45], v[0:1] offset0:2 offset1:3
	s_waitcnt lgkmcnt(0)
	s_barrier
	buffer_gl0_inv
	ds_load_b32 v0, v40
	ds_load_b32 v1, v43
	;; [unrolled: 1-line block ×3, first 2 shown]
	v_lshlrev_b32_e32 v3, 3, v26
	v_lshlrev_b32_e32 v4, 3, v29
	v_lshlrev_b32_e32 v5, 3, v28
	v_lshlrev_b32_e32 v6, 3, v42
	s_waitcnt lgkmcnt(0)
	v_lshlrev_b32_e32 v0, 3, v0
	v_lshlrev_b32_e32 v1, 3, v1
	v_lshl_add_u32 v40, v2, 3, v3
	s_delay_alu instid0(VALU_DEP_3) | instskip(NEXT) | instid1(VALU_DEP_3)
	v_add3_u32 v41, v4, v5, v0
	v_add3_u32 v42, v6, v7, v1
	s_cbranch_scc0 .LBB179_3
; %bb.17:                               ;   in Loop: Header=BB179_2 Depth=1
                                        ; implicit-def: $sgpr20
                                        ; implicit-def: $vgpr4_vgpr5
                                        ; implicit-def: $vgpr28_vgpr29
                                        ; implicit-def: $vgpr0_vgpr1
                                        ; implicit-def: $vgpr26_vgpr27
                                        ; implicit-def: $sgpr17
                                        ; implicit-def: $sgpr16
	s_branch .LBB179_1
.LBB179_18:
	v_lshlrev_b32_e32 v9, 3, v8
	s_add_u32 s0, s18, s14
	s_waitcnt lgkmcnt(1)
	v_add_nc_u32_e32 v3, v14, v4
	v_add_nc_u32_e32 v4, v15, v5
	v_add_nc_u32_e32 v5, v16, v6
	v_add_nc_u32_e32 v6, v17, v7
	s_addc_u32 s1, s19, s15
	v_add_co_u32 v7, s2, s0, v9
	s_delay_alu instid0(VALU_DEP_1) | instskip(SKIP_2) | instid1(VALU_DEP_3)
	v_add_co_ci_u32_e64 v8, null, s1, 0, s2
	s_waitcnt lgkmcnt(0)
	v_add_nc_u32_e32 v0, v1, v18
	v_add_co_u32 v7, vcc_lo, 0x1000, v7
	v_add_nc_u32_e32 v1, v2, v19
	v_add_co_ci_u32_e32 v8, vcc_lo, 0, v8, vcc_lo
	s_clause 0x2
	global_store_b64 v9, v[3:4], s[0:1]
	global_store_b64 v9, v[5:6], s[0:1] offset:2560
	global_store_b64 v[7:8], v[0:1], off offset:1024
	s_nop 0
	s_sendmsg sendmsg(MSG_DEALLOC_VGPRS)
	s_endpgm
	.section	.rodata,"a",@progbits
	.p2align	6, 0x0
	.amdhsa_kernel _Z17sort_pairs_kernelI22helper_blocked_blockedN15benchmark_utils11custom_typeIiiEELj320ELj3ELj10EEvPKT0_PS4_
		.amdhsa_group_segment_fixed_size 10288
		.amdhsa_private_segment_fixed_size 0
		.amdhsa_kernarg_size 272
		.amdhsa_user_sgpr_count 15
		.amdhsa_user_sgpr_dispatch_ptr 0
		.amdhsa_user_sgpr_queue_ptr 0
		.amdhsa_user_sgpr_kernarg_segment_ptr 1
		.amdhsa_user_sgpr_dispatch_id 0
		.amdhsa_user_sgpr_private_segment_size 0
		.amdhsa_wavefront_size32 1
		.amdhsa_uses_dynamic_stack 0
		.amdhsa_enable_private_segment 0
		.amdhsa_system_sgpr_workgroup_id_x 1
		.amdhsa_system_sgpr_workgroup_id_y 0
		.amdhsa_system_sgpr_workgroup_id_z 0
		.amdhsa_system_sgpr_workgroup_info 0
		.amdhsa_system_vgpr_workitem_id 2
		.amdhsa_next_free_vgpr 46
		.amdhsa_next_free_sgpr 25
		.amdhsa_reserve_vcc 1
		.amdhsa_float_round_mode_32 0
		.amdhsa_float_round_mode_16_64 0
		.amdhsa_float_denorm_mode_32 3
		.amdhsa_float_denorm_mode_16_64 3
		.amdhsa_dx10_clamp 1
		.amdhsa_ieee_mode 1
		.amdhsa_fp16_overflow 0
		.amdhsa_workgroup_processor_mode 1
		.amdhsa_memory_ordered 1
		.amdhsa_forward_progress 0
		.amdhsa_shared_vgpr_count 0
		.amdhsa_exception_fp_ieee_invalid_op 0
		.amdhsa_exception_fp_denorm_src 0
		.amdhsa_exception_fp_ieee_div_zero 0
		.amdhsa_exception_fp_ieee_overflow 0
		.amdhsa_exception_fp_ieee_underflow 0
		.amdhsa_exception_fp_ieee_inexact 0
		.amdhsa_exception_int_div_zero 0
	.end_amdhsa_kernel
	.section	.text._Z17sort_pairs_kernelI22helper_blocked_blockedN15benchmark_utils11custom_typeIiiEELj320ELj3ELj10EEvPKT0_PS4_,"axG",@progbits,_Z17sort_pairs_kernelI22helper_blocked_blockedN15benchmark_utils11custom_typeIiiEELj320ELj3ELj10EEvPKT0_PS4_,comdat
.Lfunc_end179:
	.size	_Z17sort_pairs_kernelI22helper_blocked_blockedN15benchmark_utils11custom_typeIiiEELj320ELj3ELj10EEvPKT0_PS4_, .Lfunc_end179-_Z17sort_pairs_kernelI22helper_blocked_blockedN15benchmark_utils11custom_typeIiiEELj320ELj3ELj10EEvPKT0_PS4_
                                        ; -- End function
	.section	.AMDGPU.csdata,"",@progbits
; Kernel info:
; codeLenInByte = 3020
; NumSgprs: 27
; NumVgprs: 46
; ScratchSize: 0
; MemoryBound: 0
; FloatMode: 240
; IeeeMode: 1
; LDSByteSize: 10288 bytes/workgroup (compile time only)
; SGPRBlocks: 3
; VGPRBlocks: 5
; NumSGPRsForWavesPerEU: 27
; NumVGPRsForWavesPerEU: 46
; Occupancy: 15
; WaveLimiterHint : 1
; COMPUTE_PGM_RSRC2:SCRATCH_EN: 0
; COMPUTE_PGM_RSRC2:USER_SGPR: 15
; COMPUTE_PGM_RSRC2:TRAP_HANDLER: 0
; COMPUTE_PGM_RSRC2:TGID_X_EN: 1
; COMPUTE_PGM_RSRC2:TGID_Y_EN: 0
; COMPUTE_PGM_RSRC2:TGID_Z_EN: 0
; COMPUTE_PGM_RSRC2:TIDIG_COMP_CNT: 2
	.section	.text._Z16sort_keys_kernelI22helper_blocked_blockedN15benchmark_utils11custom_typeIiiEELj320ELj4ELj10EEvPKT0_PS4_,"axG",@progbits,_Z16sort_keys_kernelI22helper_blocked_blockedN15benchmark_utils11custom_typeIiiEELj320ELj4ELj10EEvPKT0_PS4_,comdat
	.protected	_Z16sort_keys_kernelI22helper_blocked_blockedN15benchmark_utils11custom_typeIiiEELj320ELj4ELj10EEvPKT0_PS4_ ; -- Begin function _Z16sort_keys_kernelI22helper_blocked_blockedN15benchmark_utils11custom_typeIiiEELj320ELj4ELj10EEvPKT0_PS4_
	.globl	_Z16sort_keys_kernelI22helper_blocked_blockedN15benchmark_utils11custom_typeIiiEELj320ELj4ELj10EEvPKT0_PS4_
	.p2align	8
	.type	_Z16sort_keys_kernelI22helper_blocked_blockedN15benchmark_utils11custom_typeIiiEELj320ELj4ELj10EEvPKT0_PS4_,@function
_Z16sort_keys_kernelI22helper_blocked_blockedN15benchmark_utils11custom_typeIiiEELj320ELj4ELj10EEvPKT0_PS4_: ; @_Z16sort_keys_kernelI22helper_blocked_blockedN15benchmark_utils11custom_typeIiiEELj320ELj4ELj10EEvPKT0_PS4_
; %bb.0:
	s_clause 0x1
	s_load_b128 s[16:19], s[0:1], 0x0
	s_load_b32 s4, s[0:1], 0x1c
	s_mov_b32 s23, 0
	s_mul_i32 s22, s15, 0x500
	v_mbcnt_lo_u32_b32 v7, -1, 0
	s_lshl_b64 s[20:21], s[22:23], 3
	s_mov_b32 s22, s23
	v_and_b32_e32 v8, 0x3ff, v0
	v_bfe_u32 v10, v0, 10, 10
	v_add_nc_u32_e32 v12, -1, v7
	v_bfe_u32 v0, v0, 20, 10
	v_and_b32_e32 v9, 3, v7
	v_lshlrev_b32_e32 v3, 3, v8
	v_and_b32_e32 v11, 16, v7
	v_cmp_eq_u32_e64 s12, 0, v7
	s_mov_b32 s14, s23
	s_mov_b32 s15, s23
	v_and_b32_e32 v22, 28, v7
	v_cmp_eq_u32_e64 s8, 0, v11
	v_lshlrev_b32_e32 v11, 2, v8
	s_waitcnt lgkmcnt(0)
	s_add_u32 s0, s16, s20
	s_addc_u32 s1, s17, s21
	v_add_co_u32 v1, s2, s0, v3
	s_delay_alu instid0(VALU_DEP_1) | instskip(SKIP_1) | instid1(VALU_DEP_2)
	v_add_co_ci_u32_e64 v2, null, s1, 0, s2
	s_lshr_b32 s3, s4, 16
	v_add_co_u32 v1, vcc_lo, 0x1000, v1
	s_delay_alu instid0(VALU_DEP_2)
	v_add_co_ci_u32_e32 v2, vcc_lo, 0, v2, vcc_lo
	v_mad_u32_u24 v0, v0, s3, v10
	s_clause 0x3
	global_load_b64 v[5:6], v3, s[0:1]
	global_load_b64 v[14:15], v3, s[0:1] offset:2560
	global_load_b64 v[3:4], v[1:2], off offset:1024
	global_load_b64 v[1:2], v[1:2], off offset:3584
	s_and_b32 s4, s4, 0xffff
	v_cmp_eq_u32_e64 s0, 0, v9
	v_cmp_eq_u32_e64 s1, 1, v9
	;; [unrolled: 1-line block ×4, first 2 shown]
	v_mad_u64_u32 v[9:10], null, v0, s4, v[8:9]
	v_and_b32_e32 v0, 0x1e0, v8
	v_cmp_gt_i32_e32 vcc_lo, 0, v12
	v_and_b32_e32 v10, 15, v7
	s_delay_alu instid0(VALU_DEP_3) | instskip(SKIP_1) | instid1(VALU_DEP_3)
	v_min_u32_e32 v0, 0x120, v0
	v_lshrrev_b32_e32 v9, 5, v9
	v_cmp_eq_u32_e64 s4, 0, v10
	v_cmp_lt_u32_e64 s5, 1, v10
	v_cmp_lt_u32_e64 s6, 3, v10
	v_or_b32_e32 v0, 31, v0
	v_cmp_lt_u32_e64 s7, 7, v10
	v_lshrrev_b32_e32 v10, 3, v8
	s_delay_alu instid0(VALU_DEP_3) | instskip(NEXT) | instid1(VALU_DEP_2)
	v_cmp_eq_u32_e64 s9, v0, v8
	v_dual_cndmask_b32 v0, v12, v7 :: v_dual_and_b32 v29, 60, v10
	s_delay_alu instid0(VALU_DEP_1) | instskip(SKIP_1) | instid1(VALU_DEP_3)
	v_lshlrev_b32_e32 v28, 2, v0
	v_and_b32_e32 v0, 0x780, v11
	v_add_nc_u32_e32 v30, -4, v29
	s_delay_alu instid0(VALU_DEP_2)
	v_or_b32_e32 v10, 32, v0
	v_or_b32_e32 v11, 64, v0
	;; [unrolled: 1-line block ×4, first 2 shown]
	v_lshrrev_b32_e32 v0, 5, v0
	v_lshrrev_b32_e32 v10, 5, v10
	;; [unrolled: 1-line block ×3, first 2 shown]
	s_delay_alu instid0(VALU_DEP_4) | instskip(NEXT) | instid1(VALU_DEP_4)
	v_lshrrev_b32_e32 v12, 5, v12
	v_add_lshl_u32 v31, v0, v7, 3
	s_delay_alu instid0(VALU_DEP_4) | instskip(NEXT) | instid1(VALU_DEP_4)
	v_add_lshl_u32 v32, v10, v7, 3
	v_add_lshl_u32 v33, v11, v7, 3
	v_dual_mov_b32 v10, s22 :: v_dual_mov_b32 v11, s23
	v_lshlrev_b32_e32 v24, 5, v8
	v_and_b32_e32 v13, 0x1f8, v8
	v_mul_i32_i24_e32 v16, 0xffffffe4, v8
	v_add_lshl_u32 v34, v12, v7, 3
	v_cmp_gt_u32_e64 s10, 10, v8
	v_add_nc_u32_e32 v27, 40, v24
	v_dual_mov_b32 v12, s14 :: v_dual_add_nc_u32 v35, v24, v13
	v_cmp_lt_u32_e64 s11, 31, v8
	v_cmp_eq_u32_e64 s13, 0, v8
	v_mov_b32_e32 v13, s15
	v_or_b32_e32 v23, 32, v22
	v_or_b32_e32 v25, 64, v22
	;; [unrolled: 1-line block ×3, first 2 shown]
	v_add_nc_u32_e32 v36, v24, v16
	s_branch .LBB180_2
.LBB180_1:                              ;   in Loop: Header=BB180_2 Depth=1
	s_barrier
	buffer_gl0_inv
	ds_store_b64 v37, v[14:15]
	ds_store_b64 v38, v[16:17]
	;; [unrolled: 1-line block ×4, first 2 shown]
	s_waitcnt lgkmcnt(0)
	s_barrier
	buffer_gl0_inv
	ds_load_2addr_b64 v[0:3], v35 offset1:1
	ds_load_2addr_b64 v[16:19], v35 offset0:2 offset1:3
	s_add_i32 s23, s23, 1
	s_delay_alu instid0(SALU_CYCLE_1)
	s_cmp_eq_u32 s23, 10
	s_waitcnt lgkmcnt(1)
	v_xor_b32_e32 v5, 0x80000000, v0
	v_xor_b32_e32 v6, 0x80000000, v1
	;; [unrolled: 1-line block ×4, first 2 shown]
	s_waitcnt lgkmcnt(0)
	v_xor_b32_e32 v3, 0x80000000, v16
	v_xor_b32_e32 v4, 0x80000000, v17
	;; [unrolled: 1-line block ×4, first 2 shown]
	s_cbranch_scc1 .LBB180_20
.LBB180_2:                              ; =>This Loop Header: Depth=1
                                        ;     Child Loop BB180_4 Depth 2
	s_waitcnt vmcnt(3)
	v_xor_b32_e32 v5, 0x80000000, v5
	v_xor_b32_e32 v0, 0x80000000, v6
	s_waitcnt vmcnt(2)
	v_xor_b32_e32 v14, 0x80000000, v14
	v_xor_b32_e32 v6, 0x80000000, v15
	s_waitcnt vmcnt(1)
	v_xor_b32_e32 v3, 0x80000000, v3
	ds_bpermute_b32 v15, v22, v5
	ds_bpermute_b32 v7, v22, v0
	;; [unrolled: 1-line block ×3, first 2 shown]
	v_xor_b32_e32 v4, 0x80000000, v4
	s_waitcnt vmcnt(0)
	v_xor_b32_e32 v1, 0x80000000, v1
	ds_bpermute_b32 v16, v22, v6
	ds_bpermute_b32 v18, v23, v0
	;; [unrolled: 1-line block ×3, first 2 shown]
	v_xor_b32_e32 v2, 0x80000000, v2
	ds_bpermute_b32 v19, v23, v5
	ds_bpermute_b32 v20, v22, v4
	;; [unrolled: 1-line block ×11, first 2 shown]
	s_waitcnt lgkmcnt(16)
	v_cndmask_b32_e64 v15, 0, v15, s0
	s_waitcnt lgkmcnt(15)
	v_cndmask_b32_e64 v7, 0, v7, s0
	ds_bpermute_b32 v45, v25, v14
	ds_bpermute_b32 v46, v25, v6
	;; [unrolled: 1-line block ×3, first 2 shown]
	s_waitcnt lgkmcnt(17)
	v_cndmask_b32_e64 v15, v15, v17, s1
	s_waitcnt lgkmcnt(16)
	v_cndmask_b32_e64 v7, v7, v16, s1
	;; [unrolled: 2-line block ×3, first 2 shown]
	ds_bpermute_b32 v18, v26, v6
	ds_bpermute_b32 v41, v23, v3
	s_waitcnt lgkmcnt(16)
	v_cndmask_b32_e64 v15, v15, v21, s2
	s_waitcnt lgkmcnt(15)
	v_cndmask_b32_e64 v17, 0, v19, s0
	s_waitcnt lgkmcnt(14)
	v_cndmask_b32_e64 v7, v7, v20, s2
	ds_bpermute_b32 v19, v25, v4
	ds_bpermute_b32 v20, v25, v3
	s_waitcnt lgkmcnt(15)
	v_cndmask_b32_e64 v6, v15, v37, s3
	ds_bpermute_b32 v15, v23, v2
	ds_bpermute_b32 v4, v26, v4
	ds_bpermute_b32 v3, v26, v3
	s_waitcnt lgkmcnt(17)
	v_cndmask_b32_e64 v16, v16, v38, s1
	s_waitcnt lgkmcnt(16)
	v_cndmask_b32_e64 v17, v17, v39, s1
	;; [unrolled: 2-line block ×3, first 2 shown]
	ds_bpermute_b32 v21, v23, v1
	ds_bpermute_b32 v37, v25, v2
	;; [unrolled: 1-line block ×5, first 2 shown]
	s_waitcnt lgkmcnt(19)
	v_cndmask_b32_e64 v1, v16, v42, s2
	s_waitcnt lgkmcnt(17)
	v_cndmask_b32_e64 v2, 0, v44, s0
	v_cndmask_b32_e64 v16, 0, v43, s0
	s_waitcnt lgkmcnt(15)
	v_cndmask_b32_e64 v0, 0, v0, s0
	;; [unrolled: 3-line block ×3, first 2 shown]
	v_cndmask_b32_e64 v2, v2, v46, s1
	v_cndmask_b32_e64 v16, v16, v45, s1
	;; [unrolled: 1-line block ×4, first 2 shown]
	s_waitcnt lgkmcnt(7)
	v_cndmask_b32_e64 v1, v1, v15, s3
	v_cndmask_b32_e64 v2, v2, v19, s2
	;; [unrolled: 1-line block ×3, first 2 shown]
	s_waitcnt lgkmcnt(6)
	v_cndmask_b32_e64 v4, v0, v4, s2
	s_waitcnt lgkmcnt(5)
	v_cndmask_b32_e64 v15, v5, v3, s2
	;; [unrolled: 2-line block ×7, first 2 shown]
	s_mov_b32 s17, 8
	s_mov_b32 s22, 32
	;; [unrolled: 1-line block ×3, first 2 shown]
	s_barrier
	s_branch .LBB180_4
.LBB180_3:                              ;   in Loop: Header=BB180_4 Depth=2
	s_barrier
	buffer_gl0_inv
	ds_store_b64 v37, v[14:15]
	ds_store_b64 v38, v[16:17]
	;; [unrolled: 1-line block ×4, first 2 shown]
	s_waitcnt lgkmcnt(0)
	s_barrier
	buffer_gl0_inv
	ds_load_b64 v[6:7], v31
	ds_load_b64 v[0:1], v32 offset:256
	ds_load_b64 v[2:3], v33 offset:512
	;; [unrolled: 1-line block ×3, first 2 shown]
	s_add_i32 s22, s22, -8
	s_add_i32 s17, s17, 8
	s_add_i32 s24, s24, 8
	s_waitcnt lgkmcnt(0)
	s_barrier
	s_cbranch_execz .LBB180_1
.LBB180_4:                              ;   Parent Loop BB180_2 Depth=1
                                        ; =>  This Inner Loop Header: Depth=2
	s_min_i32 s15, s17, 32
	s_cmp_lt_u32 s24, 32
	v_dual_mov_b32 v15, v7 :: v_dual_mov_b32 v14, v6
	s_cselect_b32 vcc_lo, -1, 0
	s_cmp_gt_u32 s24, 24
	buffer_gl0_inv
	s_cselect_b32 s14, -1, 0
	s_sub_i32 s15, s15, 32
	v_lshrrev_b32_e32 v7, s24, v15
	s_add_i32 s16, s15, s22
	ds_store_2addr_b64 v24, v[10:11], v[12:13] offset0:5 offset1:6
	ds_store_2addr_b64 v27, v[10:11], v[12:13] offset0:2 offset1:3
	s_lshl_b32 s16, -1, s16
	s_waitcnt lgkmcnt(0)
	s_not_b32 s16, s16
	s_cmp_lg_u32 s15, s24
	s_barrier
	s_cselect_b32 s25, s16, -1
	s_max_i32 s26, s22, 0
	s_max_i32 s15, s24, 32
	v_and_b32_e32 v7, s25, v7
	s_sub_i32 s16, s15, s26
	s_sub_i32 s27, s15, 32
	;; [unrolled: 1-line block ×3, first 2 shown]
	v_lshrrev_b32_e32 v6, s27, v14
	s_min_i32 s15, s16, 32
	buffer_gl0_inv
	s_sub_i32 s15, s15, s27
	s_delay_alu instid0(SALU_CYCLE_1) | instskip(NEXT) | instid1(SALU_CYCLE_1)
	s_lshl_b32 s16, -1, s15
	; wave barrier
	s_not_b32 s16, s16
	s_cmp_lg_u32 s15, 32
	v_cndmask_b32_e32 v7, 0, v7, vcc_lo
	s_cselect_b32 s28, s16, -1
	s_delay_alu instid0(SALU_CYCLE_1) | instskip(NEXT) | instid1(VALU_DEP_1)
	v_and_b32_e32 v6, s28, v6
	v_lshlrev_b32_e32 v6, s26, v6
	s_delay_alu instid0(VALU_DEP_1) | instskip(NEXT) | instid1(VALU_DEP_1)
	v_cndmask_b32_e64 v6, 0, v6, s14
	v_or_b32_e32 v6, v7, v6
	s_delay_alu instid0(VALU_DEP_1)
	v_and_b32_e32 v7, 1, v6
	v_lshlrev_b32_e32 v16, 30, v6
	v_lshlrev_b32_e32 v17, 29, v6
	;; [unrolled: 1-line block ×4, first 2 shown]
	v_add_co_u32 v7, s15, v7, -1
	s_delay_alu instid0(VALU_DEP_1)
	v_cndmask_b32_e64 v19, 0, 1, s15
	v_not_b32_e32 v38, v16
	v_cmp_gt_i32_e64 s16, 0, v16
	v_not_b32_e32 v16, v17
	v_lshlrev_b32_e32 v21, 26, v6
	v_cmp_ne_u32_e64 s15, 0, v19
	v_ashrrev_i32_e32 v38, 31, v38
	v_lshlrev_b32_e32 v37, 25, v6
	v_ashrrev_i32_e32 v16, 31, v16
	v_lshlrev_b32_e32 v19, 24, v6
	v_xor_b32_e32 v7, s15, v7
	v_cmp_gt_i32_e64 s15, 0, v17
	v_not_b32_e32 v17, v18
	v_xor_b32_e32 v38, s16, v38
	v_cmp_gt_i32_e64 s16, 0, v18
	v_and_b32_e32 v7, exec_lo, v7
	v_not_b32_e32 v18, v20
	v_ashrrev_i32_e32 v17, 31, v17
	v_xor_b32_e32 v16, s15, v16
	v_cmp_gt_i32_e64 s15, 0, v20
	v_and_b32_e32 v7, v7, v38
	v_not_b32_e32 v20, v21
	v_ashrrev_i32_e32 v18, 31, v18
	v_xor_b32_e32 v17, s16, v17
	v_cmp_gt_i32_e64 s16, 0, v21
	v_and_b32_e32 v7, v7, v16
	;; [unrolled: 5-line block ×4, first 2 shown]
	v_ashrrev_i32_e32 v17, 31, v17
	v_xor_b32_e32 v16, s15, v16
	s_delay_alu instid0(VALU_DEP_3) | instskip(NEXT) | instid1(VALU_DEP_3)
	v_and_b32_e32 v7, v7, v20
	v_xor_b32_e32 v18, s16, v17
	v_dual_mov_b32 v21, v3 :: v_dual_mov_b32 v20, v2
	s_delay_alu instid0(VALU_DEP_3) | instskip(SKIP_2) | instid1(VALU_DEP_3)
	v_and_b32_e32 v7, v7, v16
	v_dual_mov_b32 v17, v1 :: v_dual_mov_b32 v16, v0
	v_mad_u64_u32 v[1:2], null, v6, 10, v[9:10]
	v_dual_mov_b32 v19, v5 :: v_dual_and_b32 v0, v7, v18
	v_mov_b32_e32 v18, v4
	s_delay_alu instid0(VALU_DEP_2) | instskip(SKIP_2) | instid1(VALU_DEP_3)
	v_mbcnt_lo_u32_b32 v37, v0, 0
	v_cmp_ne_u32_e64 s16, 0, v0
	v_lshl_add_u32 v38, v1, 2, 40
	v_cmp_eq_u32_e64 s15, 0, v37
	s_delay_alu instid0(VALU_DEP_1) | instskip(NEXT) | instid1(SALU_CYCLE_1)
	s_and_b32 s16, s15, s16
	s_and_saveexec_b32 s15, s16
	s_cbranch_execz .LBB180_6
; %bb.5:                                ;   in Loop: Header=BB180_4 Depth=2
	v_bcnt_u32_b32 v0, v0, 0
	ds_store_b32 v38, v0
.LBB180_6:                              ;   in Loop: Header=BB180_4 Depth=2
	s_or_b32 exec_lo, exec_lo, s15
	v_lshrrev_b32_e32 v0, s27, v16
	v_lshrrev_b32_e32 v1, s24, v17
	; wave barrier
	s_delay_alu instid0(VALU_DEP_1) | instskip(NEXT) | instid1(VALU_DEP_1)
	v_and_b32_e32 v1, s25, v1
	v_dual_cndmask_b32 v1, 0, v1 :: v_dual_and_b32 v0, s28, v0
	s_delay_alu instid0(VALU_DEP_1) | instskip(NEXT) | instid1(VALU_DEP_1)
	v_lshlrev_b32_e32 v0, s26, v0
	v_cndmask_b32_e64 v0, 0, v0, s14
	s_delay_alu instid0(VALU_DEP_1) | instskip(NEXT) | instid1(VALU_DEP_1)
	v_or_b32_e32 v0, v1, v0
	v_and_b32_e32 v2, 1, v0
	v_lshlrev_b32_e32 v3, 30, v0
	v_lshlrev_b32_e32 v4, 29, v0
	;; [unrolled: 1-line block ×4, first 2 shown]
	v_add_co_u32 v2, s15, v2, -1
	s_delay_alu instid0(VALU_DEP_1)
	v_cndmask_b32_e64 v6, 0, 1, s15
	v_not_b32_e32 v41, v3
	v_cmp_gt_i32_e64 s16, 0, v3
	v_not_b32_e32 v3, v4
	v_lshlrev_b32_e32 v39, 26, v0
	v_cmp_ne_u32_e64 s15, 0, v6
	v_ashrrev_i32_e32 v6, 31, v41
	v_lshlrev_b32_e32 v40, 25, v0
	v_ashrrev_i32_e32 v3, 31, v3
	v_mul_lo_u32 v1, v0, 10
	v_xor_b32_e32 v2, s15, v2
	v_cmp_gt_i32_e64 s15, 0, v4
	v_not_b32_e32 v4, v5
	v_xor_b32_e32 v6, s16, v6
	v_cmp_gt_i32_e64 s16, 0, v5
	v_and_b32_e32 v2, exec_lo, v2
	v_not_b32_e32 v5, v7
	v_ashrrev_i32_e32 v4, 31, v4
	v_xor_b32_e32 v3, s15, v3
	v_cmp_gt_i32_e64 s15, 0, v7
	v_and_b32_e32 v2, v2, v6
	v_not_b32_e32 v6, v39
	v_ashrrev_i32_e32 v5, 31, v5
	v_xor_b32_e32 v4, s16, v4
	v_lshlrev_b32_e32 v0, 24, v0
	v_and_b32_e32 v2, v2, v3
	v_cmp_gt_i32_e64 s16, 0, v39
	v_not_b32_e32 v3, v40
	v_ashrrev_i32_e32 v6, 31, v6
	v_xor_b32_e32 v5, s15, v5
	v_and_b32_e32 v2, v2, v4
	v_cmp_gt_i32_e64 s15, 0, v40
	v_not_b32_e32 v4, v0
	v_ashrrev_i32_e32 v3, 31, v3
	v_xor_b32_e32 v6, s16, v6
	v_and_b32_e32 v2, v2, v5
	v_cmp_gt_i32_e64 s16, 0, v0
	v_ashrrev_i32_e32 v0, 31, v4
	v_xor_b32_e32 v3, s15, v3
	v_add_lshl_u32 v1, v1, v9, 2
	v_and_b32_e32 v2, v2, v6
	s_delay_alu instid0(VALU_DEP_4) | instskip(SKIP_3) | instid1(VALU_DEP_2)
	v_xor_b32_e32 v0, s16, v0
	ds_load_b32 v39, v1 offset:40
	v_and_b32_e32 v2, v2, v3
	v_add_nc_u32_e32 v41, 40, v1
	; wave barrier
	v_and_b32_e32 v0, v2, v0
	s_delay_alu instid0(VALU_DEP_1) | instskip(SKIP_1) | instid1(VALU_DEP_2)
	v_mbcnt_lo_u32_b32 v40, v0, 0
	v_cmp_ne_u32_e64 s16, 0, v0
	v_cmp_eq_u32_e64 s15, 0, v40
	s_delay_alu instid0(VALU_DEP_1) | instskip(NEXT) | instid1(SALU_CYCLE_1)
	s_and_b32 s16, s15, s16
	s_and_saveexec_b32 s15, s16
	s_cbranch_execz .LBB180_8
; %bb.7:                                ;   in Loop: Header=BB180_4 Depth=2
	s_waitcnt lgkmcnt(0)
	v_bcnt_u32_b32 v0, v0, v39
	ds_store_b32 v41, v0
.LBB180_8:                              ;   in Loop: Header=BB180_4 Depth=2
	s_or_b32 exec_lo, exec_lo, s15
	v_lshrrev_b32_e32 v0, s27, v20
	v_lshrrev_b32_e32 v1, s24, v21
	; wave barrier
	s_delay_alu instid0(VALU_DEP_1) | instskip(NEXT) | instid1(VALU_DEP_1)
	v_and_b32_e32 v1, s25, v1
	v_dual_cndmask_b32 v1, 0, v1 :: v_dual_and_b32 v0, s28, v0
	s_delay_alu instid0(VALU_DEP_1) | instskip(NEXT) | instid1(VALU_DEP_1)
	v_lshlrev_b32_e32 v0, s26, v0
	v_cndmask_b32_e64 v0, 0, v0, s14
	s_delay_alu instid0(VALU_DEP_1) | instskip(NEXT) | instid1(VALU_DEP_1)
	v_or_b32_e32 v0, v1, v0
	v_and_b32_e32 v2, 1, v0
	v_lshlrev_b32_e32 v3, 30, v0
	v_lshlrev_b32_e32 v4, 29, v0
	;; [unrolled: 1-line block ×4, first 2 shown]
	v_add_co_u32 v2, s15, v2, -1
	s_delay_alu instid0(VALU_DEP_1)
	v_cndmask_b32_e64 v6, 0, 1, s15
	v_not_b32_e32 v44, v3
	v_cmp_gt_i32_e64 s16, 0, v3
	v_not_b32_e32 v3, v4
	v_lshlrev_b32_e32 v42, 26, v0
	v_cmp_ne_u32_e64 s15, 0, v6
	v_ashrrev_i32_e32 v6, 31, v44
	v_lshlrev_b32_e32 v43, 25, v0
	v_ashrrev_i32_e32 v3, 31, v3
	v_mul_lo_u32 v1, v0, 10
	v_xor_b32_e32 v2, s15, v2
	v_cmp_gt_i32_e64 s15, 0, v4
	v_not_b32_e32 v4, v5
	v_xor_b32_e32 v6, s16, v6
	v_cmp_gt_i32_e64 s16, 0, v5
	v_and_b32_e32 v2, exec_lo, v2
	v_not_b32_e32 v5, v7
	v_ashrrev_i32_e32 v4, 31, v4
	v_xor_b32_e32 v3, s15, v3
	v_cmp_gt_i32_e64 s15, 0, v7
	v_and_b32_e32 v2, v2, v6
	v_not_b32_e32 v6, v42
	v_ashrrev_i32_e32 v5, 31, v5
	v_xor_b32_e32 v4, s16, v4
	v_lshlrev_b32_e32 v0, 24, v0
	v_and_b32_e32 v2, v2, v3
	v_cmp_gt_i32_e64 s16, 0, v42
	v_not_b32_e32 v3, v43
	v_ashrrev_i32_e32 v6, 31, v6
	v_xor_b32_e32 v5, s15, v5
	v_and_b32_e32 v2, v2, v4
	v_cmp_gt_i32_e64 s15, 0, v43
	v_not_b32_e32 v4, v0
	v_ashrrev_i32_e32 v3, 31, v3
	v_xor_b32_e32 v6, s16, v6
	v_and_b32_e32 v2, v2, v5
	v_cmp_gt_i32_e64 s16, 0, v0
	v_ashrrev_i32_e32 v0, 31, v4
	v_xor_b32_e32 v3, s15, v3
	v_add_lshl_u32 v1, v1, v9, 2
	v_and_b32_e32 v2, v2, v6
	s_delay_alu instid0(VALU_DEP_4) | instskip(SKIP_3) | instid1(VALU_DEP_2)
	v_xor_b32_e32 v0, s16, v0
	ds_load_b32 v42, v1 offset:40
	v_and_b32_e32 v2, v2, v3
	v_add_nc_u32_e32 v44, 40, v1
	; wave barrier
	v_and_b32_e32 v0, v2, v0
	s_delay_alu instid0(VALU_DEP_1) | instskip(SKIP_1) | instid1(VALU_DEP_2)
	v_mbcnt_lo_u32_b32 v43, v0, 0
	v_cmp_ne_u32_e64 s16, 0, v0
	v_cmp_eq_u32_e64 s15, 0, v43
	s_delay_alu instid0(VALU_DEP_1) | instskip(NEXT) | instid1(SALU_CYCLE_1)
	s_and_b32 s16, s15, s16
	s_and_saveexec_b32 s15, s16
	s_cbranch_execz .LBB180_10
; %bb.9:                                ;   in Loop: Header=BB180_4 Depth=2
	s_waitcnt lgkmcnt(0)
	v_bcnt_u32_b32 v0, v0, v42
	ds_store_b32 v44, v0
.LBB180_10:                             ;   in Loop: Header=BB180_4 Depth=2
	s_or_b32 exec_lo, exec_lo, s15
	v_lshrrev_b32_e32 v0, s27, v18
	v_lshrrev_b32_e32 v1, s24, v19
	; wave barrier
	s_delay_alu instid0(VALU_DEP_1) | instskip(NEXT) | instid1(VALU_DEP_1)
	v_and_b32_e32 v1, s25, v1
	v_dual_cndmask_b32 v1, 0, v1 :: v_dual_and_b32 v0, s28, v0
	s_delay_alu instid0(VALU_DEP_1) | instskip(NEXT) | instid1(VALU_DEP_1)
	v_lshlrev_b32_e32 v0, s26, v0
	v_cndmask_b32_e64 v0, 0, v0, s14
	s_delay_alu instid0(VALU_DEP_1) | instskip(NEXT) | instid1(VALU_DEP_1)
	v_or_b32_e32 v0, v1, v0
	v_and_b32_e32 v2, 1, v0
	v_lshlrev_b32_e32 v3, 30, v0
	v_lshlrev_b32_e32 v4, 29, v0
	;; [unrolled: 1-line block ×4, first 2 shown]
	v_add_co_u32 v2, s14, v2, -1
	s_delay_alu instid0(VALU_DEP_1)
	v_cndmask_b32_e64 v6, 0, 1, s14
	v_not_b32_e32 v47, v3
	v_cmp_gt_i32_e64 s14, 0, v3
	v_not_b32_e32 v3, v4
	v_lshlrev_b32_e32 v45, 26, v0
	v_cmp_ne_u32_e32 vcc_lo, 0, v6
	v_ashrrev_i32_e32 v6, 31, v47
	v_lshlrev_b32_e32 v46, 25, v0
	v_ashrrev_i32_e32 v3, 31, v3
	v_mul_lo_u32 v1, v0, 10
	v_xor_b32_e32 v2, vcc_lo, v2
	v_cmp_gt_i32_e32 vcc_lo, 0, v4
	v_not_b32_e32 v4, v5
	v_xor_b32_e32 v6, s14, v6
	v_cmp_gt_i32_e64 s14, 0, v5
	v_and_b32_e32 v2, exec_lo, v2
	v_not_b32_e32 v5, v7
	v_ashrrev_i32_e32 v4, 31, v4
	v_xor_b32_e32 v3, vcc_lo, v3
	v_cmp_gt_i32_e32 vcc_lo, 0, v7
	v_and_b32_e32 v2, v2, v6
	v_not_b32_e32 v6, v45
	v_ashrrev_i32_e32 v5, 31, v5
	v_xor_b32_e32 v4, s14, v4
	v_lshlrev_b32_e32 v0, 24, v0
	v_and_b32_e32 v2, v2, v3
	v_cmp_gt_i32_e64 s14, 0, v45
	v_not_b32_e32 v3, v46
	v_ashrrev_i32_e32 v6, 31, v6
	v_xor_b32_e32 v5, vcc_lo, v5
	v_and_b32_e32 v2, v2, v4
	v_cmp_gt_i32_e32 vcc_lo, 0, v46
	v_not_b32_e32 v4, v0
	v_ashrrev_i32_e32 v3, 31, v3
	v_xor_b32_e32 v6, s14, v6
	v_and_b32_e32 v2, v2, v5
	v_cmp_gt_i32_e64 s14, 0, v0
	v_ashrrev_i32_e32 v0, 31, v4
	v_xor_b32_e32 v3, vcc_lo, v3
	v_add_lshl_u32 v1, v1, v9, 2
	v_and_b32_e32 v2, v2, v6
	s_delay_alu instid0(VALU_DEP_4) | instskip(SKIP_3) | instid1(VALU_DEP_2)
	v_xor_b32_e32 v0, s14, v0
	ds_load_b32 v45, v1 offset:40
	v_and_b32_e32 v2, v2, v3
	v_add_nc_u32_e32 v47, 40, v1
	; wave barrier
	v_and_b32_e32 v0, v2, v0
	s_delay_alu instid0(VALU_DEP_1) | instskip(SKIP_1) | instid1(VALU_DEP_2)
	v_mbcnt_lo_u32_b32 v46, v0, 0
	v_cmp_ne_u32_e64 s14, 0, v0
	v_cmp_eq_u32_e32 vcc_lo, 0, v46
	s_delay_alu instid0(VALU_DEP_2) | instskip(NEXT) | instid1(SALU_CYCLE_1)
	s_and_b32 s15, vcc_lo, s14
	s_and_saveexec_b32 s14, s15
	s_cbranch_execz .LBB180_12
; %bb.11:                               ;   in Loop: Header=BB180_4 Depth=2
	s_waitcnt lgkmcnt(0)
	v_bcnt_u32_b32 v0, v0, v45
	ds_store_b32 v47, v0
.LBB180_12:                             ;   in Loop: Header=BB180_4 Depth=2
	s_or_b32 exec_lo, exec_lo, s14
	; wave barrier
	s_waitcnt lgkmcnt(0)
	s_barrier
	buffer_gl0_inv
	ds_load_2addr_b64 v[4:7], v24 offset0:5 offset1:6
	ds_load_2addr_b64 v[0:3], v27 offset0:2 offset1:3
	s_waitcnt lgkmcnt(1)
	v_add_nc_u32_e32 v48, v5, v4
	s_delay_alu instid0(VALU_DEP_1) | instskip(SKIP_1) | instid1(VALU_DEP_1)
	v_add3_u32 v48, v48, v6, v7
	s_waitcnt lgkmcnt(0)
	v_add3_u32 v48, v48, v0, v1
	s_delay_alu instid0(VALU_DEP_1) | instskip(NEXT) | instid1(VALU_DEP_1)
	v_add3_u32 v3, v48, v2, v3
	v_mov_b32_dpp v48, v3 row_shr:1 row_mask:0xf bank_mask:0xf
	s_delay_alu instid0(VALU_DEP_1) | instskip(NEXT) | instid1(VALU_DEP_1)
	v_cndmask_b32_e64 v48, v48, 0, s4
	v_add_nc_u32_e32 v3, v48, v3
	s_delay_alu instid0(VALU_DEP_1) | instskip(NEXT) | instid1(VALU_DEP_1)
	v_mov_b32_dpp v48, v3 row_shr:2 row_mask:0xf bank_mask:0xf
	v_cndmask_b32_e64 v48, 0, v48, s5
	s_delay_alu instid0(VALU_DEP_1) | instskip(NEXT) | instid1(VALU_DEP_1)
	v_add_nc_u32_e32 v3, v3, v48
	v_mov_b32_dpp v48, v3 row_shr:4 row_mask:0xf bank_mask:0xf
	s_delay_alu instid0(VALU_DEP_1) | instskip(NEXT) | instid1(VALU_DEP_1)
	v_cndmask_b32_e64 v48, 0, v48, s6
	v_add_nc_u32_e32 v3, v3, v48
	s_delay_alu instid0(VALU_DEP_1) | instskip(NEXT) | instid1(VALU_DEP_1)
	v_mov_b32_dpp v48, v3 row_shr:8 row_mask:0xf bank_mask:0xf
	v_cndmask_b32_e64 v48, 0, v48, s7
	s_delay_alu instid0(VALU_DEP_1) | instskip(SKIP_3) | instid1(VALU_DEP_1)
	v_add_nc_u32_e32 v3, v3, v48
	ds_swizzle_b32 v48, v3 offset:swizzle(BROADCAST,32,15)
	s_waitcnt lgkmcnt(0)
	v_cndmask_b32_e64 v48, v48, 0, s8
	v_add_nc_u32_e32 v3, v3, v48
	s_and_saveexec_b32 s14, s9
	s_cbranch_execz .LBB180_14
; %bb.13:                               ;   in Loop: Header=BB180_4 Depth=2
	ds_store_b32 v29, v3
.LBB180_14:                             ;   in Loop: Header=BB180_4 Depth=2
	s_or_b32 exec_lo, exec_lo, s14
	s_waitcnt lgkmcnt(0)
	s_barrier
	buffer_gl0_inv
	s_and_saveexec_b32 s14, s10
	s_cbranch_execz .LBB180_16
; %bb.15:                               ;   in Loop: Header=BB180_4 Depth=2
	ds_load_b32 v48, v36
	s_waitcnt lgkmcnt(0)
	v_mov_b32_dpp v49, v48 row_shr:1 row_mask:0xf bank_mask:0xf
	s_delay_alu instid0(VALU_DEP_1) | instskip(NEXT) | instid1(VALU_DEP_1)
	v_cndmask_b32_e64 v49, v49, 0, s4
	v_add_nc_u32_e32 v48, v49, v48
	s_delay_alu instid0(VALU_DEP_1) | instskip(NEXT) | instid1(VALU_DEP_1)
	v_mov_b32_dpp v49, v48 row_shr:2 row_mask:0xf bank_mask:0xf
	v_cndmask_b32_e64 v49, 0, v49, s5
	s_delay_alu instid0(VALU_DEP_1) | instskip(NEXT) | instid1(VALU_DEP_1)
	v_add_nc_u32_e32 v48, v48, v49
	v_mov_b32_dpp v49, v48 row_shr:4 row_mask:0xf bank_mask:0xf
	s_delay_alu instid0(VALU_DEP_1) | instskip(NEXT) | instid1(VALU_DEP_1)
	v_cndmask_b32_e64 v49, 0, v49, s6
	v_add_nc_u32_e32 v48, v48, v49
	s_delay_alu instid0(VALU_DEP_1) | instskip(NEXT) | instid1(VALU_DEP_1)
	v_mov_b32_dpp v49, v48 row_shr:8 row_mask:0xf bank_mask:0xf
	v_cndmask_b32_e64 v49, 0, v49, s7
	s_delay_alu instid0(VALU_DEP_1)
	v_add_nc_u32_e32 v48, v48, v49
	ds_store_b32 v36, v48
.LBB180_16:                             ;   in Loop: Header=BB180_4 Depth=2
	s_or_b32 exec_lo, exec_lo, s14
	v_mov_b32_e32 v48, 0
	s_waitcnt lgkmcnt(0)
	s_barrier
	buffer_gl0_inv
	s_and_saveexec_b32 s14, s11
	s_cbranch_execz .LBB180_18
; %bb.17:                               ;   in Loop: Header=BB180_4 Depth=2
	ds_load_b32 v48, v30
.LBB180_18:                             ;   in Loop: Header=BB180_4 Depth=2
	s_or_b32 exec_lo, exec_lo, s14
	s_waitcnt lgkmcnt(0)
	v_add_nc_u32_e32 v3, v48, v3
	s_cmp_gt_u32 s24, 55
	ds_bpermute_b32 v3, v28, v3
	s_waitcnt lgkmcnt(0)
	v_cndmask_b32_e64 v3, v3, v48, s12
	s_delay_alu instid0(VALU_DEP_1) | instskip(NEXT) | instid1(VALU_DEP_1)
	v_cndmask_b32_e64 v3, v3, 0, s13
	v_add_nc_u32_e32 v4, v3, v4
	s_delay_alu instid0(VALU_DEP_1) | instskip(NEXT) | instid1(VALU_DEP_1)
	v_add_nc_u32_e32 v5, v4, v5
	v_add_nc_u32_e32 v6, v5, v6
	s_delay_alu instid0(VALU_DEP_1) | instskip(NEXT) | instid1(VALU_DEP_1)
	v_add_nc_u32_e32 v48, v6, v7
	;; [unrolled: 3-line block ×3, first 2 shown]
	v_add_nc_u32_e32 v1, v0, v2
	ds_store_2addr_b64 v24, v[3:4], v[5:6] offset0:5 offset1:6
	ds_store_2addr_b64 v27, v[48:49], v[0:1] offset0:2 offset1:3
	s_waitcnt lgkmcnt(0)
	s_barrier
	buffer_gl0_inv
	ds_load_b32 v0, v38
	ds_load_b32 v1, v41
	;; [unrolled: 1-line block ×4, first 2 shown]
	s_waitcnt lgkmcnt(0)
	v_add_nc_u32_e32 v0, v0, v37
	v_add3_u32 v1, v40, v39, v1
	v_add3_u32 v2, v43, v42, v2
	;; [unrolled: 1-line block ×3, first 2 shown]
	s_delay_alu instid0(VALU_DEP_4) | instskip(NEXT) | instid1(VALU_DEP_4)
	v_lshrrev_b32_e32 v4, 2, v0
	v_lshrrev_b32_e32 v5, 2, v1
	s_delay_alu instid0(VALU_DEP_4) | instskip(NEXT) | instid1(VALU_DEP_4)
	v_lshrrev_b32_e32 v6, 2, v2
	v_lshrrev_b32_e32 v7, 2, v3
	s_delay_alu instid0(VALU_DEP_4) | instskip(NEXT) | instid1(VALU_DEP_4)
	v_and_b32_e32 v4, 0x3ffffff8, v4
	v_and_b32_e32 v5, 0x3ffffff8, v5
	s_delay_alu instid0(VALU_DEP_4) | instskip(NEXT) | instid1(VALU_DEP_4)
	v_and_b32_e32 v6, 0x3ffffff8, v6
	v_and_b32_e32 v7, 0x3ffffff8, v7
	s_delay_alu instid0(VALU_DEP_4) | instskip(NEXT) | instid1(VALU_DEP_4)
	v_lshl_add_u32 v37, v0, 3, v4
	v_lshl_add_u32 v38, v1, 3, v5
	s_delay_alu instid0(VALU_DEP_4) | instskip(NEXT) | instid1(VALU_DEP_4)
	v_lshl_add_u32 v39, v2, 3, v6
	v_lshl_add_u32 v40, v3, 3, v7
	s_cbranch_scc0 .LBB180_3
; %bb.19:                               ;   in Loop: Header=BB180_2 Depth=1
                                        ; implicit-def: $sgpr24
                                        ; implicit-def: $vgpr6_vgpr7
                                        ; implicit-def: $vgpr0_vgpr1
                                        ; implicit-def: $vgpr2_vgpr3
                                        ; implicit-def: $vgpr4_vgpr5
                                        ; implicit-def: $sgpr22
                                        ; implicit-def: $sgpr17
	s_branch .LBB180_1
.LBB180_20:
	v_lshlrev_b32_e32 v0, 3, v8
	s_add_u32 s0, s18, s20
	s_addc_u32 s1, s19, s21
	s_delay_alu instid0(VALU_DEP_1) | instskip(NEXT) | instid1(VALU_DEP_1)
	v_add_co_u32 v7, s2, s0, v0
	v_add_co_ci_u32_e64 v8, null, s1, 0, s2
	s_delay_alu instid0(VALU_DEP_2) | instskip(NEXT) | instid1(VALU_DEP_2)
	v_add_co_u32 v7, vcc_lo, 0x1000, v7
	v_add_co_ci_u32_e32 v8, vcc_lo, 0, v8, vcc_lo
	s_clause 0x3
	global_store_b64 v0, v[5:6], s[0:1]
	global_store_b64 v0, v[14:15], s[0:1] offset:2560
	global_store_b64 v[7:8], v[3:4], off offset:1024
	global_store_b64 v[7:8], v[1:2], off offset:3584
	s_nop 0
	s_sendmsg sendmsg(MSG_DEALLOC_VGPRS)
	s_endpgm
	.section	.rodata,"a",@progbits
	.p2align	6, 0x0
	.amdhsa_kernel _Z16sort_keys_kernelI22helper_blocked_blockedN15benchmark_utils11custom_typeIiiEELj320ELj4ELj10EEvPKT0_PS4_
		.amdhsa_group_segment_fixed_size 10560
		.amdhsa_private_segment_fixed_size 0
		.amdhsa_kernarg_size 272
		.amdhsa_user_sgpr_count 15
		.amdhsa_user_sgpr_dispatch_ptr 0
		.amdhsa_user_sgpr_queue_ptr 0
		.amdhsa_user_sgpr_kernarg_segment_ptr 1
		.amdhsa_user_sgpr_dispatch_id 0
		.amdhsa_user_sgpr_private_segment_size 0
		.amdhsa_wavefront_size32 1
		.amdhsa_uses_dynamic_stack 0
		.amdhsa_enable_private_segment 0
		.amdhsa_system_sgpr_workgroup_id_x 1
		.amdhsa_system_sgpr_workgroup_id_y 0
		.amdhsa_system_sgpr_workgroup_id_z 0
		.amdhsa_system_sgpr_workgroup_info 0
		.amdhsa_system_vgpr_workitem_id 2
		.amdhsa_next_free_vgpr 50
		.amdhsa_next_free_sgpr 29
		.amdhsa_reserve_vcc 1
		.amdhsa_float_round_mode_32 0
		.amdhsa_float_round_mode_16_64 0
		.amdhsa_float_denorm_mode_32 3
		.amdhsa_float_denorm_mode_16_64 3
		.amdhsa_dx10_clamp 1
		.amdhsa_ieee_mode 1
		.amdhsa_fp16_overflow 0
		.amdhsa_workgroup_processor_mode 1
		.amdhsa_memory_ordered 1
		.amdhsa_forward_progress 0
		.amdhsa_shared_vgpr_count 0
		.amdhsa_exception_fp_ieee_invalid_op 0
		.amdhsa_exception_fp_denorm_src 0
		.amdhsa_exception_fp_ieee_div_zero 0
		.amdhsa_exception_fp_ieee_overflow 0
		.amdhsa_exception_fp_ieee_underflow 0
		.amdhsa_exception_fp_ieee_inexact 0
		.amdhsa_exception_int_div_zero 0
	.end_amdhsa_kernel
	.section	.text._Z16sort_keys_kernelI22helper_blocked_blockedN15benchmark_utils11custom_typeIiiEELj320ELj4ELj10EEvPKT0_PS4_,"axG",@progbits,_Z16sort_keys_kernelI22helper_blocked_blockedN15benchmark_utils11custom_typeIiiEELj320ELj4ELj10EEvPKT0_PS4_,comdat
.Lfunc_end180:
	.size	_Z16sort_keys_kernelI22helper_blocked_blockedN15benchmark_utils11custom_typeIiiEELj320ELj4ELj10EEvPKT0_PS4_, .Lfunc_end180-_Z16sort_keys_kernelI22helper_blocked_blockedN15benchmark_utils11custom_typeIiiEELj320ELj4ELj10EEvPKT0_PS4_
                                        ; -- End function
	.section	.AMDGPU.csdata,"",@progbits
; Kernel info:
; codeLenInByte = 4016
; NumSgprs: 31
; NumVgprs: 50
; ScratchSize: 0
; MemoryBound: 0
; FloatMode: 240
; IeeeMode: 1
; LDSByteSize: 10560 bytes/workgroup (compile time only)
; SGPRBlocks: 3
; VGPRBlocks: 6
; NumSGPRsForWavesPerEU: 31
; NumVGPRsForWavesPerEU: 50
; Occupancy: 15
; WaveLimiterHint : 1
; COMPUTE_PGM_RSRC2:SCRATCH_EN: 0
; COMPUTE_PGM_RSRC2:USER_SGPR: 15
; COMPUTE_PGM_RSRC2:TRAP_HANDLER: 0
; COMPUTE_PGM_RSRC2:TGID_X_EN: 1
; COMPUTE_PGM_RSRC2:TGID_Y_EN: 0
; COMPUTE_PGM_RSRC2:TGID_Z_EN: 0
; COMPUTE_PGM_RSRC2:TIDIG_COMP_CNT: 2
	.section	.text._Z17sort_pairs_kernelI22helper_blocked_blockedN15benchmark_utils11custom_typeIiiEELj320ELj4ELj10EEvPKT0_PS4_,"axG",@progbits,_Z17sort_pairs_kernelI22helper_blocked_blockedN15benchmark_utils11custom_typeIiiEELj320ELj4ELj10EEvPKT0_PS4_,comdat
	.protected	_Z17sort_pairs_kernelI22helper_blocked_blockedN15benchmark_utils11custom_typeIiiEELj320ELj4ELj10EEvPKT0_PS4_ ; -- Begin function _Z17sort_pairs_kernelI22helper_blocked_blockedN15benchmark_utils11custom_typeIiiEELj320ELj4ELj10EEvPKT0_PS4_
	.globl	_Z17sort_pairs_kernelI22helper_blocked_blockedN15benchmark_utils11custom_typeIiiEELj320ELj4ELj10EEvPKT0_PS4_
	.p2align	8
	.type	_Z17sort_pairs_kernelI22helper_blocked_blockedN15benchmark_utils11custom_typeIiiEELj320ELj4ELj10EEvPKT0_PS4_,@function
_Z17sort_pairs_kernelI22helper_blocked_blockedN15benchmark_utils11custom_typeIiiEELj320ELj4ELj10EEvPKT0_PS4_: ; @_Z17sort_pairs_kernelI22helper_blocked_blockedN15benchmark_utils11custom_typeIiiEELj320ELj4ELj10EEvPKT0_PS4_
; %bb.0:
	s_clause 0x1
	s_load_b128 s[16:19], s[0:1], 0x0
	s_load_b32 s13, s[0:1], 0x1c
	v_and_b32_e32 v8, 0x3ff, v0
	s_mov_b32 s23, 0
	s_mul_i32 s22, s15, 0x500
	s_mov_b32 s24, s23
	s_lshl_b64 s[20:21], s[22:23], 3
	v_lshlrev_b32_e32 v3, 3, v8
	v_lshlrev_b32_e32 v40, 5, v8
	v_and_b32_e32 v7, 0x1f8, v8
	v_mul_i32_i24_e32 v18, 0xffffffe4, v8
	v_cmp_gt_u32_e64 s10, 10, v8
	v_cmp_lt_u32_e64 s11, 31, v8
	v_cmp_eq_u32_e64 s12, 0, v8
	v_add_nc_u32_e32 v44, v40, v7
	v_add_nc_u32_e32 v41, 40, v40
	;; [unrolled: 1-line block ×3, first 2 shown]
	s_mov_b32 s22, s23
	s_mov_b32 s25, s23
	s_waitcnt lgkmcnt(0)
	s_add_u32 s0, s16, s20
	s_addc_u32 s1, s17, s21
	v_add_co_u32 v1, s2, s0, v3
	s_delay_alu instid0(VALU_DEP_1) | instskip(SKIP_1) | instid1(VALU_DEP_2)
	v_add_co_ci_u32_e64 v2, null, s1, 0, s2
	s_lshr_b32 s14, s13, 16
	v_add_co_u32 v1, vcc_lo, 0x1000, v1
	s_delay_alu instid0(VALU_DEP_2)
	v_add_co_ci_u32_e32 v2, vcc_lo, 0, v2, vcc_lo
	s_and_b32 s13, s13, 0xffff
	s_clause 0x3
	global_load_b64 v[14:15], v3, s[0:1]
	global_load_b64 v[16:17], v3, s[0:1] offset:2560
	global_load_b64 v[12:13], v[1:2], off offset:1024
	global_load_b64 v[10:11], v[1:2], off offset:3584
	v_mbcnt_lo_u32_b32 v1, -1, 0
	v_bfe_u32 v3, v0, 10, 10
	v_bfe_u32 v0, v0, 20, 10
	s_mov_b32 s17, s23
	s_delay_alu instid0(VALU_DEP_3)
	v_add_nc_u32_e32 v6, -1, v1
	v_and_b32_e32 v4, 15, v1
	v_and_b32_e32 v5, 16, v1
	;; [unrolled: 1-line block ×4, first 2 shown]
	v_cmp_gt_i32_e32 vcc_lo, 0, v6
	v_cmp_eq_u32_e64 s5, 0, v4
	v_cmp_lt_u32_e64 s6, 1, v4
	v_cmp_lt_u32_e64 s7, 3, v4
	;; [unrolled: 1-line block ×3, first 2 shown]
	v_cndmask_b32_e32 v4, v6, v1, vcc_lo
	v_cmp_eq_u32_e64 s9, 0, v5
	v_lshrrev_b32_e32 v5, 3, v8
	v_lshlrev_b32_e32 v6, 2, v8
	v_cmp_eq_u32_e64 s0, 0, v1
	v_lshlrev_b32_e32 v43, 2, v4
	v_cmp_eq_u32_e64 s1, 0, v2
	v_and_b32_e32 v42, 60, v5
	v_and_b32_e32 v5, 0x780, v6
	v_cmp_eq_u32_e64 s2, 1, v2
	v_cmp_eq_u32_e64 s3, 2, v2
	;; [unrolled: 1-line block ×3, first 2 shown]
	v_and_b32_e32 v2, 0x1e0, v8
	v_or_b32_e32 v4, v1, v5
	v_or_b32_e32 v1, 32, v5
	v_mad_u32_u24 v3, v0, s14, v3
	v_lshrrev_b32_e32 v6, 5, v5
	v_min_u32_e32 v2, 0x120, v2
	v_or_b32_e32 v7, 64, v5
	v_lshrrev_b32_e32 v9, 5, v1
	v_or_b32_e32 v5, 0x60, v5
	v_or_b32_e32 v37, 32, v36
	;; [unrolled: 1-line block ×4, first 2 shown]
	v_mad_u64_u32 v[0:1], null, v3, s13, v[8:9]
	v_lshrrev_b32_e32 v1, 5, v7
	v_lshrrev_b32_e32 v3, 5, v5
	v_or_b32_e32 v39, 0x60, v36
	v_add_nc_u32_e32 v45, -4, v42
	v_cmp_eq_u32_e64 s13, v2, v8
	v_add_lshl_u32 v46, v6, v4, 3
	v_add_lshl_u32 v47, v9, v4, 3
	;; [unrolled: 1-line block ×4, first 2 shown]
	v_lshrrev_b32_e32 v9, 5, v0
	s_waitcnt vmcnt(3)
	v_add_nc_u32_e32 v5, 1, v15
	v_add_nc_u32_e32 v4, 1, v14
	s_waitcnt vmcnt(2)
	v_add_nc_u32_e32 v7, 1, v17
	v_add_nc_u32_e32 v6, 1, v16
	;; [unrolled: 3-line block ×4, first 2 shown]
	s_branch .LBB181_2
.LBB181_1:                              ;   in Loop: Header=BB181_2 Depth=1
	s_barrier
	buffer_gl0_inv
	ds_store_b64 v6, v[10:11]
	ds_store_b64 v7, v[24:25]
	;; [unrolled: 1-line block ×4, first 2 shown]
	s_waitcnt lgkmcnt(0)
	s_barrier
	buffer_gl0_inv
	ds_load_2addr_b64 v[20:23], v44 offset1:1
	ds_load_2addr_b64 v[24:27], v44 offset0:2 offset1:3
	s_waitcnt lgkmcnt(0)
	s_barrier
	buffer_gl0_inv
	ds_store_b64 v6, v[16:17]
	ds_store_b64 v7, v[14:15]
	;; [unrolled: 1-line block ×4, first 2 shown]
	s_waitcnt lgkmcnt(0)
	s_barrier
	buffer_gl0_inv
	ds_load_2addr_b64 v[4:7], v44 offset1:1
	ds_load_2addr_b64 v[0:3], v44 offset0:2 offset1:3
	s_add_i32 s17, s17, 1
	s_delay_alu instid0(SALU_CYCLE_1)
	s_cmp_lg_u32 s17, 10
	v_xor_b32_e32 v14, 0x80000000, v20
	v_xor_b32_e32 v15, 0x80000000, v21
	;; [unrolled: 1-line block ×8, first 2 shown]
	s_cbranch_scc0 .LBB181_20
.LBB181_2:                              ; =>This Loop Header: Depth=1
                                        ;     Child Loop BB181_4 Depth 2
	v_xor_b32_e32 v15, 0x80000000, v15
	v_xor_b32_e32 v14, 0x80000000, v14
	;; [unrolled: 1-line block ×5, first 2 shown]
	ds_bpermute_b32 v18, v36, v15
	ds_bpermute_b32 v19, v36, v14
	;; [unrolled: 1-line block ×3, first 2 shown]
	v_xor_b32_e32 v13, 0x80000000, v13
	ds_bpermute_b32 v21, v36, v16
	ds_bpermute_b32 v23, v37, v15
	v_xor_b32_e32 v11, 0x80000000, v11
	ds_bpermute_b32 v22, v36, v12
	ds_bpermute_b32 v24, v36, v13
	;; [unrolled: 1-line block ×5, first 2 shown]
	v_xor_b32_e32 v10, 0x80000000, v10
	ds_bpermute_b32 v27, v36, v11
	ds_bpermute_b32 v29, v37, v16
	;; [unrolled: 1-line block ×7, first 2 shown]
	s_waitcnt lgkmcnt(16)
	v_cndmask_b32_e64 v18, 0, v18, s1
	ds_bpermute_b32 v34, v38, v17
	s_waitcnt lgkmcnt(16)
	v_cndmask_b32_e64 v19, 0, v19, s1
	ds_bpermute_b32 v30, v37, v12
	ds_bpermute_b32 v51, v37, v10
	s_waitcnt lgkmcnt(17)
	v_cndmask_b32_e64 v18, v18, v20, s2
	ds_bpermute_b32 v20, v38, v12
	s_waitcnt lgkmcnt(16)
	v_cndmask_b32_e64 v23, 0, v23, s1
	v_cndmask_b32_e64 v19, v19, v21, s2
	ds_bpermute_b32 v54, v38, v13
	s_waitcnt lgkmcnt(15)
	v_cndmask_b32_e64 v18, v18, v24, s3
	s_waitcnt lgkmcnt(14)
	v_cndmask_b32_e64 v21, 0, v26, s1
	;; [unrolled: 2-line block ×3, first 2 shown]
	v_cndmask_b32_e64 v19, v19, v22, s3
	s_waitcnt lgkmcnt(12)
	v_cndmask_b32_e64 v22, 0, v33, s1
	ds_bpermute_b32 v15, v39, v15
	s_waitcnt lgkmcnt(12)
	v_cndmask_b32_e64 v35, v18, v27, s4
	s_waitcnt lgkmcnt(11)
	v_cndmask_b32_e64 v18, v21, v29, s2
	;; [unrolled: 2-line block ×3, first 2 shown]
	v_cndmask_b32_e64 v23, v23, v31, s3
	s_waitcnt lgkmcnt(8)
	v_cndmask_b32_e64 v22, v22, v53, s2
	ds_bpermute_b32 v14, v39, v14
	ds_bpermute_b32 v17, v39, v17
	s_waitcnt lgkmcnt(7)
	v_cndmask_b32_e64 v21, v21, v34, s2
	v_cndmask_b32_e64 v34, v19, v25, s4
	;; [unrolled: 1-line block ×3, first 2 shown]
	s_waitcnt lgkmcnt(4)
	v_cndmask_b32_e64 v19, v22, v20, s3
	ds_bpermute_b32 v22, v36, v5
	ds_bpermute_b32 v23, v36, v4
	v_cndmask_b32_e64 v18, v18, v30, s3
	ds_bpermute_b32 v16, v39, v16
	ds_bpermute_b32 v13, v39, v13
	;; [unrolled: 1-line block ×4, first 2 shown]
	v_cndmask_b32_e64 v26, v18, v51, s4
	s_waitcnt lgkmcnt(9)
	v_cndmask_b32_e64 v18, v21, v54, s3
	ds_bpermute_b32 v21, v38, v11
	ds_bpermute_b32 v12, v39, v12
	;; [unrolled: 1-line block ×6, first 2 shown]
	s_waitcnt lgkmcnt(14)
	v_cndmask_b32_e64 v15, 0, v15, s1
	ds_bpermute_b32 v30, v36, v1
	ds_bpermute_b32 v10, v39, v10
	;; [unrolled: 1-line block ×4, first 2 shown]
	s_waitcnt lgkmcnt(17)
	v_cndmask_b32_e64 v14, 0, v14, s1
	ds_bpermute_b32 v51, v37, v4
	s_waitcnt lgkmcnt(17)
	v_cndmask_b32_e64 v15, v15, v17, s2
	s_waitcnt lgkmcnt(16)
	v_cndmask_b32_e64 v17, 0, v22, s1
	;; [unrolled: 2-line block ×3, first 2 shown]
	ds_bpermute_b32 v52, v36, v3
	ds_bpermute_b32 v55, v37, v6
	s_waitcnt lgkmcnt(16)
	v_cndmask_b32_e64 v14, v14, v16, s2
	s_waitcnt lgkmcnt(15)
	v_cndmask_b32_e64 v13, v15, v13, s3
	;; [unrolled: 2-line block ×4, first 2 shown]
	ds_bpermute_b32 v17, v38, v6
	s_waitcnt lgkmcnt(12)
	v_cndmask_b32_e64 v12, v14, v12, s3
	s_waitcnt lgkmcnt(11)
	v_cndmask_b32_e64 v31, v13, v11, s4
	;; [unrolled: 2-line block ×6, first 2 shown]
	ds_bpermute_b32 v16, v38, v7
	s_waitcnt lgkmcnt(6)
	v_cndmask_b32_e64 v32, v13, v53, s4
	s_waitcnt lgkmcnt(5)
	v_cndmask_b32_e64 v10, v14, v54, s2
	ds_bpermute_b32 v13, v38, v5
	ds_bpermute_b32 v14, v38, v4
	;; [unrolled: 1-line block ×4, first 2 shown]
	s_waitcnt lgkmcnt(8)
	v_cndmask_b32_e64 v15, 0, v51, s1
	ds_bpermute_b32 v7, v39, v7
	ds_bpermute_b32 v6, v39, v6
	v_cndmask_b32_e64 v29, v18, v21, s4
	v_cndmask_b32_e64 v28, v19, v20, s4
	s_waitcnt lgkmcnt(9)
	v_cndmask_b32_e64 v33, v11, v52, s4
	s_waitcnt lgkmcnt(8)
	v_cndmask_b32_e64 v11, v15, v55, s2
	ds_bpermute_b32 v12, v37, v1
	ds_bpermute_b32 v15, v37, v0
	;; [unrolled: 1-line block ×12, first 2 shown]
	s_waitcnt lgkmcnt(17)
	v_cndmask_b32_e64 v2, 0, v13, s1
	s_waitcnt lgkmcnt(16)
	v_cndmask_b32_e64 v3, 0, v14, s1
	;; [unrolled: 2-line block ×4, first 2 shown]
	s_mov_b32 s26, 8
	v_cndmask_b32_e64 v2, v2, v16, s2
	v_cndmask_b32_e64 v3, v3, v17, s2
	s_waitcnt lgkmcnt(13)
	v_cndmask_b32_e64 v5, v5, v7, s2
	s_waitcnt lgkmcnt(12)
	v_cndmask_b32_e64 v4, v4, v6, s2
	s_waitcnt lgkmcnt(11)
	v_cndmask_b32_e64 v1, v10, v12, s3
	s_waitcnt lgkmcnt(10)
	v_cndmask_b32_e64 v10, v11, v15, s3
	s_waitcnt lgkmcnt(9)
	v_cndmask_b32_e64 v2, v2, v19, s3
	s_waitcnt lgkmcnt(8)
	v_cndmask_b32_e64 v6, v3, v20, s3
	s_waitcnt lgkmcnt(7)
	v_cndmask_b32_e64 v5, v5, v21, s3
	s_waitcnt lgkmcnt(6)
	v_cndmask_b32_e64 v4, v4, v0, s3
	s_waitcnt lgkmcnt(5)
	v_cndmask_b32_e64 v1, v1, v18, s4
	s_waitcnt lgkmcnt(4)
	v_cndmask_b32_e64 v0, v10, v22, s4
	s_waitcnt lgkmcnt(3)
	v_cndmask_b32_e64 v3, v2, v23, s4
	s_waitcnt lgkmcnt(2)
	v_cndmask_b32_e64 v2, v6, v24, s4
	s_waitcnt lgkmcnt(1)
	v_cndmask_b32_e64 v5, v5, v25, s4
	s_waitcnt lgkmcnt(0)
	v_cndmask_b32_e64 v4, v4, v51, s4
	s_mov_b32 s27, 32
	s_mov_b32 s28, 0
	s_barrier
	s_branch .LBB181_4
.LBB181_3:                              ;   in Loop: Header=BB181_4 Depth=2
	s_barrier
	buffer_gl0_inv
	ds_store_b64 v6, v[10:11]
	ds_store_b64 v7, v[24:25]
	;; [unrolled: 1-line block ×4, first 2 shown]
	s_waitcnt lgkmcnt(0)
	s_barrier
	buffer_gl0_inv
	ds_load_b64 v[34:35], v46
	ds_load_b64 v[26:27], v47 offset:256
	ds_load_b64 v[28:29], v48 offset:512
	;; [unrolled: 1-line block ×3, first 2 shown]
	s_waitcnt lgkmcnt(0)
	s_barrier
	buffer_gl0_inv
	ds_store_b64 v6, v[16:17]
	ds_store_b64 v7, v[14:15]
	ds_store_b64 v51, v[12:13]
	ds_store_b64 v52, v[18:19]
	s_waitcnt lgkmcnt(0)
	s_barrier
	buffer_gl0_inv
	ds_load_b64 v[32:33], v46
	ds_load_b64 v[0:1], v47 offset:256
	ds_load_b64 v[2:3], v48 offset:512
	;; [unrolled: 1-line block ×3, first 2 shown]
	s_add_i32 s27, s27, -8
	s_add_i32 s26, s26, 8
	s_add_i32 s28, s28, 8
	s_waitcnt lgkmcnt(0)
	s_barrier
	s_cbranch_execz .LBB181_1
.LBB181_4:                              ;   Parent Loop BB181_2 Depth=1
                                        ; =>  This Inner Loop Header: Depth=2
	s_min_i32 s15, s26, 32
	s_cmp_lt_u32 s28, 32
	v_dual_mov_b32 v10, v34 :: v_dual_mov_b32 v11, v35
	s_cselect_b32 vcc_lo, -1, 0
	s_cmp_gt_u32 s28, 24
	v_mov_b32_e32 v24, v26
	s_cselect_b32 s14, -1, 0
	s_sub_i32 s15, s15, 32
	v_lshrrev_b32_e32 v7, s28, v11
	s_add_i32 s16, s15, s27
	v_mov_b32_e32 v20, v30
	s_lshl_b32 s16, -1, s16
	v_mov_b32_e32 v22, v28
	s_not_b32 s16, s16
	s_cmp_lg_u32 s15, s28
	buffer_gl0_inv
	s_cselect_b32 s29, s16, -1
	s_max_i32 s30, s27, 0
	s_max_i32 s15, s28, 32
	v_and_b32_e32 v7, s29, v7
	s_sub_i32 s16, s15, s30
	s_sub_i32 s31, s15, 32
	;; [unrolled: 1-line block ×3, first 2 shown]
	v_lshrrev_b32_e32 v6, s31, v10
	s_min_i32 s15, s16, 32
	v_cndmask_b32_e32 v7, 0, v7, vcc_lo
	s_sub_i32 s15, s15, s31
	v_mov_b32_e32 v25, v27
	s_lshl_b32 s16, -1, s15
	v_mov_b32_e32 v23, v29
	s_not_b32 s16, s16
	s_cmp_lg_u32 s15, 32
	v_mov_b32_e32 v21, v31
	s_cselect_b32 s33, s16, -1
	s_delay_alu instid0(SALU_CYCLE_1) | instskip(NEXT) | instid1(VALU_DEP_1)
	v_and_b32_e32 v6, s33, v6
	v_lshlrev_b32_e32 v6, s30, v6
	s_delay_alu instid0(VALU_DEP_1) | instskip(NEXT) | instid1(VALU_DEP_1)
	v_cndmask_b32_e64 v6, 0, v6, s14
	v_or_b32_e32 v7, v7, v6
	s_delay_alu instid0(VALU_DEP_1)
	v_and_b32_e32 v6, 1, v7
	v_lshlrev_b32_e32 v12, 30, v7
	v_lshlrev_b32_e32 v13, 29, v7
	;; [unrolled: 1-line block ×4, first 2 shown]
	v_add_co_u32 v6, s15, v6, -1
	s_delay_alu instid0(VALU_DEP_1)
	v_cndmask_b32_e64 v15, 0, 1, s15
	v_not_b32_e32 v19, v12
	v_cmp_gt_i32_e64 s16, 0, v12
	v_not_b32_e32 v12, v13
	v_lshlrev_b32_e32 v18, 25, v7
	v_cmp_ne_u32_e64 s15, 0, v15
	v_ashrrev_i32_e32 v19, 31, v19
	v_lshlrev_b32_e32 v15, 24, v7
	v_ashrrev_i32_e32 v12, 31, v12
	v_lshlrev_b32_e32 v17, 26, v7
	v_xor_b32_e32 v6, s15, v6
	v_cmp_gt_i32_e64 s15, 0, v13
	v_not_b32_e32 v13, v14
	v_xor_b32_e32 v19, s16, v19
	v_cmp_gt_i32_e64 s16, 0, v14
	v_and_b32_e32 v6, exec_lo, v6
	v_not_b32_e32 v14, v16
	v_ashrrev_i32_e32 v13, 31, v13
	v_xor_b32_e32 v12, s15, v12
	v_cmp_gt_i32_e64 s15, 0, v16
	v_and_b32_e32 v6, v6, v19
	v_ashrrev_i32_e32 v14, 31, v14
	v_xor_b32_e32 v13, s16, v13
	s_delay_alu instid0(VALU_DEP_3) | instskip(SKIP_1) | instid1(VALU_DEP_4)
	v_and_b32_e32 v6, v6, v12
	v_not_b32_e32 v12, v18
	v_xor_b32_e32 v14, s15, v14
	v_cmp_gt_i32_e64 s15, 0, v18
	s_delay_alu instid0(VALU_DEP_4) | instskip(SKIP_2) | instid1(VALU_DEP_3)
	v_and_b32_e32 v6, v6, v13
	v_not_b32_e32 v13, v15
	v_ashrrev_i32_e32 v12, 31, v12
	v_and_b32_e32 v6, v6, v14
	s_delay_alu instid0(VALU_DEP_3) | instskip(NEXT) | instid1(VALU_DEP_3)
	v_ashrrev_i32_e32 v18, 31, v13
	v_xor_b32_e32 v19, s15, v12
	v_dual_mov_b32 v13, v3 :: v_dual_mov_b32 v12, v2
	v_not_b32_e32 v16, v17
	v_cmp_gt_i32_e64 s16, 0, v17
	s_delay_alu instid0(VALU_DEP_2) | instskip(NEXT) | instid1(VALU_DEP_1)
	v_ashrrev_i32_e32 v16, 31, v16
	v_xor_b32_e32 v16, s16, v16
	v_cmp_gt_i32_e64 s16, 0, v15
	v_dual_mov_b32 v15, v1 :: v_dual_mov_b32 v14, v0
	s_delay_alu instid0(VALU_DEP_3) | instskip(NEXT) | instid1(VALU_DEP_3)
	v_and_b32_e32 v6, v6, v16
	v_xor_b32_e32 v0, s16, v18
	v_dual_mov_b32 v16, v32 :: v_dual_mov_b32 v17, v33
	s_delay_alu instid0(VALU_DEP_3) | instskip(SKIP_2) | instid1(VALU_DEP_3)
	v_and_b32_e32 v1, v6, v19
	v_dual_mov_b32 v19, v5 :: v_dual_mov_b32 v18, v4
	v_mad_u64_u32 v[5:6], null, v7, 10, v[9:10]
	v_dual_mov_b32 v1, s22 :: v_dual_and_b32 v0, v1, v0
	v_dual_mov_b32 v2, s23 :: v_dual_mov_b32 v3, s24
	v_mov_b32_e32 v4, s25
	s_delay_alu instid0(VALU_DEP_3)
	v_mbcnt_lo_u32_b32 v26, v0, 0
	v_cmp_ne_u32_e64 s16, 0, v0
	v_lshl_add_u32 v27, v5, 2, 40
	ds_store_2addr_b64 v40, v[1:2], v[3:4] offset0:5 offset1:6
	ds_store_2addr_b64 v41, v[1:2], v[3:4] offset0:2 offset1:3
	v_cmp_eq_u32_e64 s15, 0, v26
	s_waitcnt lgkmcnt(0)
	s_barrier
	buffer_gl0_inv
	s_and_b32 s16, s15, s16
	; wave barrier
	s_delay_alu instid0(SALU_CYCLE_1)
	s_and_saveexec_b32 s15, s16
	s_cbranch_execz .LBB181_6
; %bb.5:                                ;   in Loop: Header=BB181_4 Depth=2
	v_bcnt_u32_b32 v0, v0, 0
	ds_store_b32 v27, v0
.LBB181_6:                              ;   in Loop: Header=BB181_4 Depth=2
	s_or_b32 exec_lo, exec_lo, s15
	v_lshrrev_b32_e32 v0, s31, v24
	v_lshrrev_b32_e32 v1, s28, v25
	; wave barrier
	s_delay_alu instid0(VALU_DEP_1) | instskip(NEXT) | instid1(VALU_DEP_1)
	v_and_b32_e32 v1, s29, v1
	v_dual_cndmask_b32 v1, 0, v1 :: v_dual_and_b32 v0, s33, v0
	s_delay_alu instid0(VALU_DEP_1) | instskip(NEXT) | instid1(VALU_DEP_1)
	v_lshlrev_b32_e32 v0, s30, v0
	v_cndmask_b32_e64 v0, 0, v0, s14
	s_delay_alu instid0(VALU_DEP_1) | instskip(NEXT) | instid1(VALU_DEP_1)
	v_or_b32_e32 v0, v1, v0
	v_and_b32_e32 v2, 1, v0
	v_lshlrev_b32_e32 v3, 30, v0
	v_lshlrev_b32_e32 v4, 29, v0
	;; [unrolled: 1-line block ×4, first 2 shown]
	v_add_co_u32 v2, s15, v2, -1
	s_delay_alu instid0(VALU_DEP_1)
	v_cndmask_b32_e64 v6, 0, 1, s15
	v_not_b32_e32 v30, v3
	v_cmp_gt_i32_e64 s16, 0, v3
	v_not_b32_e32 v3, v4
	v_lshlrev_b32_e32 v28, 26, v0
	v_cmp_ne_u32_e64 s15, 0, v6
	v_ashrrev_i32_e32 v6, 31, v30
	v_lshlrev_b32_e32 v29, 25, v0
	v_ashrrev_i32_e32 v3, 31, v3
	v_mul_lo_u32 v1, v0, 10
	v_xor_b32_e32 v2, s15, v2
	v_cmp_gt_i32_e64 s15, 0, v4
	v_not_b32_e32 v4, v5
	v_xor_b32_e32 v6, s16, v6
	v_cmp_gt_i32_e64 s16, 0, v5
	v_and_b32_e32 v2, exec_lo, v2
	v_not_b32_e32 v5, v7
	v_ashrrev_i32_e32 v4, 31, v4
	v_xor_b32_e32 v3, s15, v3
	v_cmp_gt_i32_e64 s15, 0, v7
	v_and_b32_e32 v2, v2, v6
	v_not_b32_e32 v6, v28
	v_ashrrev_i32_e32 v5, 31, v5
	v_xor_b32_e32 v4, s16, v4
	v_lshlrev_b32_e32 v0, 24, v0
	v_and_b32_e32 v2, v2, v3
	v_cmp_gt_i32_e64 s16, 0, v28
	v_not_b32_e32 v3, v29
	v_ashrrev_i32_e32 v6, 31, v6
	v_xor_b32_e32 v5, s15, v5
	v_and_b32_e32 v2, v2, v4
	v_cmp_gt_i32_e64 s15, 0, v29
	v_not_b32_e32 v4, v0
	v_ashrrev_i32_e32 v3, 31, v3
	v_xor_b32_e32 v6, s16, v6
	v_and_b32_e32 v2, v2, v5
	v_cmp_gt_i32_e64 s16, 0, v0
	v_ashrrev_i32_e32 v0, 31, v4
	v_xor_b32_e32 v3, s15, v3
	v_add_lshl_u32 v1, v1, v9, 2
	v_and_b32_e32 v2, v2, v6
	s_delay_alu instid0(VALU_DEP_4) | instskip(SKIP_3) | instid1(VALU_DEP_2)
	v_xor_b32_e32 v0, s16, v0
	ds_load_b32 v28, v1 offset:40
	v_and_b32_e32 v2, v2, v3
	v_add_nc_u32_e32 v30, 40, v1
	; wave barrier
	v_and_b32_e32 v0, v2, v0
	s_delay_alu instid0(VALU_DEP_1) | instskip(SKIP_1) | instid1(VALU_DEP_2)
	v_mbcnt_lo_u32_b32 v29, v0, 0
	v_cmp_ne_u32_e64 s16, 0, v0
	v_cmp_eq_u32_e64 s15, 0, v29
	s_delay_alu instid0(VALU_DEP_1) | instskip(NEXT) | instid1(SALU_CYCLE_1)
	s_and_b32 s16, s15, s16
	s_and_saveexec_b32 s15, s16
	s_cbranch_execz .LBB181_8
; %bb.7:                                ;   in Loop: Header=BB181_4 Depth=2
	s_waitcnt lgkmcnt(0)
	v_bcnt_u32_b32 v0, v0, v28
	ds_store_b32 v30, v0
.LBB181_8:                              ;   in Loop: Header=BB181_4 Depth=2
	s_or_b32 exec_lo, exec_lo, s15
	v_lshrrev_b32_e32 v0, s31, v22
	v_lshrrev_b32_e32 v1, s28, v23
	; wave barrier
	s_delay_alu instid0(VALU_DEP_1) | instskip(NEXT) | instid1(VALU_DEP_1)
	v_and_b32_e32 v1, s29, v1
	v_dual_cndmask_b32 v1, 0, v1 :: v_dual_and_b32 v0, s33, v0
	s_delay_alu instid0(VALU_DEP_1) | instskip(NEXT) | instid1(VALU_DEP_1)
	v_lshlrev_b32_e32 v0, s30, v0
	v_cndmask_b32_e64 v0, 0, v0, s14
	s_delay_alu instid0(VALU_DEP_1) | instskip(NEXT) | instid1(VALU_DEP_1)
	v_or_b32_e32 v0, v1, v0
	v_and_b32_e32 v2, 1, v0
	v_lshlrev_b32_e32 v3, 30, v0
	v_lshlrev_b32_e32 v4, 29, v0
	;; [unrolled: 1-line block ×4, first 2 shown]
	v_add_co_u32 v2, s15, v2, -1
	s_delay_alu instid0(VALU_DEP_1)
	v_cndmask_b32_e64 v6, 0, 1, s15
	v_not_b32_e32 v33, v3
	v_cmp_gt_i32_e64 s16, 0, v3
	v_not_b32_e32 v3, v4
	v_lshlrev_b32_e32 v31, 26, v0
	v_cmp_ne_u32_e64 s15, 0, v6
	v_ashrrev_i32_e32 v6, 31, v33
	v_lshlrev_b32_e32 v32, 25, v0
	v_ashrrev_i32_e32 v3, 31, v3
	v_mul_lo_u32 v1, v0, 10
	v_xor_b32_e32 v2, s15, v2
	v_cmp_gt_i32_e64 s15, 0, v4
	v_not_b32_e32 v4, v5
	v_xor_b32_e32 v6, s16, v6
	v_cmp_gt_i32_e64 s16, 0, v5
	v_and_b32_e32 v2, exec_lo, v2
	v_not_b32_e32 v5, v7
	v_ashrrev_i32_e32 v4, 31, v4
	v_xor_b32_e32 v3, s15, v3
	v_cmp_gt_i32_e64 s15, 0, v7
	v_and_b32_e32 v2, v2, v6
	v_not_b32_e32 v6, v31
	v_ashrrev_i32_e32 v5, 31, v5
	v_xor_b32_e32 v4, s16, v4
	v_lshlrev_b32_e32 v0, 24, v0
	v_and_b32_e32 v2, v2, v3
	v_cmp_gt_i32_e64 s16, 0, v31
	v_not_b32_e32 v3, v32
	v_ashrrev_i32_e32 v6, 31, v6
	v_xor_b32_e32 v5, s15, v5
	v_and_b32_e32 v2, v2, v4
	v_cmp_gt_i32_e64 s15, 0, v32
	v_not_b32_e32 v4, v0
	v_ashrrev_i32_e32 v3, 31, v3
	v_xor_b32_e32 v6, s16, v6
	v_and_b32_e32 v2, v2, v5
	v_cmp_gt_i32_e64 s16, 0, v0
	v_ashrrev_i32_e32 v0, 31, v4
	v_xor_b32_e32 v3, s15, v3
	v_add_lshl_u32 v1, v1, v9, 2
	v_and_b32_e32 v2, v2, v6
	s_delay_alu instid0(VALU_DEP_4) | instskip(SKIP_3) | instid1(VALU_DEP_2)
	v_xor_b32_e32 v0, s16, v0
	ds_load_b32 v31, v1 offset:40
	v_and_b32_e32 v2, v2, v3
	v_add_nc_u32_e32 v33, 40, v1
	; wave barrier
	v_and_b32_e32 v0, v2, v0
	s_delay_alu instid0(VALU_DEP_1) | instskip(SKIP_1) | instid1(VALU_DEP_2)
	v_mbcnt_lo_u32_b32 v32, v0, 0
	v_cmp_ne_u32_e64 s16, 0, v0
	v_cmp_eq_u32_e64 s15, 0, v32
	s_delay_alu instid0(VALU_DEP_1) | instskip(NEXT) | instid1(SALU_CYCLE_1)
	s_and_b32 s16, s15, s16
	s_and_saveexec_b32 s15, s16
	s_cbranch_execz .LBB181_10
; %bb.9:                                ;   in Loop: Header=BB181_4 Depth=2
	s_waitcnt lgkmcnt(0)
	v_bcnt_u32_b32 v0, v0, v31
	ds_store_b32 v33, v0
.LBB181_10:                             ;   in Loop: Header=BB181_4 Depth=2
	s_or_b32 exec_lo, exec_lo, s15
	v_lshrrev_b32_e32 v0, s31, v20
	v_lshrrev_b32_e32 v1, s28, v21
	; wave barrier
	s_delay_alu instid0(VALU_DEP_1) | instskip(NEXT) | instid1(VALU_DEP_1)
	v_and_b32_e32 v1, s29, v1
	v_dual_cndmask_b32 v1, 0, v1 :: v_dual_and_b32 v0, s33, v0
	s_delay_alu instid0(VALU_DEP_1) | instskip(NEXT) | instid1(VALU_DEP_1)
	v_lshlrev_b32_e32 v0, s30, v0
	v_cndmask_b32_e64 v0, 0, v0, s14
	s_delay_alu instid0(VALU_DEP_1) | instskip(NEXT) | instid1(VALU_DEP_1)
	v_or_b32_e32 v0, v1, v0
	v_and_b32_e32 v2, 1, v0
	v_lshlrev_b32_e32 v3, 30, v0
	v_lshlrev_b32_e32 v4, 29, v0
	;; [unrolled: 1-line block ×4, first 2 shown]
	v_add_co_u32 v2, s14, v2, -1
	s_delay_alu instid0(VALU_DEP_1)
	v_cndmask_b32_e64 v6, 0, 1, s14
	v_not_b32_e32 v51, v3
	v_cmp_gt_i32_e64 s14, 0, v3
	v_not_b32_e32 v3, v4
	v_lshlrev_b32_e32 v34, 26, v0
	v_cmp_ne_u32_e32 vcc_lo, 0, v6
	v_ashrrev_i32_e32 v6, 31, v51
	v_lshlrev_b32_e32 v35, 25, v0
	v_ashrrev_i32_e32 v3, 31, v3
	v_mul_lo_u32 v1, v0, 10
	v_xor_b32_e32 v2, vcc_lo, v2
	v_cmp_gt_i32_e32 vcc_lo, 0, v4
	v_not_b32_e32 v4, v5
	v_xor_b32_e32 v6, s14, v6
	v_cmp_gt_i32_e64 s14, 0, v5
	v_and_b32_e32 v2, exec_lo, v2
	v_not_b32_e32 v5, v7
	v_ashrrev_i32_e32 v4, 31, v4
	v_xor_b32_e32 v3, vcc_lo, v3
	v_cmp_gt_i32_e32 vcc_lo, 0, v7
	v_and_b32_e32 v2, v2, v6
	v_not_b32_e32 v6, v34
	v_ashrrev_i32_e32 v5, 31, v5
	v_xor_b32_e32 v4, s14, v4
	v_lshlrev_b32_e32 v0, 24, v0
	v_and_b32_e32 v2, v2, v3
	v_cmp_gt_i32_e64 s14, 0, v34
	v_not_b32_e32 v3, v35
	v_ashrrev_i32_e32 v6, 31, v6
	v_xor_b32_e32 v5, vcc_lo, v5
	v_and_b32_e32 v2, v2, v4
	v_cmp_gt_i32_e32 vcc_lo, 0, v35
	v_not_b32_e32 v4, v0
	v_ashrrev_i32_e32 v3, 31, v3
	v_xor_b32_e32 v6, s14, v6
	v_and_b32_e32 v2, v2, v5
	v_cmp_gt_i32_e64 s14, 0, v0
	v_ashrrev_i32_e32 v0, 31, v4
	v_xor_b32_e32 v3, vcc_lo, v3
	v_add_lshl_u32 v1, v1, v9, 2
	v_and_b32_e32 v2, v2, v6
	s_delay_alu instid0(VALU_DEP_4) | instskip(SKIP_3) | instid1(VALU_DEP_2)
	v_xor_b32_e32 v0, s14, v0
	ds_load_b32 v34, v1 offset:40
	v_and_b32_e32 v2, v2, v3
	v_add_nc_u32_e32 v51, 40, v1
	; wave barrier
	v_and_b32_e32 v0, v2, v0
	s_delay_alu instid0(VALU_DEP_1) | instskip(SKIP_1) | instid1(VALU_DEP_2)
	v_mbcnt_lo_u32_b32 v35, v0, 0
	v_cmp_ne_u32_e64 s14, 0, v0
	v_cmp_eq_u32_e32 vcc_lo, 0, v35
	s_delay_alu instid0(VALU_DEP_2) | instskip(NEXT) | instid1(SALU_CYCLE_1)
	s_and_b32 s15, vcc_lo, s14
	s_and_saveexec_b32 s14, s15
	s_cbranch_execz .LBB181_12
; %bb.11:                               ;   in Loop: Header=BB181_4 Depth=2
	s_waitcnt lgkmcnt(0)
	v_bcnt_u32_b32 v0, v0, v34
	ds_store_b32 v51, v0
.LBB181_12:                             ;   in Loop: Header=BB181_4 Depth=2
	s_or_b32 exec_lo, exec_lo, s14
	; wave barrier
	s_waitcnt lgkmcnt(0)
	s_barrier
	buffer_gl0_inv
	ds_load_2addr_b64 v[4:7], v40 offset0:5 offset1:6
	ds_load_2addr_b64 v[0:3], v41 offset0:2 offset1:3
	s_waitcnt lgkmcnt(1)
	v_add_nc_u32_e32 v52, v5, v4
	s_delay_alu instid0(VALU_DEP_1) | instskip(SKIP_1) | instid1(VALU_DEP_1)
	v_add3_u32 v52, v52, v6, v7
	s_waitcnt lgkmcnt(0)
	v_add3_u32 v52, v52, v0, v1
	s_delay_alu instid0(VALU_DEP_1) | instskip(NEXT) | instid1(VALU_DEP_1)
	v_add3_u32 v3, v52, v2, v3
	v_mov_b32_dpp v52, v3 row_shr:1 row_mask:0xf bank_mask:0xf
	s_delay_alu instid0(VALU_DEP_1) | instskip(NEXT) | instid1(VALU_DEP_1)
	v_cndmask_b32_e64 v52, v52, 0, s5
	v_add_nc_u32_e32 v3, v52, v3
	s_delay_alu instid0(VALU_DEP_1) | instskip(NEXT) | instid1(VALU_DEP_1)
	v_mov_b32_dpp v52, v3 row_shr:2 row_mask:0xf bank_mask:0xf
	v_cndmask_b32_e64 v52, 0, v52, s6
	s_delay_alu instid0(VALU_DEP_1) | instskip(NEXT) | instid1(VALU_DEP_1)
	v_add_nc_u32_e32 v3, v3, v52
	v_mov_b32_dpp v52, v3 row_shr:4 row_mask:0xf bank_mask:0xf
	s_delay_alu instid0(VALU_DEP_1) | instskip(NEXT) | instid1(VALU_DEP_1)
	v_cndmask_b32_e64 v52, 0, v52, s7
	v_add_nc_u32_e32 v3, v3, v52
	s_delay_alu instid0(VALU_DEP_1) | instskip(NEXT) | instid1(VALU_DEP_1)
	v_mov_b32_dpp v52, v3 row_shr:8 row_mask:0xf bank_mask:0xf
	v_cndmask_b32_e64 v52, 0, v52, s8
	s_delay_alu instid0(VALU_DEP_1) | instskip(SKIP_3) | instid1(VALU_DEP_1)
	v_add_nc_u32_e32 v3, v3, v52
	ds_swizzle_b32 v52, v3 offset:swizzle(BROADCAST,32,15)
	s_waitcnt lgkmcnt(0)
	v_cndmask_b32_e64 v52, v52, 0, s9
	v_add_nc_u32_e32 v3, v3, v52
	s_and_saveexec_b32 s14, s13
	s_cbranch_execz .LBB181_14
; %bb.13:                               ;   in Loop: Header=BB181_4 Depth=2
	ds_store_b32 v42, v3
.LBB181_14:                             ;   in Loop: Header=BB181_4 Depth=2
	s_or_b32 exec_lo, exec_lo, s14
	s_waitcnt lgkmcnt(0)
	s_barrier
	buffer_gl0_inv
	s_and_saveexec_b32 s14, s10
	s_cbranch_execz .LBB181_16
; %bb.15:                               ;   in Loop: Header=BB181_4 Depth=2
	ds_load_b32 v52, v50
	s_waitcnt lgkmcnt(0)
	v_mov_b32_dpp v53, v52 row_shr:1 row_mask:0xf bank_mask:0xf
	s_delay_alu instid0(VALU_DEP_1) | instskip(NEXT) | instid1(VALU_DEP_1)
	v_cndmask_b32_e64 v53, v53, 0, s5
	v_add_nc_u32_e32 v52, v53, v52
	s_delay_alu instid0(VALU_DEP_1) | instskip(NEXT) | instid1(VALU_DEP_1)
	v_mov_b32_dpp v53, v52 row_shr:2 row_mask:0xf bank_mask:0xf
	v_cndmask_b32_e64 v53, 0, v53, s6
	s_delay_alu instid0(VALU_DEP_1) | instskip(NEXT) | instid1(VALU_DEP_1)
	v_add_nc_u32_e32 v52, v52, v53
	v_mov_b32_dpp v53, v52 row_shr:4 row_mask:0xf bank_mask:0xf
	s_delay_alu instid0(VALU_DEP_1) | instskip(NEXT) | instid1(VALU_DEP_1)
	v_cndmask_b32_e64 v53, 0, v53, s7
	v_add_nc_u32_e32 v52, v52, v53
	s_delay_alu instid0(VALU_DEP_1) | instskip(NEXT) | instid1(VALU_DEP_1)
	v_mov_b32_dpp v53, v52 row_shr:8 row_mask:0xf bank_mask:0xf
	v_cndmask_b32_e64 v53, 0, v53, s8
	s_delay_alu instid0(VALU_DEP_1)
	v_add_nc_u32_e32 v52, v52, v53
	ds_store_b32 v50, v52
.LBB181_16:                             ;   in Loop: Header=BB181_4 Depth=2
	s_or_b32 exec_lo, exec_lo, s14
	v_mov_b32_e32 v52, 0
	s_waitcnt lgkmcnt(0)
	s_barrier
	buffer_gl0_inv
	s_and_saveexec_b32 s14, s11
	s_cbranch_execz .LBB181_18
; %bb.17:                               ;   in Loop: Header=BB181_4 Depth=2
	ds_load_b32 v52, v45
.LBB181_18:                             ;   in Loop: Header=BB181_4 Depth=2
	s_or_b32 exec_lo, exec_lo, s14
	s_waitcnt lgkmcnt(0)
	v_add_nc_u32_e32 v3, v52, v3
	s_cmp_gt_u32 s28, 55
	ds_bpermute_b32 v3, v43, v3
	s_waitcnt lgkmcnt(0)
	v_cndmask_b32_e64 v3, v3, v52, s0
	s_delay_alu instid0(VALU_DEP_1) | instskip(NEXT) | instid1(VALU_DEP_1)
	v_cndmask_b32_e64 v3, v3, 0, s12
	v_add_nc_u32_e32 v4, v3, v4
	s_delay_alu instid0(VALU_DEP_1) | instskip(NEXT) | instid1(VALU_DEP_1)
	v_add_nc_u32_e32 v5, v4, v5
	v_add_nc_u32_e32 v6, v5, v6
	s_delay_alu instid0(VALU_DEP_1) | instskip(NEXT) | instid1(VALU_DEP_1)
	v_add_nc_u32_e32 v52, v6, v7
	v_add_nc_u32_e32 v53, v52, v0
	s_delay_alu instid0(VALU_DEP_1) | instskip(NEXT) | instid1(VALU_DEP_1)
	v_add_nc_u32_e32 v0, v53, v1
	v_add_nc_u32_e32 v1, v0, v2
	ds_store_2addr_b64 v40, v[3:4], v[5:6] offset0:5 offset1:6
	ds_store_2addr_b64 v41, v[52:53], v[0:1] offset0:2 offset1:3
	s_waitcnt lgkmcnt(0)
	s_barrier
	buffer_gl0_inv
	ds_load_b32 v0, v27
	ds_load_b32 v1, v30
	;; [unrolled: 1-line block ×4, first 2 shown]
	s_waitcnt lgkmcnt(0)
	v_add_nc_u32_e32 v0, v0, v26
	v_add3_u32 v1, v29, v28, v1
	v_add3_u32 v2, v32, v31, v2
	;; [unrolled: 1-line block ×3, first 2 shown]
	s_delay_alu instid0(VALU_DEP_4) | instskip(NEXT) | instid1(VALU_DEP_4)
	v_lshrrev_b32_e32 v4, 2, v0
	v_lshrrev_b32_e32 v5, 2, v1
	s_delay_alu instid0(VALU_DEP_4) | instskip(NEXT) | instid1(VALU_DEP_4)
	v_lshrrev_b32_e32 v6, 2, v2
	v_lshrrev_b32_e32 v7, 2, v3
	s_delay_alu instid0(VALU_DEP_4) | instskip(NEXT) | instid1(VALU_DEP_4)
	v_and_b32_e32 v4, 0x3ffffff8, v4
	v_and_b32_e32 v5, 0x3ffffff8, v5
	s_delay_alu instid0(VALU_DEP_4) | instskip(NEXT) | instid1(VALU_DEP_4)
	v_and_b32_e32 v26, 0x3ffffff8, v6
	v_and_b32_e32 v27, 0x3ffffff8, v7
	s_delay_alu instid0(VALU_DEP_4) | instskip(NEXT) | instid1(VALU_DEP_4)
	v_lshl_add_u32 v6, v0, 3, v4
	v_lshl_add_u32 v7, v1, 3, v5
	s_delay_alu instid0(VALU_DEP_4) | instskip(NEXT) | instid1(VALU_DEP_4)
	v_lshl_add_u32 v51, v2, 3, v26
	v_lshl_add_u32 v52, v3, 3, v27
	s_cbranch_scc0 .LBB181_3
; %bb.19:                               ;   in Loop: Header=BB181_2 Depth=1
                                        ; implicit-def: $sgpr28
                                        ; implicit-def: $vgpr32_vgpr33
                                        ; implicit-def: $vgpr0_vgpr1
                                        ; implicit-def: $vgpr2_vgpr3
                                        ; implicit-def: $vgpr4_vgpr5
                                        ; implicit-def: $vgpr34_vgpr35
                                        ; implicit-def: $vgpr26_vgpr27
                                        ; implicit-def: $vgpr28_vgpr29
                                        ; implicit-def: $vgpr30_vgpr31
                                        ; implicit-def: $sgpr27
                                        ; implicit-def: $sgpr26
	s_branch .LBB181_1
.LBB181_20:
	s_waitcnt lgkmcnt(0)
	v_add_nc_u32_e32 v0, v12, v0
	v_lshlrev_b32_e32 v12, 3, v8
	s_add_u32 s0, s18, s20
	s_addc_u32 s1, s19, s21
	v_add_nc_u32_e32 v4, v14, v4
	v_add_nc_u32_e32 v5, v15, v5
	v_add_co_u32 v8, s2, s0, v12
	s_delay_alu instid0(VALU_DEP_1) | instskip(SKIP_1) | instid1(VALU_DEP_3)
	v_add_co_ci_u32_e64 v9, null, s1, 0, s2
	v_add_nc_u32_e32 v6, v16, v6
	v_add_co_u32 v8, vcc_lo, 0x1000, v8
	v_add_nc_u32_e32 v7, v17, v7
	v_add_nc_u32_e32 v1, v13, v1
	v_add_co_ci_u32_e32 v9, vcc_lo, 0, v9, vcc_lo
	v_add_nc_u32_e32 v2, v10, v2
	v_add_nc_u32_e32 v3, v11, v3
	s_clause 0x3
	global_store_b64 v12, v[4:5], s[0:1]
	global_store_b64 v12, v[6:7], s[0:1] offset:2560
	global_store_b64 v[8:9], v[0:1], off offset:1024
	global_store_b64 v[8:9], v[2:3], off offset:3584
	s_nop 0
	s_sendmsg sendmsg(MSG_DEALLOC_VGPRS)
	s_endpgm
	.section	.rodata,"a",@progbits
	.p2align	6, 0x0
	.amdhsa_kernel _Z17sort_pairs_kernelI22helper_blocked_blockedN15benchmark_utils11custom_typeIiiEELj320ELj4ELj10EEvPKT0_PS4_
		.amdhsa_group_segment_fixed_size 10560
		.amdhsa_private_segment_fixed_size 0
		.amdhsa_kernarg_size 272
		.amdhsa_user_sgpr_count 15
		.amdhsa_user_sgpr_dispatch_ptr 0
		.amdhsa_user_sgpr_queue_ptr 0
		.amdhsa_user_sgpr_kernarg_segment_ptr 1
		.amdhsa_user_sgpr_dispatch_id 0
		.amdhsa_user_sgpr_private_segment_size 0
		.amdhsa_wavefront_size32 1
		.amdhsa_uses_dynamic_stack 0
		.amdhsa_enable_private_segment 0
		.amdhsa_system_sgpr_workgroup_id_x 1
		.amdhsa_system_sgpr_workgroup_id_y 0
		.amdhsa_system_sgpr_workgroup_id_z 0
		.amdhsa_system_sgpr_workgroup_info 0
		.amdhsa_system_vgpr_workitem_id 2
		.amdhsa_next_free_vgpr 56
		.amdhsa_next_free_sgpr 34
		.amdhsa_reserve_vcc 1
		.amdhsa_float_round_mode_32 0
		.amdhsa_float_round_mode_16_64 0
		.amdhsa_float_denorm_mode_32 3
		.amdhsa_float_denorm_mode_16_64 3
		.amdhsa_dx10_clamp 1
		.amdhsa_ieee_mode 1
		.amdhsa_fp16_overflow 0
		.amdhsa_workgroup_processor_mode 1
		.amdhsa_memory_ordered 1
		.amdhsa_forward_progress 0
		.amdhsa_shared_vgpr_count 0
		.amdhsa_exception_fp_ieee_invalid_op 0
		.amdhsa_exception_fp_denorm_src 0
		.amdhsa_exception_fp_ieee_div_zero 0
		.amdhsa_exception_fp_ieee_overflow 0
		.amdhsa_exception_fp_ieee_underflow 0
		.amdhsa_exception_fp_ieee_inexact 0
		.amdhsa_exception_int_div_zero 0
	.end_amdhsa_kernel
	.section	.text._Z17sort_pairs_kernelI22helper_blocked_blockedN15benchmark_utils11custom_typeIiiEELj320ELj4ELj10EEvPKT0_PS4_,"axG",@progbits,_Z17sort_pairs_kernelI22helper_blocked_blockedN15benchmark_utils11custom_typeIiiEELj320ELj4ELj10EEvPKT0_PS4_,comdat
.Lfunc_end181:
	.size	_Z17sort_pairs_kernelI22helper_blocked_blockedN15benchmark_utils11custom_typeIiiEELj320ELj4ELj10EEvPKT0_PS4_, .Lfunc_end181-_Z17sort_pairs_kernelI22helper_blocked_blockedN15benchmark_utils11custom_typeIiiEELj320ELj4ELj10EEvPKT0_PS4_
                                        ; -- End function
	.section	.AMDGPU.csdata,"",@progbits
; Kernel info:
; codeLenInByte = 4904
; NumSgprs: 36
; NumVgprs: 56
; ScratchSize: 0
; MemoryBound: 0
; FloatMode: 240
; IeeeMode: 1
; LDSByteSize: 10560 bytes/workgroup (compile time only)
; SGPRBlocks: 4
; VGPRBlocks: 6
; NumSGPRsForWavesPerEU: 36
; NumVGPRsForWavesPerEU: 56
; Occupancy: 15
; WaveLimiterHint : 1
; COMPUTE_PGM_RSRC2:SCRATCH_EN: 0
; COMPUTE_PGM_RSRC2:USER_SGPR: 15
; COMPUTE_PGM_RSRC2:TRAP_HANDLER: 0
; COMPUTE_PGM_RSRC2:TGID_X_EN: 1
; COMPUTE_PGM_RSRC2:TGID_Y_EN: 0
; COMPUTE_PGM_RSRC2:TGID_Z_EN: 0
; COMPUTE_PGM_RSRC2:TIDIG_COMP_CNT: 2
	.section	.text._Z16sort_keys_kernelI22helper_blocked_blockedN15benchmark_utils11custom_typeIiiEELj320ELj8ELj10EEvPKT0_PS4_,"axG",@progbits,_Z16sort_keys_kernelI22helper_blocked_blockedN15benchmark_utils11custom_typeIiiEELj320ELj8ELj10EEvPKT0_PS4_,comdat
	.protected	_Z16sort_keys_kernelI22helper_blocked_blockedN15benchmark_utils11custom_typeIiiEELj320ELj8ELj10EEvPKT0_PS4_ ; -- Begin function _Z16sort_keys_kernelI22helper_blocked_blockedN15benchmark_utils11custom_typeIiiEELj320ELj8ELj10EEvPKT0_PS4_
	.globl	_Z16sort_keys_kernelI22helper_blocked_blockedN15benchmark_utils11custom_typeIiiEELj320ELj8ELj10EEvPKT0_PS4_
	.p2align	8
	.type	_Z16sort_keys_kernelI22helper_blocked_blockedN15benchmark_utils11custom_typeIiiEELj320ELj8ELj10EEvPKT0_PS4_,@function
_Z16sort_keys_kernelI22helper_blocked_blockedN15benchmark_utils11custom_typeIiiEELj320ELj8ELj10EEvPKT0_PS4_: ; @_Z16sort_keys_kernelI22helper_blocked_blockedN15benchmark_utils11custom_typeIiiEELj320ELj8ELj10EEvPKT0_PS4_
; %bb.0:
	s_clause 0x1
	s_load_b128 s[16:19], s[0:1], 0x0
	s_load_b32 s2, s[0:1], 0x1c
	v_and_b32_e32 v8, 0x3ff, v0
	s_mov_b32 s21, 0
	s_mul_i32 s20, s15, 0xa00
	v_mbcnt_lo_u32_b32 v22, -1, 0
	s_lshl_b64 s[14:15], s[20:21], 3
	v_lshlrev_b32_e32 v7, 3, v8
	v_and_b32_e32 v23, 0x1e0, v8
	v_lshlrev_b32_e32 v40, 5, v8
	v_cmp_gt_u32_e64 s6, 10, v8
	v_cmp_lt_u32_e64 s7, 31, v8
	v_and_b32_e32 v21, 0xf00, v7
	v_cmp_eq_u32_e64 s8, 0, v22
	v_add_nc_u32_e32 v44, 40, v40
	v_cmp_eq_u32_e64 s9, 0, v8
	s_mov_b32 s20, s21
	v_or_b32_e32 v24, v22, v21
	v_or_b32_e32 v25, 0x60, v21
	;; [unrolled: 1-line block ×3, first 2 shown]
	s_waitcnt lgkmcnt(0)
	s_add_u32 s0, s16, s14
	s_addc_u32 s1, s17, s15
	v_add_co_u32 v1, s3, s0, v7
	s_delay_alu instid0(VALU_DEP_1) | instskip(SKIP_1) | instid1(VALU_DEP_3)
	v_add_co_ci_u32_e64 v2, null, s1, 0, s3
	v_lshrrev_b32_e32 v25, 5, v25
	v_add_co_u32 v9, vcc_lo, 0x1000, v1
	s_delay_alu instid0(VALU_DEP_3)
	v_add_co_ci_u32_e32 v10, vcc_lo, 0, v2, vcc_lo
	v_add_co_u32 v12, vcc_lo, 0x2000, v1
	v_add_co_ci_u32_e32 v13, vcc_lo, 0, v2, vcc_lo
	v_add_co_u32 v16, vcc_lo, 0x3000, v1
	;; [unrolled: 2-line block ×3, first 2 shown]
	v_add_co_ci_u32_e32 v19, vcc_lo, 0, v2, vcc_lo
	s_clause 0x7
	global_load_b64 v[1:2], v7, s[0:1]
	global_load_b64 v[3:4], v7, s[0:1] offset:2560
	global_load_b64 v[5:6], v[9:10], off offset:1024
	global_load_b64 v[10:11], v[9:10], off offset:3584
	;; [unrolled: 1-line block ×6, first 2 shown]
	v_or_b32_e32 v9, v22, v23
	v_add_lshl_u32 v38, v25, v24, 3
	v_bfe_u32 v25, v0, 10, 10
	v_bfe_u32 v0, v0, 20, 10
	s_lshr_b32 s0, s2, 16
	v_lshlrev_b32_e32 v20, 1, v9
	v_lshrrev_b32_e32 v26, 5, v21
	s_mov_b32 s16, s21
	v_mad_u32_u24 v0, v0, s0, v25
	v_or_b32_e32 v25, 0xe0, v21
	v_and_b32_e32 v20, 0x3f8, v20
	s_and_b32 s0, s2, 0xffff
	v_add_lshl_u32 v35, v26, v24, 3
	s_mov_b32 s17, s21
	s_mov_b32 s13, s21
	v_lshl_add_u32 v34, v9, 6, v20
	v_or_b32_e32 v9, 32, v21
	v_or_b32_e32 v20, 64, v21
	s_delay_alu instid0(VALU_DEP_2) | instskip(NEXT) | instid1(VALU_DEP_2)
	v_lshrrev_b32_e32 v9, 5, v9
	v_lshrrev_b32_e32 v20, 5, v20
	s_delay_alu instid0(VALU_DEP_2) | instskip(SKIP_1) | instid1(VALU_DEP_3)
	v_add_lshl_u32 v36, v9, v24, 3
	v_lshrrev_b32_e32 v9, 5, v27
	v_add_lshl_u32 v37, v20, v24, 3
	v_or_b32_e32 v20, 0xa0, v21
	s_delay_alu instid0(VALU_DEP_3) | instskip(SKIP_1) | instid1(VALU_DEP_3)
	v_add_lshl_u32 v39, v9, v24, 3
	v_or_b32_e32 v9, 0xc0, v21
	v_lshrrev_b32_e32 v26, 5, v20
	s_delay_alu instid0(VALU_DEP_2) | instskip(NEXT) | instid1(VALU_DEP_2)
	v_lshrrev_b32_e32 v9, 5, v9
	v_add_lshl_u32 v41, v26, v24, 3
	s_delay_alu instid0(VALU_DEP_2) | instskip(SKIP_3) | instid1(VALU_DEP_3)
	v_mad_u64_u32 v[20:21], null, v0, s0, v[8:9]
	v_lshrrev_b32_e32 v0, 5, v25
	v_and_b32_e32 v21, 15, v22
	v_add_lshl_u32 v42, v9, v24, 3
	v_add_lshl_u32 v43, v0, v24, 3
	v_min_u32_e32 v0, 0x120, v23
	v_add_nc_u32_e32 v23, -1, v22
	v_lshrrev_b32_e32 v9, 5, v20
	v_and_b32_e32 v20, 16, v22
	v_cmp_eq_u32_e64 s0, 0, v21
	v_cmp_lt_u32_e64 s1, 1, v21
	v_cmp_gt_i32_e32 vcc_lo, 0, v23
	v_cmp_lt_u32_e64 s2, 3, v21
	v_cmp_lt_u32_e64 s3, 7, v21
	v_or_b32_e32 v0, 31, v0
	v_cmp_eq_u32_e64 s4, 0, v20
	v_cndmask_b32_e32 v20, v23, v22, vcc_lo
	v_lshrrev_b32_e32 v21, 3, v8
	s_delay_alu instid0(VALU_DEP_4) | instskip(SKIP_1) | instid1(VALU_DEP_4)
	v_cmp_eq_u32_e64 s5, v0, v8
	v_lshrrev_b32_e32 v0, 2, v8
	v_lshlrev_b32_e32 v45, 2, v20
	s_delay_alu instid0(VALU_DEP_4) | instskip(SKIP_1) | instid1(VALU_DEP_4)
	v_and_b32_e32 v46, 60, v21
	v_mul_i32_i24_e32 v20, 0xffffffe4, v8
	v_add_lshl_u32 v48, v0, v7, 3
	s_delay_alu instid0(VALU_DEP_3) | instskip(NEXT) | instid1(VALU_DEP_3)
	v_add_nc_u32_e32 v47, -4, v46
	v_add_nc_u32_e32 v49, v40, v20
	s_branch .LBB182_2
.LBB182_1:                              ;   in Loop: Header=BB182_2 Depth=1
	s_barrier
	buffer_gl0_inv
	ds_store_b64 v50, v[10:11]
	ds_store_b64 v51, v[16:17]
	;; [unrolled: 1-line block ×8, first 2 shown]
	s_waitcnt lgkmcnt(0)
	s_barrier
	buffer_gl0_inv
	ds_load_2addr_b64 v[1:4], v48 offset1:1
	ds_load_2addr_b64 v[10:13], v48 offset0:2 offset1:3
	ds_load_2addr_b64 v[14:17], v48 offset0:4 offset1:5
	;; [unrolled: 1-line block ×3, first 2 shown]
	s_add_i32 s13, s13, 1
	s_delay_alu instid0(SALU_CYCLE_1)
	s_cmp_eq_u32 s13, 10
	s_waitcnt lgkmcnt(3)
	v_xor_b32_e32 v1, 0x80000000, v1
	v_xor_b32_e32 v2, 0x80000000, v2
	v_xor_b32_e32 v3, 0x80000000, v3
	v_xor_b32_e32 v4, 0x80000000, v4
	s_waitcnt lgkmcnt(2)
	v_xor_b32_e32 v5, 0x80000000, v10
	v_xor_b32_e32 v6, 0x80000000, v11
	v_xor_b32_e32 v10, 0x80000000, v12
	v_xor_b32_e32 v11, 0x80000000, v13
	;; [unrolled: 5-line block ×4, first 2 shown]
	s_cbranch_scc1 .LBB182_28
.LBB182_2:                              ; =>This Loop Header: Depth=1
                                        ;     Child Loop BB182_4 Depth 2
	s_waitcnt vmcnt(7)
	v_xor_b32_e32 v2, 0x80000000, v2
	v_xor_b32_e32 v1, 0x80000000, v1
	s_waitcnt vmcnt(6)
	v_xor_b32_e32 v4, 0x80000000, v4
	v_xor_b32_e32 v3, 0x80000000, v3
	;; [unrolled: 3-line block ×8, first 2 shown]
	ds_store_2addr_b64 v34, v[1:2], v[3:4] offset1:1
	ds_store_2addr_b64 v34, v[5:6], v[10:11] offset0:2 offset1:3
	ds_store_2addr_b64 v34, v[12:13], v[14:15] offset0:4 offset1:5
	;; [unrolled: 1-line block ×3, first 2 shown]
	; wave barrier
	ds_load_b64 v[32:33], v35
	ds_load_b64 v[0:1], v36 offset:256
	ds_load_b64 v[2:3], v37 offset:512
	;; [unrolled: 1-line block ×7, first 2 shown]
	s_mov_b32 s22, 8
	s_mov_b32 s23, 32
	;; [unrolled: 1-line block ×3, first 2 shown]
	s_waitcnt lgkmcnt(0)
	s_barrier
	buffer_gl0_inv
	; wave barrier
	s_barrier
	s_branch .LBB182_4
.LBB182_3:                              ;   in Loop: Header=BB182_4 Depth=2
	s_barrier
	buffer_gl0_inv
	ds_store_b64 v50, v[10:11]
	ds_store_b64 v51, v[16:17]
	ds_store_b64 v52, v[14:15]
	ds_store_b64 v53, v[12:13]
	ds_store_b64 v54, v[24:25]
	ds_store_b64 v55, v[22:23]
	ds_store_b64 v56, v[20:21]
	ds_store_b64 v57, v[18:19]
	s_waitcnt lgkmcnt(0)
	s_barrier
	buffer_gl0_inv
	ds_load_b64 v[32:33], v35
	ds_load_b64 v[0:1], v36 offset:256
	ds_load_b64 v[2:3], v37 offset:512
	;; [unrolled: 1-line block ×7, first 2 shown]
	s_add_i32 s23, s23, -8
	s_add_i32 s22, s22, 8
	s_add_i32 s24, s24, 8
	s_waitcnt lgkmcnt(0)
	s_barrier
	s_cbranch_execz .LBB182_1
.LBB182_4:                              ;   Parent Loop BB182_2 Depth=1
                                        ; =>  This Inner Loop Header: Depth=2
	s_min_i32 s11, s22, 32
	s_cmp_lt_u32 s24, 32
	v_dual_mov_b32 v10, v32 :: v_dual_mov_b32 v11, v33
	s_cselect_b32 vcc_lo, -1, 0
	s_cmp_gt_u32 s24, 24
	buffer_gl0_inv
	s_cselect_b32 s10, -1, 0
	s_sub_i32 s11, s11, 32
	v_lshrrev_b32_e32 v13, s24, v11
	s_add_i32 s12, s11, s23
	v_mov_b32_e32 v25, v5
	s_lshl_b32 s12, -1, s12
	v_mov_b32_e32 v22, v26
	s_not_b32 s12, s12
	s_cmp_lg_u32 s11, s24
	v_mov_b32_e32 v24, v4
	s_cselect_b32 s25, s12, -1
	s_max_i32 s26, s23, 0
	s_max_i32 s11, s24, 32
	v_and_b32_e32 v13, s25, v13
	s_sub_i32 s12, s11, s26
	s_sub_i32 s27, s11, 32
	;; [unrolled: 1-line block ×3, first 2 shown]
	v_lshrrev_b32_e32 v12, s27, v10
	s_min_i32 s11, s12, 32
	v_cndmask_b32_e32 v13, 0, v13, vcc_lo
	s_sub_i32 s11, s11, s27
	v_mov_b32_e32 v23, v27
	s_lshl_b32 s12, -1, s11
	s_delay_alu instid0(SALU_CYCLE_1) | instskip(SKIP_2) | instid1(SALU_CYCLE_1)
	s_not_b32 s12, s12
	s_cmp_lg_u32 s11, 32
	s_cselect_b32 s28, s12, -1
	v_and_b32_e32 v12, s28, v12
	s_delay_alu instid0(VALU_DEP_1) | instskip(NEXT) | instid1(VALU_DEP_1)
	v_lshlrev_b32_e32 v12, s26, v12
	v_cndmask_b32_e64 v12, 0, v12, s10
	s_delay_alu instid0(VALU_DEP_1) | instskip(NEXT) | instid1(VALU_DEP_1)
	v_or_b32_e32 v32, v13, v12
	v_and_b32_e32 v12, 1, v32
	v_lshlrev_b32_e32 v13, 30, v32
	v_lshlrev_b32_e32 v14, 29, v32
	;; [unrolled: 1-line block ×4, first 2 shown]
	v_add_co_u32 v12, s11, v12, -1
	s_delay_alu instid0(VALU_DEP_1)
	v_cndmask_b32_e64 v16, 0, 1, s11
	v_not_b32_e32 v20, v13
	v_cmp_gt_i32_e64 s12, 0, v13
	v_not_b32_e32 v13, v14
	v_lshlrev_b32_e32 v18, 26, v32
	v_cmp_ne_u32_e64 s11, 0, v16
	v_ashrrev_i32_e32 v20, 31, v20
	v_lshlrev_b32_e32 v19, 25, v32
	v_ashrrev_i32_e32 v13, 31, v13
	v_lshlrev_b32_e32 v16, 24, v32
	v_xor_b32_e32 v12, s11, v12
	v_cmp_gt_i32_e64 s11, 0, v14
	v_not_b32_e32 v14, v15
	v_xor_b32_e32 v20, s12, v20
	v_cmp_gt_i32_e64 s12, 0, v15
	v_and_b32_e32 v12, exec_lo, v12
	v_not_b32_e32 v15, v17
	v_ashrrev_i32_e32 v14, 31, v14
	v_xor_b32_e32 v13, s11, v13
	v_cmp_gt_i32_e64 s11, 0, v17
	v_and_b32_e32 v12, v12, v20
	v_not_b32_e32 v17, v18
	v_ashrrev_i32_e32 v15, 31, v15
	v_xor_b32_e32 v14, s12, v14
	v_cmp_gt_i32_e64 s12, 0, v18
	v_and_b32_e32 v12, v12, v13
	;; [unrolled: 5-line block ×4, first 2 shown]
	v_ashrrev_i32_e32 v18, 31, v14
	v_xor_b32_e32 v19, s11, v13
	v_dual_mov_b32 v15, v3 :: v_dual_mov_b32 v14, v2
	s_delay_alu instid0(VALU_DEP_4) | instskip(SKIP_3) | instid1(VALU_DEP_4)
	v_dual_mov_b32 v3, s16 :: v_dual_and_b32 v20, v12, v17
	v_dual_mov_b32 v17, v1 :: v_dual_mov_b32 v16, v0
	v_xor_b32_e32 v0, s12, v18
	v_mov_b32_e32 v13, v7
	v_dual_mov_b32 v18, v30 :: v_dual_and_b32 v1, v20, v19
	v_mov_b32_e32 v12, v6
	v_mad_u64_u32 v[5:6], null, v32, 10, v[9:10]
	s_delay_alu instid0(VALU_DEP_3) | instskip(SKIP_3) | instid1(VALU_DEP_4)
	v_and_b32_e32 v0, v1, v0
	v_dual_mov_b32 v20, v28 :: v_dual_mov_b32 v1, s20
	v_mov_b32_e32 v21, v29
	v_mov_b32_e32 v19, v31
	v_mbcnt_lo_u32_b32 v26, v0, 0
	v_cmp_ne_u32_e64 s12, 0, v0
	v_mov_b32_e32 v2, s21
	v_mov_b32_e32 v4, s17
	v_lshl_add_u32 v27, v5, 2, 40
	v_cmp_eq_u32_e64 s11, 0, v26
	ds_store_2addr_b64 v40, v[1:2], v[3:4] offset0:5 offset1:6
	ds_store_2addr_b64 v44, v[1:2], v[3:4] offset0:2 offset1:3
	s_waitcnt lgkmcnt(0)
	s_and_b32 s12, s11, s12
	s_barrier
	buffer_gl0_inv
	; wave barrier
	s_and_saveexec_b32 s11, s12
	s_cbranch_execz .LBB182_6
; %bb.5:                                ;   in Loop: Header=BB182_4 Depth=2
	v_bcnt_u32_b32 v0, v0, 0
	ds_store_b32 v27, v0
.LBB182_6:                              ;   in Loop: Header=BB182_4 Depth=2
	s_or_b32 exec_lo, exec_lo, s11
	v_lshrrev_b32_e32 v0, s27, v16
	v_lshrrev_b32_e32 v1, s24, v17
	; wave barrier
	s_delay_alu instid0(VALU_DEP_1) | instskip(NEXT) | instid1(VALU_DEP_1)
	v_and_b32_e32 v1, s25, v1
	v_dual_cndmask_b32 v1, 0, v1 :: v_dual_and_b32 v0, s28, v0
	s_delay_alu instid0(VALU_DEP_1) | instskip(NEXT) | instid1(VALU_DEP_1)
	v_lshlrev_b32_e32 v0, s26, v0
	v_cndmask_b32_e64 v0, 0, v0, s10
	s_delay_alu instid0(VALU_DEP_1) | instskip(NEXT) | instid1(VALU_DEP_1)
	v_or_b32_e32 v0, v1, v0
	v_and_b32_e32 v2, 1, v0
	v_lshlrev_b32_e32 v3, 30, v0
	v_lshlrev_b32_e32 v4, 29, v0
	;; [unrolled: 1-line block ×4, first 2 shown]
	v_add_co_u32 v2, s11, v2, -1
	s_delay_alu instid0(VALU_DEP_1)
	v_cndmask_b32_e64 v6, 0, 1, s11
	v_not_b32_e32 v30, v3
	v_cmp_gt_i32_e64 s12, 0, v3
	v_not_b32_e32 v3, v4
	v_lshlrev_b32_e32 v28, 26, v0
	v_cmp_ne_u32_e64 s11, 0, v6
	v_ashrrev_i32_e32 v6, 31, v30
	v_lshlrev_b32_e32 v29, 25, v0
	v_ashrrev_i32_e32 v3, 31, v3
	v_mul_lo_u32 v1, v0, 10
	v_xor_b32_e32 v2, s11, v2
	v_cmp_gt_i32_e64 s11, 0, v4
	v_not_b32_e32 v4, v5
	v_xor_b32_e32 v6, s12, v6
	v_cmp_gt_i32_e64 s12, 0, v5
	v_and_b32_e32 v2, exec_lo, v2
	v_not_b32_e32 v5, v7
	v_ashrrev_i32_e32 v4, 31, v4
	v_xor_b32_e32 v3, s11, v3
	v_cmp_gt_i32_e64 s11, 0, v7
	v_and_b32_e32 v2, v2, v6
	v_not_b32_e32 v6, v28
	v_ashrrev_i32_e32 v5, 31, v5
	v_xor_b32_e32 v4, s12, v4
	v_lshlrev_b32_e32 v0, 24, v0
	v_and_b32_e32 v2, v2, v3
	v_cmp_gt_i32_e64 s12, 0, v28
	v_not_b32_e32 v3, v29
	v_ashrrev_i32_e32 v6, 31, v6
	v_xor_b32_e32 v5, s11, v5
	v_and_b32_e32 v2, v2, v4
	v_cmp_gt_i32_e64 s11, 0, v29
	v_not_b32_e32 v4, v0
	v_ashrrev_i32_e32 v3, 31, v3
	v_xor_b32_e32 v6, s12, v6
	v_and_b32_e32 v2, v2, v5
	v_cmp_gt_i32_e64 s12, 0, v0
	v_ashrrev_i32_e32 v0, 31, v4
	v_xor_b32_e32 v3, s11, v3
	v_add_lshl_u32 v1, v1, v9, 2
	v_and_b32_e32 v2, v2, v6
	s_delay_alu instid0(VALU_DEP_4) | instskip(SKIP_3) | instid1(VALU_DEP_2)
	v_xor_b32_e32 v0, s12, v0
	ds_load_b32 v28, v1 offset:40
	v_and_b32_e32 v2, v2, v3
	v_add_nc_u32_e32 v30, 40, v1
	; wave barrier
	v_and_b32_e32 v0, v2, v0
	s_delay_alu instid0(VALU_DEP_1) | instskip(SKIP_1) | instid1(VALU_DEP_2)
	v_mbcnt_lo_u32_b32 v29, v0, 0
	v_cmp_ne_u32_e64 s12, 0, v0
	v_cmp_eq_u32_e64 s11, 0, v29
	s_delay_alu instid0(VALU_DEP_1) | instskip(NEXT) | instid1(SALU_CYCLE_1)
	s_and_b32 s12, s11, s12
	s_and_saveexec_b32 s11, s12
	s_cbranch_execz .LBB182_8
; %bb.7:                                ;   in Loop: Header=BB182_4 Depth=2
	s_waitcnt lgkmcnt(0)
	v_bcnt_u32_b32 v0, v0, v28
	ds_store_b32 v30, v0
.LBB182_8:                              ;   in Loop: Header=BB182_4 Depth=2
	s_or_b32 exec_lo, exec_lo, s11
	v_lshrrev_b32_e32 v0, s27, v14
	v_lshrrev_b32_e32 v1, s24, v15
	; wave barrier
	s_delay_alu instid0(VALU_DEP_1) | instskip(NEXT) | instid1(VALU_DEP_1)
	v_and_b32_e32 v1, s25, v1
	v_dual_cndmask_b32 v1, 0, v1 :: v_dual_and_b32 v0, s28, v0
	s_delay_alu instid0(VALU_DEP_1) | instskip(NEXT) | instid1(VALU_DEP_1)
	v_lshlrev_b32_e32 v0, s26, v0
	v_cndmask_b32_e64 v0, 0, v0, s10
	s_delay_alu instid0(VALU_DEP_1) | instskip(NEXT) | instid1(VALU_DEP_1)
	v_or_b32_e32 v0, v1, v0
	v_and_b32_e32 v2, 1, v0
	v_lshlrev_b32_e32 v3, 30, v0
	v_lshlrev_b32_e32 v4, 29, v0
	;; [unrolled: 1-line block ×4, first 2 shown]
	v_add_co_u32 v2, s11, v2, -1
	s_delay_alu instid0(VALU_DEP_1)
	v_cndmask_b32_e64 v6, 0, 1, s11
	v_not_b32_e32 v33, v3
	v_cmp_gt_i32_e64 s12, 0, v3
	v_not_b32_e32 v3, v4
	v_lshlrev_b32_e32 v31, 26, v0
	v_cmp_ne_u32_e64 s11, 0, v6
	v_ashrrev_i32_e32 v6, 31, v33
	v_lshlrev_b32_e32 v32, 25, v0
	v_ashrrev_i32_e32 v3, 31, v3
	v_mul_lo_u32 v1, v0, 10
	v_xor_b32_e32 v2, s11, v2
	v_cmp_gt_i32_e64 s11, 0, v4
	v_not_b32_e32 v4, v5
	v_xor_b32_e32 v6, s12, v6
	v_cmp_gt_i32_e64 s12, 0, v5
	v_and_b32_e32 v2, exec_lo, v2
	v_not_b32_e32 v5, v7
	v_ashrrev_i32_e32 v4, 31, v4
	v_xor_b32_e32 v3, s11, v3
	v_cmp_gt_i32_e64 s11, 0, v7
	v_and_b32_e32 v2, v2, v6
	v_not_b32_e32 v6, v31
	v_ashrrev_i32_e32 v5, 31, v5
	v_xor_b32_e32 v4, s12, v4
	v_lshlrev_b32_e32 v0, 24, v0
	v_and_b32_e32 v2, v2, v3
	v_cmp_gt_i32_e64 s12, 0, v31
	v_not_b32_e32 v3, v32
	v_ashrrev_i32_e32 v6, 31, v6
	v_xor_b32_e32 v5, s11, v5
	v_and_b32_e32 v2, v2, v4
	v_cmp_gt_i32_e64 s11, 0, v32
	v_not_b32_e32 v4, v0
	v_ashrrev_i32_e32 v3, 31, v3
	v_xor_b32_e32 v6, s12, v6
	v_and_b32_e32 v2, v2, v5
	v_cmp_gt_i32_e64 s12, 0, v0
	v_ashrrev_i32_e32 v0, 31, v4
	v_xor_b32_e32 v3, s11, v3
	v_add_lshl_u32 v1, v1, v9, 2
	v_and_b32_e32 v2, v2, v6
	s_delay_alu instid0(VALU_DEP_4) | instskip(SKIP_3) | instid1(VALU_DEP_2)
	v_xor_b32_e32 v0, s12, v0
	ds_load_b32 v31, v1 offset:40
	v_and_b32_e32 v2, v2, v3
	v_add_nc_u32_e32 v33, 40, v1
	; wave barrier
	v_and_b32_e32 v0, v2, v0
	s_delay_alu instid0(VALU_DEP_1) | instskip(SKIP_1) | instid1(VALU_DEP_2)
	v_mbcnt_lo_u32_b32 v32, v0, 0
	v_cmp_ne_u32_e64 s12, 0, v0
	v_cmp_eq_u32_e64 s11, 0, v32
	s_delay_alu instid0(VALU_DEP_1) | instskip(NEXT) | instid1(SALU_CYCLE_1)
	s_and_b32 s12, s11, s12
	s_and_saveexec_b32 s11, s12
	s_cbranch_execz .LBB182_10
; %bb.9:                                ;   in Loop: Header=BB182_4 Depth=2
	s_waitcnt lgkmcnt(0)
	v_bcnt_u32_b32 v0, v0, v31
	ds_store_b32 v33, v0
.LBB182_10:                             ;   in Loop: Header=BB182_4 Depth=2
	s_or_b32 exec_lo, exec_lo, s11
	v_lshrrev_b32_e32 v0, s27, v12
	v_lshrrev_b32_e32 v1, s24, v13
	; wave barrier
	s_delay_alu instid0(VALU_DEP_1) | instskip(NEXT) | instid1(VALU_DEP_1)
	v_and_b32_e32 v1, s25, v1
	v_dual_cndmask_b32 v1, 0, v1 :: v_dual_and_b32 v0, s28, v0
	s_delay_alu instid0(VALU_DEP_1) | instskip(NEXT) | instid1(VALU_DEP_1)
	v_lshlrev_b32_e32 v0, s26, v0
	v_cndmask_b32_e64 v0, 0, v0, s10
	s_delay_alu instid0(VALU_DEP_1) | instskip(NEXT) | instid1(VALU_DEP_1)
	v_or_b32_e32 v0, v1, v0
	v_and_b32_e32 v2, 1, v0
	v_lshlrev_b32_e32 v3, 30, v0
	v_lshlrev_b32_e32 v4, 29, v0
	;; [unrolled: 1-line block ×4, first 2 shown]
	v_add_co_u32 v2, s11, v2, -1
	s_delay_alu instid0(VALU_DEP_1)
	v_cndmask_b32_e64 v6, 0, 1, s11
	v_not_b32_e32 v52, v3
	v_cmp_gt_i32_e64 s12, 0, v3
	v_not_b32_e32 v3, v4
	v_lshlrev_b32_e32 v50, 26, v0
	v_cmp_ne_u32_e64 s11, 0, v6
	v_ashrrev_i32_e32 v6, 31, v52
	v_lshlrev_b32_e32 v51, 25, v0
	v_ashrrev_i32_e32 v3, 31, v3
	v_mul_lo_u32 v1, v0, 10
	v_xor_b32_e32 v2, s11, v2
	v_cmp_gt_i32_e64 s11, 0, v4
	v_not_b32_e32 v4, v5
	v_xor_b32_e32 v6, s12, v6
	v_cmp_gt_i32_e64 s12, 0, v5
	v_and_b32_e32 v2, exec_lo, v2
	v_not_b32_e32 v5, v7
	v_ashrrev_i32_e32 v4, 31, v4
	v_xor_b32_e32 v3, s11, v3
	v_cmp_gt_i32_e64 s11, 0, v7
	v_and_b32_e32 v2, v2, v6
	v_not_b32_e32 v6, v50
	v_ashrrev_i32_e32 v5, 31, v5
	v_xor_b32_e32 v4, s12, v4
	v_lshlrev_b32_e32 v0, 24, v0
	v_and_b32_e32 v2, v2, v3
	v_cmp_gt_i32_e64 s12, 0, v50
	v_not_b32_e32 v3, v51
	v_ashrrev_i32_e32 v6, 31, v6
	v_xor_b32_e32 v5, s11, v5
	v_and_b32_e32 v2, v2, v4
	v_cmp_gt_i32_e64 s11, 0, v51
	v_not_b32_e32 v4, v0
	v_ashrrev_i32_e32 v3, 31, v3
	v_xor_b32_e32 v6, s12, v6
	v_and_b32_e32 v2, v2, v5
	v_cmp_gt_i32_e64 s12, 0, v0
	v_ashrrev_i32_e32 v0, 31, v4
	v_xor_b32_e32 v3, s11, v3
	v_add_lshl_u32 v1, v1, v9, 2
	v_and_b32_e32 v2, v2, v6
	s_delay_alu instid0(VALU_DEP_4) | instskip(SKIP_3) | instid1(VALU_DEP_2)
	v_xor_b32_e32 v0, s12, v0
	ds_load_b32 v50, v1 offset:40
	v_and_b32_e32 v2, v2, v3
	v_add_nc_u32_e32 v52, 40, v1
	; wave barrier
	v_and_b32_e32 v0, v2, v0
	s_delay_alu instid0(VALU_DEP_1) | instskip(SKIP_1) | instid1(VALU_DEP_2)
	v_mbcnt_lo_u32_b32 v51, v0, 0
	v_cmp_ne_u32_e64 s12, 0, v0
	v_cmp_eq_u32_e64 s11, 0, v51
	s_delay_alu instid0(VALU_DEP_1) | instskip(NEXT) | instid1(SALU_CYCLE_1)
	s_and_b32 s12, s11, s12
	s_and_saveexec_b32 s11, s12
	s_cbranch_execz .LBB182_12
; %bb.11:                               ;   in Loop: Header=BB182_4 Depth=2
	s_waitcnt lgkmcnt(0)
	v_bcnt_u32_b32 v0, v0, v50
	ds_store_b32 v52, v0
.LBB182_12:                             ;   in Loop: Header=BB182_4 Depth=2
	s_or_b32 exec_lo, exec_lo, s11
	v_lshrrev_b32_e32 v0, s27, v24
	v_lshrrev_b32_e32 v1, s24, v25
	; wave barrier
	s_delay_alu instid0(VALU_DEP_1) | instskip(NEXT) | instid1(VALU_DEP_1)
	v_and_b32_e32 v1, s25, v1
	v_dual_cndmask_b32 v1, 0, v1 :: v_dual_and_b32 v0, s28, v0
	s_delay_alu instid0(VALU_DEP_1) | instskip(NEXT) | instid1(VALU_DEP_1)
	v_lshlrev_b32_e32 v0, s26, v0
	v_cndmask_b32_e64 v0, 0, v0, s10
	s_delay_alu instid0(VALU_DEP_1) | instskip(NEXT) | instid1(VALU_DEP_1)
	v_or_b32_e32 v0, v1, v0
	v_and_b32_e32 v2, 1, v0
	v_lshlrev_b32_e32 v3, 30, v0
	v_lshlrev_b32_e32 v4, 29, v0
	;; [unrolled: 1-line block ×4, first 2 shown]
	v_add_co_u32 v2, s11, v2, -1
	s_delay_alu instid0(VALU_DEP_1)
	v_cndmask_b32_e64 v6, 0, 1, s11
	v_not_b32_e32 v55, v3
	v_cmp_gt_i32_e64 s12, 0, v3
	v_not_b32_e32 v3, v4
	v_lshlrev_b32_e32 v53, 26, v0
	v_cmp_ne_u32_e64 s11, 0, v6
	v_ashrrev_i32_e32 v6, 31, v55
	v_lshlrev_b32_e32 v54, 25, v0
	v_ashrrev_i32_e32 v3, 31, v3
	v_mul_lo_u32 v1, v0, 10
	v_xor_b32_e32 v2, s11, v2
	v_cmp_gt_i32_e64 s11, 0, v4
	v_not_b32_e32 v4, v5
	v_xor_b32_e32 v6, s12, v6
	v_cmp_gt_i32_e64 s12, 0, v5
	v_and_b32_e32 v2, exec_lo, v2
	v_not_b32_e32 v5, v7
	v_ashrrev_i32_e32 v4, 31, v4
	v_xor_b32_e32 v3, s11, v3
	v_cmp_gt_i32_e64 s11, 0, v7
	v_and_b32_e32 v2, v2, v6
	v_not_b32_e32 v6, v53
	v_ashrrev_i32_e32 v5, 31, v5
	v_xor_b32_e32 v4, s12, v4
	v_lshlrev_b32_e32 v0, 24, v0
	v_and_b32_e32 v2, v2, v3
	v_cmp_gt_i32_e64 s12, 0, v53
	v_not_b32_e32 v3, v54
	v_ashrrev_i32_e32 v6, 31, v6
	v_xor_b32_e32 v5, s11, v5
	v_and_b32_e32 v2, v2, v4
	v_cmp_gt_i32_e64 s11, 0, v54
	v_not_b32_e32 v4, v0
	v_ashrrev_i32_e32 v3, 31, v3
	v_xor_b32_e32 v6, s12, v6
	v_and_b32_e32 v2, v2, v5
	v_cmp_gt_i32_e64 s12, 0, v0
	v_ashrrev_i32_e32 v0, 31, v4
	v_xor_b32_e32 v3, s11, v3
	v_add_lshl_u32 v1, v1, v9, 2
	v_and_b32_e32 v2, v2, v6
	s_delay_alu instid0(VALU_DEP_4) | instskip(SKIP_3) | instid1(VALU_DEP_2)
	v_xor_b32_e32 v0, s12, v0
	ds_load_b32 v53, v1 offset:40
	v_and_b32_e32 v2, v2, v3
	v_add_nc_u32_e32 v55, 40, v1
	; wave barrier
	v_and_b32_e32 v0, v2, v0
	s_delay_alu instid0(VALU_DEP_1) | instskip(SKIP_1) | instid1(VALU_DEP_2)
	v_mbcnt_lo_u32_b32 v54, v0, 0
	v_cmp_ne_u32_e64 s12, 0, v0
	v_cmp_eq_u32_e64 s11, 0, v54
	s_delay_alu instid0(VALU_DEP_1) | instskip(NEXT) | instid1(SALU_CYCLE_1)
	s_and_b32 s12, s11, s12
	s_and_saveexec_b32 s11, s12
	s_cbranch_execz .LBB182_14
; %bb.13:                               ;   in Loop: Header=BB182_4 Depth=2
	s_waitcnt lgkmcnt(0)
	v_bcnt_u32_b32 v0, v0, v53
	ds_store_b32 v55, v0
.LBB182_14:                             ;   in Loop: Header=BB182_4 Depth=2
	s_or_b32 exec_lo, exec_lo, s11
	v_lshrrev_b32_e32 v0, s27, v22
	v_lshrrev_b32_e32 v1, s24, v23
	; wave barrier
	s_delay_alu instid0(VALU_DEP_1) | instskip(NEXT) | instid1(VALU_DEP_1)
	v_and_b32_e32 v1, s25, v1
	v_dual_cndmask_b32 v1, 0, v1 :: v_dual_and_b32 v0, s28, v0
	s_delay_alu instid0(VALU_DEP_1) | instskip(NEXT) | instid1(VALU_DEP_1)
	v_lshlrev_b32_e32 v0, s26, v0
	v_cndmask_b32_e64 v0, 0, v0, s10
	s_delay_alu instid0(VALU_DEP_1) | instskip(NEXT) | instid1(VALU_DEP_1)
	v_or_b32_e32 v0, v1, v0
	v_and_b32_e32 v2, 1, v0
	v_lshlrev_b32_e32 v3, 30, v0
	v_lshlrev_b32_e32 v4, 29, v0
	;; [unrolled: 1-line block ×4, first 2 shown]
	v_add_co_u32 v2, s11, v2, -1
	s_delay_alu instid0(VALU_DEP_1)
	v_cndmask_b32_e64 v6, 0, 1, s11
	v_not_b32_e32 v58, v3
	v_cmp_gt_i32_e64 s12, 0, v3
	v_not_b32_e32 v3, v4
	v_lshlrev_b32_e32 v56, 26, v0
	v_cmp_ne_u32_e64 s11, 0, v6
	v_ashrrev_i32_e32 v6, 31, v58
	v_lshlrev_b32_e32 v57, 25, v0
	v_ashrrev_i32_e32 v3, 31, v3
	v_mul_lo_u32 v1, v0, 10
	v_xor_b32_e32 v2, s11, v2
	v_cmp_gt_i32_e64 s11, 0, v4
	v_not_b32_e32 v4, v5
	v_xor_b32_e32 v6, s12, v6
	v_cmp_gt_i32_e64 s12, 0, v5
	v_and_b32_e32 v2, exec_lo, v2
	v_not_b32_e32 v5, v7
	v_ashrrev_i32_e32 v4, 31, v4
	v_xor_b32_e32 v3, s11, v3
	v_cmp_gt_i32_e64 s11, 0, v7
	v_and_b32_e32 v2, v2, v6
	v_not_b32_e32 v6, v56
	v_ashrrev_i32_e32 v5, 31, v5
	v_xor_b32_e32 v4, s12, v4
	v_lshlrev_b32_e32 v0, 24, v0
	v_and_b32_e32 v2, v2, v3
	v_cmp_gt_i32_e64 s12, 0, v56
	v_not_b32_e32 v3, v57
	v_ashrrev_i32_e32 v6, 31, v6
	v_xor_b32_e32 v5, s11, v5
	v_and_b32_e32 v2, v2, v4
	v_cmp_gt_i32_e64 s11, 0, v57
	v_not_b32_e32 v4, v0
	v_ashrrev_i32_e32 v3, 31, v3
	v_xor_b32_e32 v6, s12, v6
	v_and_b32_e32 v2, v2, v5
	v_cmp_gt_i32_e64 s12, 0, v0
	v_ashrrev_i32_e32 v0, 31, v4
	v_xor_b32_e32 v3, s11, v3
	v_add_lshl_u32 v1, v1, v9, 2
	v_and_b32_e32 v2, v2, v6
	s_delay_alu instid0(VALU_DEP_4) | instskip(SKIP_3) | instid1(VALU_DEP_2)
	v_xor_b32_e32 v0, s12, v0
	ds_load_b32 v56, v1 offset:40
	v_and_b32_e32 v2, v2, v3
	v_add_nc_u32_e32 v58, 40, v1
	; wave barrier
	v_and_b32_e32 v0, v2, v0
	s_delay_alu instid0(VALU_DEP_1) | instskip(SKIP_1) | instid1(VALU_DEP_2)
	v_mbcnt_lo_u32_b32 v57, v0, 0
	v_cmp_ne_u32_e64 s12, 0, v0
	v_cmp_eq_u32_e64 s11, 0, v57
	s_delay_alu instid0(VALU_DEP_1) | instskip(NEXT) | instid1(SALU_CYCLE_1)
	s_and_b32 s12, s11, s12
	s_and_saveexec_b32 s11, s12
	s_cbranch_execz .LBB182_16
; %bb.15:                               ;   in Loop: Header=BB182_4 Depth=2
	s_waitcnt lgkmcnt(0)
	v_bcnt_u32_b32 v0, v0, v56
	ds_store_b32 v58, v0
.LBB182_16:                             ;   in Loop: Header=BB182_4 Depth=2
	s_or_b32 exec_lo, exec_lo, s11
	v_lshrrev_b32_e32 v0, s27, v20
	v_lshrrev_b32_e32 v1, s24, v21
	; wave barrier
	s_delay_alu instid0(VALU_DEP_1) | instskip(NEXT) | instid1(VALU_DEP_1)
	v_and_b32_e32 v1, s25, v1
	v_dual_cndmask_b32 v1, 0, v1 :: v_dual_and_b32 v0, s28, v0
	s_delay_alu instid0(VALU_DEP_1) | instskip(NEXT) | instid1(VALU_DEP_1)
	v_lshlrev_b32_e32 v0, s26, v0
	v_cndmask_b32_e64 v0, 0, v0, s10
	s_delay_alu instid0(VALU_DEP_1) | instskip(NEXT) | instid1(VALU_DEP_1)
	v_or_b32_e32 v0, v1, v0
	v_and_b32_e32 v2, 1, v0
	v_lshlrev_b32_e32 v3, 30, v0
	v_lshlrev_b32_e32 v4, 29, v0
	v_lshlrev_b32_e32 v5, 28, v0
	v_lshlrev_b32_e32 v7, 27, v0
	v_add_co_u32 v2, s11, v2, -1
	s_delay_alu instid0(VALU_DEP_1)
	v_cndmask_b32_e64 v6, 0, 1, s11
	v_not_b32_e32 v61, v3
	v_cmp_gt_i32_e64 s12, 0, v3
	v_not_b32_e32 v3, v4
	v_lshlrev_b32_e32 v59, 26, v0
	v_cmp_ne_u32_e64 s11, 0, v6
	v_ashrrev_i32_e32 v6, 31, v61
	v_lshlrev_b32_e32 v60, 25, v0
	v_ashrrev_i32_e32 v3, 31, v3
	v_mul_lo_u32 v1, v0, 10
	v_xor_b32_e32 v2, s11, v2
	v_cmp_gt_i32_e64 s11, 0, v4
	v_not_b32_e32 v4, v5
	v_xor_b32_e32 v6, s12, v6
	v_cmp_gt_i32_e64 s12, 0, v5
	v_and_b32_e32 v2, exec_lo, v2
	v_not_b32_e32 v5, v7
	v_ashrrev_i32_e32 v4, 31, v4
	v_xor_b32_e32 v3, s11, v3
	v_cmp_gt_i32_e64 s11, 0, v7
	v_and_b32_e32 v2, v2, v6
	v_not_b32_e32 v6, v59
	v_ashrrev_i32_e32 v5, 31, v5
	v_xor_b32_e32 v4, s12, v4
	v_lshlrev_b32_e32 v0, 24, v0
	v_and_b32_e32 v2, v2, v3
	v_cmp_gt_i32_e64 s12, 0, v59
	v_not_b32_e32 v3, v60
	v_ashrrev_i32_e32 v6, 31, v6
	v_xor_b32_e32 v5, s11, v5
	v_and_b32_e32 v2, v2, v4
	v_cmp_gt_i32_e64 s11, 0, v60
	v_not_b32_e32 v4, v0
	v_ashrrev_i32_e32 v3, 31, v3
	v_xor_b32_e32 v6, s12, v6
	v_and_b32_e32 v2, v2, v5
	v_cmp_gt_i32_e64 s12, 0, v0
	v_ashrrev_i32_e32 v0, 31, v4
	v_xor_b32_e32 v3, s11, v3
	v_add_lshl_u32 v1, v1, v9, 2
	v_and_b32_e32 v2, v2, v6
	s_delay_alu instid0(VALU_DEP_4) | instskip(SKIP_3) | instid1(VALU_DEP_2)
	v_xor_b32_e32 v0, s12, v0
	ds_load_b32 v59, v1 offset:40
	v_and_b32_e32 v2, v2, v3
	v_add_nc_u32_e32 v61, 40, v1
	; wave barrier
	v_and_b32_e32 v0, v2, v0
	s_delay_alu instid0(VALU_DEP_1) | instskip(SKIP_1) | instid1(VALU_DEP_2)
	v_mbcnt_lo_u32_b32 v60, v0, 0
	v_cmp_ne_u32_e64 s12, 0, v0
	v_cmp_eq_u32_e64 s11, 0, v60
	s_delay_alu instid0(VALU_DEP_1) | instskip(NEXT) | instid1(SALU_CYCLE_1)
	s_and_b32 s12, s11, s12
	s_and_saveexec_b32 s11, s12
	s_cbranch_execz .LBB182_18
; %bb.17:                               ;   in Loop: Header=BB182_4 Depth=2
	s_waitcnt lgkmcnt(0)
	v_bcnt_u32_b32 v0, v0, v59
	ds_store_b32 v61, v0
.LBB182_18:                             ;   in Loop: Header=BB182_4 Depth=2
	s_or_b32 exec_lo, exec_lo, s11
	v_lshrrev_b32_e32 v0, s27, v18
	v_lshrrev_b32_e32 v1, s24, v19
	; wave barrier
	s_delay_alu instid0(VALU_DEP_1) | instskip(NEXT) | instid1(VALU_DEP_1)
	v_and_b32_e32 v1, s25, v1
	v_dual_cndmask_b32 v1, 0, v1 :: v_dual_and_b32 v0, s28, v0
	s_delay_alu instid0(VALU_DEP_1) | instskip(NEXT) | instid1(VALU_DEP_1)
	v_lshlrev_b32_e32 v0, s26, v0
	v_cndmask_b32_e64 v0, 0, v0, s10
	s_delay_alu instid0(VALU_DEP_1) | instskip(NEXT) | instid1(VALU_DEP_1)
	v_or_b32_e32 v0, v1, v0
	v_and_b32_e32 v2, 1, v0
	v_lshlrev_b32_e32 v3, 30, v0
	v_lshlrev_b32_e32 v4, 29, v0
	v_lshlrev_b32_e32 v5, 28, v0
	v_lshlrev_b32_e32 v7, 27, v0
	v_add_co_u32 v2, s10, v2, -1
	s_delay_alu instid0(VALU_DEP_1)
	v_cndmask_b32_e64 v6, 0, 1, s10
	v_not_b32_e32 v64, v3
	v_cmp_gt_i32_e64 s10, 0, v3
	v_not_b32_e32 v3, v4
	v_lshlrev_b32_e32 v62, 26, v0
	v_cmp_ne_u32_e32 vcc_lo, 0, v6
	v_ashrrev_i32_e32 v6, 31, v64
	v_lshlrev_b32_e32 v63, 25, v0
	v_ashrrev_i32_e32 v3, 31, v3
	v_mul_lo_u32 v1, v0, 10
	v_xor_b32_e32 v2, vcc_lo, v2
	v_cmp_gt_i32_e32 vcc_lo, 0, v4
	v_not_b32_e32 v4, v5
	v_xor_b32_e32 v6, s10, v6
	v_cmp_gt_i32_e64 s10, 0, v5
	v_and_b32_e32 v2, exec_lo, v2
	v_not_b32_e32 v5, v7
	v_ashrrev_i32_e32 v4, 31, v4
	v_xor_b32_e32 v3, vcc_lo, v3
	v_cmp_gt_i32_e32 vcc_lo, 0, v7
	v_and_b32_e32 v2, v2, v6
	v_not_b32_e32 v6, v62
	v_ashrrev_i32_e32 v5, 31, v5
	v_xor_b32_e32 v4, s10, v4
	v_lshlrev_b32_e32 v0, 24, v0
	v_and_b32_e32 v2, v2, v3
	v_cmp_gt_i32_e64 s10, 0, v62
	v_not_b32_e32 v3, v63
	v_ashrrev_i32_e32 v6, 31, v6
	v_xor_b32_e32 v5, vcc_lo, v5
	v_and_b32_e32 v2, v2, v4
	v_cmp_gt_i32_e32 vcc_lo, 0, v63
	v_not_b32_e32 v4, v0
	v_ashrrev_i32_e32 v3, 31, v3
	v_xor_b32_e32 v6, s10, v6
	v_and_b32_e32 v2, v2, v5
	v_cmp_gt_i32_e64 s10, 0, v0
	v_ashrrev_i32_e32 v0, 31, v4
	v_xor_b32_e32 v3, vcc_lo, v3
	v_add_lshl_u32 v1, v1, v9, 2
	v_and_b32_e32 v2, v2, v6
	s_delay_alu instid0(VALU_DEP_4) | instskip(SKIP_3) | instid1(VALU_DEP_2)
	v_xor_b32_e32 v0, s10, v0
	ds_load_b32 v62, v1 offset:40
	v_and_b32_e32 v2, v2, v3
	v_add_nc_u32_e32 v64, 40, v1
	; wave barrier
	v_and_b32_e32 v0, v2, v0
	s_delay_alu instid0(VALU_DEP_1) | instskip(SKIP_1) | instid1(VALU_DEP_2)
	v_mbcnt_lo_u32_b32 v63, v0, 0
	v_cmp_ne_u32_e64 s10, 0, v0
	v_cmp_eq_u32_e32 vcc_lo, 0, v63
	s_delay_alu instid0(VALU_DEP_2) | instskip(NEXT) | instid1(SALU_CYCLE_1)
	s_and_b32 s11, vcc_lo, s10
	s_and_saveexec_b32 s10, s11
	s_cbranch_execz .LBB182_20
; %bb.19:                               ;   in Loop: Header=BB182_4 Depth=2
	s_waitcnt lgkmcnt(0)
	v_bcnt_u32_b32 v0, v0, v62
	ds_store_b32 v64, v0
.LBB182_20:                             ;   in Loop: Header=BB182_4 Depth=2
	s_or_b32 exec_lo, exec_lo, s10
	; wave barrier
	s_waitcnt lgkmcnt(0)
	s_barrier
	buffer_gl0_inv
	ds_load_2addr_b64 v[4:7], v40 offset0:5 offset1:6
	ds_load_2addr_b64 v[0:3], v44 offset0:2 offset1:3
	s_waitcnt lgkmcnt(1)
	v_add_nc_u32_e32 v65, v5, v4
	s_delay_alu instid0(VALU_DEP_1) | instskip(SKIP_1) | instid1(VALU_DEP_1)
	v_add3_u32 v65, v65, v6, v7
	s_waitcnt lgkmcnt(0)
	v_add3_u32 v65, v65, v0, v1
	s_delay_alu instid0(VALU_DEP_1) | instskip(NEXT) | instid1(VALU_DEP_1)
	v_add3_u32 v3, v65, v2, v3
	v_mov_b32_dpp v65, v3 row_shr:1 row_mask:0xf bank_mask:0xf
	s_delay_alu instid0(VALU_DEP_1) | instskip(NEXT) | instid1(VALU_DEP_1)
	v_cndmask_b32_e64 v65, v65, 0, s0
	v_add_nc_u32_e32 v3, v65, v3
	s_delay_alu instid0(VALU_DEP_1) | instskip(NEXT) | instid1(VALU_DEP_1)
	v_mov_b32_dpp v65, v3 row_shr:2 row_mask:0xf bank_mask:0xf
	v_cndmask_b32_e64 v65, 0, v65, s1
	s_delay_alu instid0(VALU_DEP_1) | instskip(NEXT) | instid1(VALU_DEP_1)
	v_add_nc_u32_e32 v3, v3, v65
	v_mov_b32_dpp v65, v3 row_shr:4 row_mask:0xf bank_mask:0xf
	s_delay_alu instid0(VALU_DEP_1) | instskip(NEXT) | instid1(VALU_DEP_1)
	v_cndmask_b32_e64 v65, 0, v65, s2
	v_add_nc_u32_e32 v3, v3, v65
	s_delay_alu instid0(VALU_DEP_1) | instskip(NEXT) | instid1(VALU_DEP_1)
	v_mov_b32_dpp v65, v3 row_shr:8 row_mask:0xf bank_mask:0xf
	v_cndmask_b32_e64 v65, 0, v65, s3
	s_delay_alu instid0(VALU_DEP_1) | instskip(SKIP_3) | instid1(VALU_DEP_1)
	v_add_nc_u32_e32 v3, v3, v65
	ds_swizzle_b32 v65, v3 offset:swizzle(BROADCAST,32,15)
	s_waitcnt lgkmcnt(0)
	v_cndmask_b32_e64 v65, v65, 0, s4
	v_add_nc_u32_e32 v3, v3, v65
	s_and_saveexec_b32 s10, s5
	s_cbranch_execz .LBB182_22
; %bb.21:                               ;   in Loop: Header=BB182_4 Depth=2
	ds_store_b32 v46, v3
.LBB182_22:                             ;   in Loop: Header=BB182_4 Depth=2
	s_or_b32 exec_lo, exec_lo, s10
	s_waitcnt lgkmcnt(0)
	s_barrier
	buffer_gl0_inv
	s_and_saveexec_b32 s10, s6
	s_cbranch_execz .LBB182_24
; %bb.23:                               ;   in Loop: Header=BB182_4 Depth=2
	ds_load_b32 v65, v49
	s_waitcnt lgkmcnt(0)
	v_mov_b32_dpp v66, v65 row_shr:1 row_mask:0xf bank_mask:0xf
	s_delay_alu instid0(VALU_DEP_1) | instskip(NEXT) | instid1(VALU_DEP_1)
	v_cndmask_b32_e64 v66, v66, 0, s0
	v_add_nc_u32_e32 v65, v66, v65
	s_delay_alu instid0(VALU_DEP_1) | instskip(NEXT) | instid1(VALU_DEP_1)
	v_mov_b32_dpp v66, v65 row_shr:2 row_mask:0xf bank_mask:0xf
	v_cndmask_b32_e64 v66, 0, v66, s1
	s_delay_alu instid0(VALU_DEP_1) | instskip(NEXT) | instid1(VALU_DEP_1)
	v_add_nc_u32_e32 v65, v65, v66
	v_mov_b32_dpp v66, v65 row_shr:4 row_mask:0xf bank_mask:0xf
	s_delay_alu instid0(VALU_DEP_1) | instskip(NEXT) | instid1(VALU_DEP_1)
	v_cndmask_b32_e64 v66, 0, v66, s2
	v_add_nc_u32_e32 v65, v65, v66
	s_delay_alu instid0(VALU_DEP_1) | instskip(NEXT) | instid1(VALU_DEP_1)
	v_mov_b32_dpp v66, v65 row_shr:8 row_mask:0xf bank_mask:0xf
	v_cndmask_b32_e64 v66, 0, v66, s3
	s_delay_alu instid0(VALU_DEP_1)
	v_add_nc_u32_e32 v65, v65, v66
	ds_store_b32 v49, v65
.LBB182_24:                             ;   in Loop: Header=BB182_4 Depth=2
	s_or_b32 exec_lo, exec_lo, s10
	v_mov_b32_e32 v65, 0
	s_waitcnt lgkmcnt(0)
	s_barrier
	buffer_gl0_inv
	s_and_saveexec_b32 s10, s7
	s_cbranch_execz .LBB182_26
; %bb.25:                               ;   in Loop: Header=BB182_4 Depth=2
	ds_load_b32 v65, v47
.LBB182_26:                             ;   in Loop: Header=BB182_4 Depth=2
	s_or_b32 exec_lo, exec_lo, s10
	s_waitcnt lgkmcnt(0)
	v_add_nc_u32_e32 v3, v65, v3
	s_cmp_gt_u32 s24, 55
	ds_bpermute_b32 v3, v45, v3
	s_waitcnt lgkmcnt(0)
	v_cndmask_b32_e64 v3, v3, v65, s8
	s_delay_alu instid0(VALU_DEP_1) | instskip(NEXT) | instid1(VALU_DEP_1)
	v_cndmask_b32_e64 v3, v3, 0, s9
	v_add_nc_u32_e32 v4, v3, v4
	s_delay_alu instid0(VALU_DEP_1) | instskip(NEXT) | instid1(VALU_DEP_1)
	v_add_nc_u32_e32 v5, v4, v5
	v_add_nc_u32_e32 v6, v5, v6
	s_delay_alu instid0(VALU_DEP_1) | instskip(NEXT) | instid1(VALU_DEP_1)
	v_add_nc_u32_e32 v65, v6, v7
	v_add_nc_u32_e32 v66, v65, v0
	s_delay_alu instid0(VALU_DEP_1) | instskip(NEXT) | instid1(VALU_DEP_1)
	v_add_nc_u32_e32 v0, v66, v1
	v_add_nc_u32_e32 v1, v0, v2
	ds_store_2addr_b64 v40, v[3:4], v[5:6] offset0:5 offset1:6
	ds_store_2addr_b64 v44, v[65:66], v[0:1] offset0:2 offset1:3
	s_waitcnt lgkmcnt(0)
	s_barrier
	buffer_gl0_inv
	ds_load_b32 v0, v27
	ds_load_b32 v1, v30
	;; [unrolled: 1-line block ×8, first 2 shown]
	s_waitcnt lgkmcnt(0)
	v_add_nc_u32_e32 v0, v0, v26
	v_add3_u32 v1, v29, v28, v1
	v_add3_u32 v2, v32, v31, v2
	;; [unrolled: 1-line block ×7, first 2 shown]
	v_lshrrev_b32_e32 v26, 2, v0
	v_lshrrev_b32_e32 v27, 2, v1
	;; [unrolled: 1-line block ×8, first 2 shown]
	v_and_b32_e32 v26, 0x3ffffff8, v26
	v_and_b32_e32 v27, 0x3ffffff8, v27
	;; [unrolled: 1-line block ×8, first 2 shown]
	v_lshl_add_u32 v50, v0, 3, v26
	v_lshl_add_u32 v51, v1, 3, v27
	;; [unrolled: 1-line block ×8, first 2 shown]
	s_cbranch_scc0 .LBB182_3
; %bb.27:                               ;   in Loop: Header=BB182_2 Depth=1
                                        ; implicit-def: $sgpr24
                                        ; implicit-def: $vgpr32_vgpr33
                                        ; implicit-def: $vgpr0_vgpr1
                                        ; implicit-def: $vgpr2_vgpr3
                                        ; implicit-def: $vgpr6_vgpr7
                                        ; implicit-def: $vgpr4_vgpr5
                                        ; implicit-def: $vgpr26_vgpr27
                                        ; implicit-def: $vgpr28_vgpr29
                                        ; implicit-def: $vgpr30_vgpr31
                                        ; implicit-def: $sgpr23
                                        ; implicit-def: $sgpr22
	s_branch .LBB182_1
.LBB182_28:
	v_lshlrev_b32_e32 v0, 3, v8
	s_add_u32 s0, s18, s14
	s_addc_u32 s1, s19, s15
	s_delay_alu instid0(VALU_DEP_1) | instskip(NEXT) | instid1(VALU_DEP_1)
	v_add_co_u32 v9, s2, s0, v0
	v_add_co_ci_u32_e64 v25, null, s1, 0, s2
	s_delay_alu instid0(VALU_DEP_2) | instskip(NEXT) | instid1(VALU_DEP_2)
	v_add_co_u32 v7, vcc_lo, 0x1000, v9
	v_add_co_ci_u32_e32 v8, vcc_lo, 0, v25, vcc_lo
	v_add_co_u32 v20, vcc_lo, 0x2000, v9
	v_add_co_ci_u32_e32 v21, vcc_lo, 0, v25, vcc_lo
	;; [unrolled: 2-line block ×4, first 2 shown]
	s_clause 0x7
	global_store_b64 v0, v[1:2], s[0:1]
	global_store_b64 v0, v[3:4], s[0:1] offset:2560
	global_store_b64 v[7:8], v[5:6], off offset:1024
	global_store_b64 v[7:8], v[10:11], off offset:3584
	;; [unrolled: 1-line block ×6, first 2 shown]
	s_nop 0
	s_sendmsg sendmsg(MSG_DEALLOC_VGPRS)
	s_endpgm
	.section	.rodata,"a",@progbits
	.p2align	6, 0x0
	.amdhsa_kernel _Z16sort_keys_kernelI22helper_blocked_blockedN15benchmark_utils11custom_typeIiiEELj320ELj8ELj10EEvPKT0_PS4_
		.amdhsa_group_segment_fixed_size 21120
		.amdhsa_private_segment_fixed_size 0
		.amdhsa_kernarg_size 272
		.amdhsa_user_sgpr_count 15
		.amdhsa_user_sgpr_dispatch_ptr 0
		.amdhsa_user_sgpr_queue_ptr 0
		.amdhsa_user_sgpr_kernarg_segment_ptr 1
		.amdhsa_user_sgpr_dispatch_id 0
		.amdhsa_user_sgpr_private_segment_size 0
		.amdhsa_wavefront_size32 1
		.amdhsa_uses_dynamic_stack 0
		.amdhsa_enable_private_segment 0
		.amdhsa_system_sgpr_workgroup_id_x 1
		.amdhsa_system_sgpr_workgroup_id_y 0
		.amdhsa_system_sgpr_workgroup_id_z 0
		.amdhsa_system_sgpr_workgroup_info 0
		.amdhsa_system_vgpr_workitem_id 2
		.amdhsa_next_free_vgpr 67
		.amdhsa_next_free_sgpr 29
		.amdhsa_reserve_vcc 1
		.amdhsa_float_round_mode_32 0
		.amdhsa_float_round_mode_16_64 0
		.amdhsa_float_denorm_mode_32 3
		.amdhsa_float_denorm_mode_16_64 3
		.amdhsa_dx10_clamp 1
		.amdhsa_ieee_mode 1
		.amdhsa_fp16_overflow 0
		.amdhsa_workgroup_processor_mode 1
		.amdhsa_memory_ordered 1
		.amdhsa_forward_progress 0
		.amdhsa_shared_vgpr_count 0
		.amdhsa_exception_fp_ieee_invalid_op 0
		.amdhsa_exception_fp_denorm_src 0
		.amdhsa_exception_fp_ieee_div_zero 0
		.amdhsa_exception_fp_ieee_overflow 0
		.amdhsa_exception_fp_ieee_underflow 0
		.amdhsa_exception_fp_ieee_inexact 0
		.amdhsa_exception_int_div_zero 0
	.end_amdhsa_kernel
	.section	.text._Z16sort_keys_kernelI22helper_blocked_blockedN15benchmark_utils11custom_typeIiiEELj320ELj8ELj10EEvPKT0_PS4_,"axG",@progbits,_Z16sort_keys_kernelI22helper_blocked_blockedN15benchmark_utils11custom_typeIiiEELj320ELj8ELj10EEvPKT0_PS4_,comdat
.Lfunc_end182:
	.size	_Z16sort_keys_kernelI22helper_blocked_blockedN15benchmark_utils11custom_typeIiiEELj320ELj8ELj10EEvPKT0_PS4_, .Lfunc_end182-_Z16sort_keys_kernelI22helper_blocked_blockedN15benchmark_utils11custom_typeIiiEELj320ELj8ELj10EEvPKT0_PS4_
                                        ; -- End function
	.section	.AMDGPU.csdata,"",@progbits
; Kernel info:
; codeLenInByte = 5676
; NumSgprs: 31
; NumVgprs: 67
; ScratchSize: 0
; MemoryBound: 0
; FloatMode: 240
; IeeeMode: 1
; LDSByteSize: 21120 bytes/workgroup (compile time only)
; SGPRBlocks: 3
; VGPRBlocks: 8
; NumSGPRsForWavesPerEU: 31
; NumVGPRsForWavesPerEU: 67
; Occupancy: 15
; WaveLimiterHint : 1
; COMPUTE_PGM_RSRC2:SCRATCH_EN: 0
; COMPUTE_PGM_RSRC2:USER_SGPR: 15
; COMPUTE_PGM_RSRC2:TRAP_HANDLER: 0
; COMPUTE_PGM_RSRC2:TGID_X_EN: 1
; COMPUTE_PGM_RSRC2:TGID_Y_EN: 0
; COMPUTE_PGM_RSRC2:TGID_Z_EN: 0
; COMPUTE_PGM_RSRC2:TIDIG_COMP_CNT: 2
	.section	.text._Z17sort_pairs_kernelI22helper_blocked_blockedN15benchmark_utils11custom_typeIiiEELj320ELj8ELj10EEvPKT0_PS4_,"axG",@progbits,_Z17sort_pairs_kernelI22helper_blocked_blockedN15benchmark_utils11custom_typeIiiEELj320ELj8ELj10EEvPKT0_PS4_,comdat
	.protected	_Z17sort_pairs_kernelI22helper_blocked_blockedN15benchmark_utils11custom_typeIiiEELj320ELj8ELj10EEvPKT0_PS4_ ; -- Begin function _Z17sort_pairs_kernelI22helper_blocked_blockedN15benchmark_utils11custom_typeIiiEELj320ELj8ELj10EEvPKT0_PS4_
	.globl	_Z17sort_pairs_kernelI22helper_blocked_blockedN15benchmark_utils11custom_typeIiiEELj320ELj8ELj10EEvPKT0_PS4_
	.p2align	8
	.type	_Z17sort_pairs_kernelI22helper_blocked_blockedN15benchmark_utils11custom_typeIiiEELj320ELj8ELj10EEvPKT0_PS4_,@function
_Z17sort_pairs_kernelI22helper_blocked_blockedN15benchmark_utils11custom_typeIiiEELj320ELj8ELj10EEvPKT0_PS4_: ; @_Z17sort_pairs_kernelI22helper_blocked_blockedN15benchmark_utils11custom_typeIiiEELj320ELj8ELj10EEvPKT0_PS4_
; %bb.0:
	s_clause 0x1
	s_load_b128 s[16:19], s[0:1], 0x0
	s_load_b32 s9, s[0:1], 0x1c
	v_and_b32_e32 v16, 0x3ff, v0
	s_mov_b32 s21, 0
	s_mul_i32 s20, s15, 0xa00
	s_mov_b32 s13, s21
	s_lshl_b64 s[14:15], s[20:21], 3
	v_lshlrev_b32_e32 v7, 3, v16
	s_mov_b32 s20, s21
	s_waitcnt lgkmcnt(0)
	s_add_u32 s0, s16, s14
	s_addc_u32 s1, s17, s15
	v_add_co_u32 v8, s2, s0, v7
	s_delay_alu instid0(VALU_DEP_1)
	v_add_co_ci_u32_e64 v9, null, s1, 0, s2
	global_load_b64 v[18:19], v7, s[0:1]
	v_add_co_u32 v1, vcc_lo, 0x1000, v8
	v_add_co_ci_u32_e32 v2, vcc_lo, 0, v9, vcc_lo
	v_add_co_u32 v3, vcc_lo, 0x2000, v8
	v_add_co_ci_u32_e32 v4, vcc_lo, 0, v9, vcc_lo
	;; [unrolled: 2-line block ×3, first 2 shown]
	s_clause 0x3
	global_load_b64 v[20:21], v7, s[0:1] offset:2560
	global_load_b64 v[22:23], v[1:2], off offset:1024
	global_load_b64 v[24:25], v[1:2], off offset:3584
	;; [unrolled: 1-line block ×3, first 2 shown]
	v_add_co_u32 v1, vcc_lo, 0x4000, v8
	v_add_co_ci_u32_e32 v2, vcc_lo, 0, v9, vcc_lo
	s_clause 0x2
	global_load_b64 v[30:31], v[5:6], off offset:512
	global_load_b64 v[32:33], v[5:6], off offset:3072
	;; [unrolled: 1-line block ×3, first 2 shown]
	v_mbcnt_lo_u32_b32 v1, -1, 0
	v_bfe_u32 v2, v0, 10, 10
	v_bfe_u32 v0, v0, 20, 10
	v_and_b32_e32 v9, 0xf00, v7
	s_lshr_b32 s10, s9, 16
	v_add_nc_u32_e32 v5, -1, v1
	v_and_b32_e32 v3, 15, v1
	v_and_b32_e32 v4, 16, v1
	v_cmp_eq_u32_e64 s0, 0, v1
	v_mad_u32_u24 v2, v0, s10, v2
	v_cmp_gt_i32_e32 vcc_lo, 0, v5
	v_cmp_eq_u32_e64 s1, 0, v3
	v_cmp_lt_u32_e64 s2, 1, v3
	v_cmp_lt_u32_e64 s3, 3, v3
	;; [unrolled: 1-line block ×3, first 2 shown]
	v_dual_cndmask_b32 v3, v5, v1 :: v_dual_and_b32 v6, 0x1e0, v16
	v_cmp_eq_u32_e64 s5, 0, v4
	v_lshrrev_b32_e32 v4, 3, v16
	v_lshrrev_b32_e32 v5, 2, v16
	s_delay_alu instid0(VALU_DEP_4)
	v_lshlrev_b32_e32 v68, 2, v3
	v_or_b32_e32 v8, v1, v6
	v_min_u32_e32 v6, 0x120, v6
	v_and_b32_e32 v69, 60, v4
	v_or_b32_e32 v4, v1, v9
	v_lshrrev_b32_e32 v1, 5, v9
	v_add_lshl_u32 v70, v5, v7, 3
	v_lshlrev_b32_e32 v3, 1, v8
	v_or_b32_e32 v5, 32, v9
	v_or_b32_e32 v7, 64, v9
	;; [unrolled: 1-line block ×7, first 2 shown]
	s_and_b32 s11, s9, 0xffff
	v_add_lshl_u32 v72, v1, v4, 3
	v_mad_u64_u32 v[0:1], null, v2, s11, v[16:17]
	v_lshlrev_b32_e32 v66, 5, v16
	v_mul_i32_i24_e32 v34, 0xffffffe4, v16
	v_or_b32_e32 v6, 31, v6
	v_and_b32_e32 v3, 0x3f8, v3
	v_lshrrev_b32_e32 v5, 5, v5
	v_lshrrev_b32_e32 v7, 5, v7
	;; [unrolled: 1-line block ×7, first 2 shown]
	v_cmp_gt_u32_e64 s6, 10, v16
	v_cmp_lt_u32_e64 s7, 31, v16
	v_cmp_eq_u32_e64 s8, 0, v16
	v_add_nc_u32_e32 v67, 40, v66
	v_add_nc_u32_e32 v71, -4, v69
	v_cmp_eq_u32_e64 s9, v6, v16
	v_lshl_add_u32 v73, v8, 6, v3
	v_add_lshl_u32 v74, v5, v4, 3
	v_add_lshl_u32 v75, v7, v4, 3
	;; [unrolled: 1-line block ×7, first 2 shown]
	v_lshrrev_b32_e32 v17, 5, v0
	v_add_nc_u32_e32 v81, v66, v34
	s_mov_b32 s16, s21
	s_mov_b32 s17, s21
	s_waitcnt vmcnt(7)
	v_add_nc_u32_e32 v13, 1, v19
	v_add_nc_u32_e32 v12, 1, v18
	s_waitcnt vmcnt(6)
	v_add_nc_u32_e32 v15, 1, v21
	v_add_nc_u32_e32 v14, 1, v20
	;; [unrolled: 3-line block ×8, first 2 shown]
	s_branch .LBB183_2
.LBB183_1:                              ;   in Loop: Header=BB183_2 Depth=1
	s_barrier
	buffer_gl0_inv
	ds_store_b64 v82, v[8:9]
	ds_store_b64 v83, v[32:33]
	ds_store_b64 v84, v[30:31]
	ds_store_b64 v85, v[28:29]
	ds_store_b64 v86, v[40:41]
	ds_store_b64 v87, v[38:39]
	ds_store_b64 v88, v[36:37]
	ds_store_b64 v89, v[34:35]
	s_waitcnt lgkmcnt(0)
	s_barrier
	buffer_gl0_inv
	ds_load_2addr_b64 v[28:31], v70 offset1:1
	ds_load_2addr_b64 v[32:35], v70 offset0:2 offset1:3
	ds_load_2addr_b64 v[36:39], v70 offset0:4 offset1:5
	ds_load_2addr_b64 v[40:43], v70 offset0:6 offset1:7
	s_waitcnt lgkmcnt(0)
	s_barrier
	buffer_gl0_inv
	ds_store_b64 v82, v[14:15]
	ds_store_b64 v83, v[12:13]
	;; [unrolled: 1-line block ×8, first 2 shown]
	s_waitcnt lgkmcnt(0)
	s_barrier
	buffer_gl0_inv
	ds_load_2addr_b64 v[12:15], v70 offset1:1
	ds_load_2addr_b64 v[8:11], v70 offset0:2 offset1:3
	ds_load_2addr_b64 v[4:7], v70 offset0:4 offset1:5
	;; [unrolled: 1-line block ×3, first 2 shown]
	s_add_i32 s13, s13, 1
	s_delay_alu instid0(SALU_CYCLE_1)
	s_cmp_lg_u32 s13, 10
	v_xor_b32_e32 v18, 0x80000000, v28
	v_xor_b32_e32 v19, 0x80000000, v29
	;; [unrolled: 1-line block ×16, first 2 shown]
	s_cbranch_scc0 .LBB183_28
.LBB183_2:                              ; =>This Loop Header: Depth=1
                                        ;     Child Loop BB183_4 Depth 2
	v_xor_b32_e32 v19, 0x80000000, v19
	v_xor_b32_e32 v18, 0x80000000, v18
	;; [unrolled: 1-line block ×16, first 2 shown]
	ds_store_2addr_b64 v73, v[18:19], v[20:21] offset1:1
	ds_store_2addr_b64 v73, v[22:23], v[24:25] offset0:2 offset1:3
	ds_store_2addr_b64 v73, v[26:27], v[30:31] offset0:4 offset1:5
	;; [unrolled: 1-line block ×3, first 2 shown]
	; wave barrier
	ds_load_b64 v[56:57], v72
	ds_load_b64 v[42:43], v74 offset:256
	ds_load_b64 v[44:45], v75 offset:512
	;; [unrolled: 1-line block ×7, first 2 shown]
	; wave barrier
	s_waitcnt lgkmcnt(15)
	ds_store_2addr_b64 v73, v[12:13], v[14:15] offset1:1
	s_waitcnt lgkmcnt(15)
	ds_store_2addr_b64 v73, v[8:9], v[10:11] offset0:2 offset1:3
	s_waitcnt lgkmcnt(15)
	ds_store_2addr_b64 v73, v[4:5], v[6:7] offset0:4 offset1:5
	;; [unrolled: 2-line block ×3, first 2 shown]
	; wave barrier
	ds_load_b64 v[2:3], v72
	ds_load_b64 v[4:5], v74 offset:256
	ds_load_b64 v[6:7], v75 offset:512
	;; [unrolled: 1-line block ×7, first 2 shown]
	s_mov_b32 s22, 8
	s_mov_b32 s23, 32
	;; [unrolled: 1-line block ×3, first 2 shown]
	s_waitcnt lgkmcnt(0)
	s_barrier
	s_branch .LBB183_4
.LBB183_3:                              ;   in Loop: Header=BB183_4 Depth=2
	s_barrier
	buffer_gl0_inv
	ds_store_b64 v82, v[8:9]
	ds_store_b64 v83, v[32:33]
	;; [unrolled: 1-line block ×8, first 2 shown]
	s_waitcnt lgkmcnt(0)
	s_barrier
	buffer_gl0_inv
	ds_load_b64 v[56:57], v72
	ds_load_b64 v[42:43], v74 offset:256
	ds_load_b64 v[44:45], v75 offset:512
	;; [unrolled: 1-line block ×7, first 2 shown]
	s_waitcnt lgkmcnt(0)
	s_barrier
	buffer_gl0_inv
	ds_store_b64 v82, v[14:15]
	ds_store_b64 v83, v[12:13]
	;; [unrolled: 1-line block ×8, first 2 shown]
	s_waitcnt lgkmcnt(0)
	s_barrier
	buffer_gl0_inv
	ds_load_b64 v[2:3], v72
	ds_load_b64 v[4:5], v74 offset:256
	ds_load_b64 v[6:7], v75 offset:512
	;; [unrolled: 1-line block ×7, first 2 shown]
	s_add_i32 s23, s23, -8
	s_add_i32 s22, s22, 8
	s_add_i32 s24, s24, 8
	s_waitcnt lgkmcnt(0)
	s_barrier
	s_cbranch_execz .LBB183_1
.LBB183_4:                              ;   Parent Loop BB183_2 Depth=1
                                        ; =>  This Inner Loop Header: Depth=2
	s_min_i32 s11, s22, 32
	s_cmp_lt_u32 s24, 32
	v_dual_mov_b32 v8, v56 :: v_dual_mov_b32 v9, v57
	s_cselect_b32 vcc_lo, -1, 0
	s_cmp_gt_u32 s24, 24
	v_mov_b32_e32 v32, v42
	s_cselect_b32 s10, -1, 0
	s_sub_i32 s11, s11, 32
	v_lshrrev_b32_e32 v11, s24, v9
	s_add_i32 s12, s11, s23
	v_mov_b32_e32 v30, v44
	s_lshl_b32 s12, -1, s12
	v_mov_b32_e32 v38, v50
	s_not_b32 s12, s12
	s_cmp_lg_u32 s11, s24
	v_mov_b32_e32 v36, v52
	s_cselect_b32 s25, s12, -1
	s_max_i32 s26, s23, 0
	s_max_i32 s11, s24, 32
	v_and_b32_e32 v11, s25, v11
	s_sub_i32 s12, s11, s26
	s_sub_i32 s27, s11, 32
	;; [unrolled: 1-line block ×3, first 2 shown]
	v_lshrrev_b32_e32 v10, s27, v8
	s_min_i32 s11, s12, 32
	v_mov_b32_e32 v40, v46
	s_sub_i32 s11, s11, s27
	v_mov_b32_e32 v34, v54
	s_lshl_b32 s12, -1, s11
	v_mov_b32_e32 v24, v58
	s_not_b32 s12, s12
	s_cmp_lg_u32 s11, 32
	v_mov_b32_e32 v15, v3
	s_cselect_b32 s28, s12, -1
	v_mov_b32_e32 v14, v2
	v_and_b32_e32 v10, s28, v10
	v_dual_cndmask_b32 v18, 0, v11 :: v_dual_mov_b32 v13, v5
	v_dual_mov_b32 v12, v4 :: v_dual_mov_b32 v25, v59
	s_delay_alu instid0(VALU_DEP_3)
	v_lshlrev_b32_e32 v10, s26, v10
	v_dual_mov_b32 v22, v60 :: v_dual_mov_b32 v23, v61
	buffer_gl0_inv
	v_mov_b32_e32 v33, v43
	v_cndmask_b32_e64 v19, 0, v10, s10
	v_dual_mov_b32 v11, v7 :: v_dual_mov_b32 v10, v6
	v_mov_b32_e32 v31, v45
	v_mov_b32_e32 v41, v47
	s_delay_alu instid0(VALU_DEP_4) | instskip(SKIP_3) | instid1(VALU_DEP_4)
	v_or_b32_e32 v7, v18, v19
	v_mov_b32_e32 v20, v62
	v_dual_mov_b32 v18, v64 :: v_dual_mov_b32 v21, v63
	v_mov_b32_e32 v19, v65
	v_lshlrev_b32_e32 v5, 28, v7
	v_and_b32_e32 v2, 1, v7
	v_lshlrev_b32_e32 v3, 30, v7
	v_lshlrev_b32_e32 v4, 29, v7
	;; [unrolled: 1-line block ×4, first 2 shown]
	v_add_co_u32 v2, s11, v2, -1
	s_delay_alu instid0(VALU_DEP_1)
	v_cndmask_b32_e64 v6, 0, 1, s11
	v_not_b32_e32 v29, v3
	v_cmp_gt_i32_e64 s12, 0, v3
	v_not_b32_e32 v3, v4
	v_lshlrev_b32_e32 v28, 25, v7
	v_cmp_ne_u32_e64 s11, 0, v6
	v_ashrrev_i32_e32 v29, 31, v29
	v_lshlrev_b32_e32 v6, 24, v7
	v_ashrrev_i32_e32 v3, 31, v3
	v_mov_b32_e32 v39, v51
	v_xor_b32_e32 v2, s11, v2
	v_cmp_gt_i32_e64 s11, 0, v4
	v_not_b32_e32 v4, v5
	v_xor_b32_e32 v29, s12, v29
	v_cmp_gt_i32_e64 s12, 0, v5
	v_and_b32_e32 v2, exec_lo, v2
	v_not_b32_e32 v5, v26
	v_ashrrev_i32_e32 v4, 31, v4
	v_xor_b32_e32 v3, s11, v3
	v_cmp_gt_i32_e64 s11, 0, v26
	v_dual_mov_b32 v37, v53 :: v_dual_and_b32 v2, v2, v29
	v_not_b32_e32 v26, v27
	v_ashrrev_i32_e32 v5, 31, v5
	v_xor_b32_e32 v4, s12, v4
	s_delay_alu instid0(VALU_DEP_4)
	v_dual_mov_b32 v35, v55 :: v_dual_and_b32 v2, v2, v3
	v_not_b32_e32 v3, v28
	v_cmp_gt_i32_e64 s12, 0, v27
	v_ashrrev_i32_e32 v26, 31, v26
	v_xor_b32_e32 v5, s11, v5
	v_and_b32_e32 v2, v2, v4
	v_cmp_gt_i32_e64 s11, 0, v28
	v_not_b32_e32 v4, v6
	v_ashrrev_i32_e32 v3, 31, v3
	v_xor_b32_e32 v28, s12, v26
	v_dual_mov_b32 v27, v1 :: v_dual_mov_b32 v26, v0
	s_delay_alu instid0(VALU_DEP_4) | instskip(NEXT) | instid1(VALU_DEP_4)
	v_ashrrev_i32_e32 v0, 31, v4
	v_xor_b32_e32 v1, s11, v3
	v_dual_mov_b32 v3, s16 :: v_dual_and_b32 v2, v2, v5
	v_cmp_gt_i32_e64 s12, 0, v6
	v_mad_u64_u32 v[5:6], null, v7, 10, v[17:18]
	v_mov_b32_e32 v4, s17
	s_delay_alu instid0(VALU_DEP_4) | instskip(NEXT) | instid1(VALU_DEP_4)
	v_and_b32_e32 v2, v2, v28
	v_xor_b32_e32 v0, s12, v0
	v_dual_mov_b32 v28, v48 :: v_dual_mov_b32 v29, v49
	s_delay_alu instid0(VALU_DEP_3) | instskip(SKIP_1) | instid1(VALU_DEP_2)
	v_and_b32_e32 v1, v2, v1
	v_lshl_add_u32 v43, v5, 2, 40
	v_dual_mov_b32 v1, s20 :: v_dual_and_b32 v0, v1, v0
	v_mov_b32_e32 v2, s21
	ds_store_2addr_b64 v66, v[1:2], v[3:4] offset0:5 offset1:6
	ds_store_2addr_b64 v67, v[1:2], v[3:4] offset0:2 offset1:3
	v_mbcnt_lo_u32_b32 v42, v0, 0
	v_cmp_ne_u32_e64 s12, 0, v0
	s_waitcnt lgkmcnt(0)
	s_barrier
	buffer_gl0_inv
	v_cmp_eq_u32_e64 s11, 0, v42
	; wave barrier
	s_delay_alu instid0(VALU_DEP_1) | instskip(NEXT) | instid1(SALU_CYCLE_1)
	s_and_b32 s12, s11, s12
	s_and_saveexec_b32 s11, s12
	s_cbranch_execz .LBB183_6
; %bb.5:                                ;   in Loop: Header=BB183_4 Depth=2
	v_bcnt_u32_b32 v0, v0, 0
	ds_store_b32 v43, v0
.LBB183_6:                              ;   in Loop: Header=BB183_4 Depth=2
	s_or_b32 exec_lo, exec_lo, s11
	v_lshrrev_b32_e32 v0, s27, v32
	v_lshrrev_b32_e32 v1, s24, v33
	; wave barrier
	s_delay_alu instid0(VALU_DEP_1) | instskip(NEXT) | instid1(VALU_DEP_1)
	v_and_b32_e32 v1, s25, v1
	v_dual_cndmask_b32 v1, 0, v1 :: v_dual_and_b32 v0, s28, v0
	s_delay_alu instid0(VALU_DEP_1) | instskip(NEXT) | instid1(VALU_DEP_1)
	v_lshlrev_b32_e32 v0, s26, v0
	v_cndmask_b32_e64 v0, 0, v0, s10
	s_delay_alu instid0(VALU_DEP_1) | instskip(NEXT) | instid1(VALU_DEP_1)
	v_or_b32_e32 v0, v1, v0
	v_and_b32_e32 v2, 1, v0
	v_lshlrev_b32_e32 v3, 30, v0
	v_lshlrev_b32_e32 v4, 29, v0
	;; [unrolled: 1-line block ×4, first 2 shown]
	v_add_co_u32 v2, s11, v2, -1
	s_delay_alu instid0(VALU_DEP_1)
	v_cndmask_b32_e64 v6, 0, 1, s11
	v_not_b32_e32 v46, v3
	v_cmp_gt_i32_e64 s12, 0, v3
	v_not_b32_e32 v3, v4
	v_lshlrev_b32_e32 v44, 26, v0
	v_cmp_ne_u32_e64 s11, 0, v6
	v_ashrrev_i32_e32 v6, 31, v46
	v_lshlrev_b32_e32 v45, 25, v0
	v_ashrrev_i32_e32 v3, 31, v3
	v_mul_lo_u32 v1, v0, 10
	v_xor_b32_e32 v2, s11, v2
	v_cmp_gt_i32_e64 s11, 0, v4
	v_not_b32_e32 v4, v5
	v_xor_b32_e32 v6, s12, v6
	v_cmp_gt_i32_e64 s12, 0, v5
	v_and_b32_e32 v2, exec_lo, v2
	v_not_b32_e32 v5, v7
	v_ashrrev_i32_e32 v4, 31, v4
	v_xor_b32_e32 v3, s11, v3
	v_cmp_gt_i32_e64 s11, 0, v7
	v_and_b32_e32 v2, v2, v6
	v_not_b32_e32 v6, v44
	v_ashrrev_i32_e32 v5, 31, v5
	v_xor_b32_e32 v4, s12, v4
	v_lshlrev_b32_e32 v0, 24, v0
	v_and_b32_e32 v2, v2, v3
	v_cmp_gt_i32_e64 s12, 0, v44
	v_not_b32_e32 v3, v45
	v_ashrrev_i32_e32 v6, 31, v6
	v_xor_b32_e32 v5, s11, v5
	v_and_b32_e32 v2, v2, v4
	v_cmp_gt_i32_e64 s11, 0, v45
	v_not_b32_e32 v4, v0
	v_ashrrev_i32_e32 v3, 31, v3
	v_xor_b32_e32 v6, s12, v6
	v_and_b32_e32 v2, v2, v5
	v_cmp_gt_i32_e64 s12, 0, v0
	v_ashrrev_i32_e32 v0, 31, v4
	v_xor_b32_e32 v3, s11, v3
	v_add_lshl_u32 v1, v1, v17, 2
	v_and_b32_e32 v2, v2, v6
	s_delay_alu instid0(VALU_DEP_4) | instskip(SKIP_3) | instid1(VALU_DEP_2)
	v_xor_b32_e32 v0, s12, v0
	ds_load_b32 v44, v1 offset:40
	v_and_b32_e32 v2, v2, v3
	v_add_nc_u32_e32 v46, 40, v1
	; wave barrier
	v_and_b32_e32 v0, v2, v0
	s_delay_alu instid0(VALU_DEP_1) | instskip(SKIP_1) | instid1(VALU_DEP_2)
	v_mbcnt_lo_u32_b32 v45, v0, 0
	v_cmp_ne_u32_e64 s12, 0, v0
	v_cmp_eq_u32_e64 s11, 0, v45
	s_delay_alu instid0(VALU_DEP_1) | instskip(NEXT) | instid1(SALU_CYCLE_1)
	s_and_b32 s12, s11, s12
	s_and_saveexec_b32 s11, s12
	s_cbranch_execz .LBB183_8
; %bb.7:                                ;   in Loop: Header=BB183_4 Depth=2
	s_waitcnt lgkmcnt(0)
	v_bcnt_u32_b32 v0, v0, v44
	ds_store_b32 v46, v0
.LBB183_8:                              ;   in Loop: Header=BB183_4 Depth=2
	s_or_b32 exec_lo, exec_lo, s11
	v_lshrrev_b32_e32 v0, s27, v30
	v_lshrrev_b32_e32 v1, s24, v31
	; wave barrier
	s_delay_alu instid0(VALU_DEP_1) | instskip(NEXT) | instid1(VALU_DEP_1)
	v_and_b32_e32 v1, s25, v1
	v_dual_cndmask_b32 v1, 0, v1 :: v_dual_and_b32 v0, s28, v0
	s_delay_alu instid0(VALU_DEP_1) | instskip(NEXT) | instid1(VALU_DEP_1)
	v_lshlrev_b32_e32 v0, s26, v0
	v_cndmask_b32_e64 v0, 0, v0, s10
	s_delay_alu instid0(VALU_DEP_1) | instskip(NEXT) | instid1(VALU_DEP_1)
	v_or_b32_e32 v0, v1, v0
	v_and_b32_e32 v2, 1, v0
	v_lshlrev_b32_e32 v3, 30, v0
	v_lshlrev_b32_e32 v4, 29, v0
	;; [unrolled: 1-line block ×4, first 2 shown]
	v_add_co_u32 v2, s11, v2, -1
	s_delay_alu instid0(VALU_DEP_1)
	v_cndmask_b32_e64 v6, 0, 1, s11
	v_not_b32_e32 v49, v3
	v_cmp_gt_i32_e64 s12, 0, v3
	v_not_b32_e32 v3, v4
	v_lshlrev_b32_e32 v47, 26, v0
	v_cmp_ne_u32_e64 s11, 0, v6
	v_ashrrev_i32_e32 v6, 31, v49
	v_lshlrev_b32_e32 v48, 25, v0
	v_ashrrev_i32_e32 v3, 31, v3
	v_mul_lo_u32 v1, v0, 10
	v_xor_b32_e32 v2, s11, v2
	v_cmp_gt_i32_e64 s11, 0, v4
	v_not_b32_e32 v4, v5
	v_xor_b32_e32 v6, s12, v6
	v_cmp_gt_i32_e64 s12, 0, v5
	v_and_b32_e32 v2, exec_lo, v2
	v_not_b32_e32 v5, v7
	v_ashrrev_i32_e32 v4, 31, v4
	v_xor_b32_e32 v3, s11, v3
	v_cmp_gt_i32_e64 s11, 0, v7
	v_and_b32_e32 v2, v2, v6
	v_not_b32_e32 v6, v47
	v_ashrrev_i32_e32 v5, 31, v5
	v_xor_b32_e32 v4, s12, v4
	v_lshlrev_b32_e32 v0, 24, v0
	v_and_b32_e32 v2, v2, v3
	v_cmp_gt_i32_e64 s12, 0, v47
	v_not_b32_e32 v3, v48
	v_ashrrev_i32_e32 v6, 31, v6
	v_xor_b32_e32 v5, s11, v5
	v_and_b32_e32 v2, v2, v4
	v_cmp_gt_i32_e64 s11, 0, v48
	v_not_b32_e32 v4, v0
	v_ashrrev_i32_e32 v3, 31, v3
	v_xor_b32_e32 v6, s12, v6
	v_and_b32_e32 v2, v2, v5
	v_cmp_gt_i32_e64 s12, 0, v0
	v_ashrrev_i32_e32 v0, 31, v4
	v_xor_b32_e32 v3, s11, v3
	v_add_lshl_u32 v1, v1, v17, 2
	v_and_b32_e32 v2, v2, v6
	s_delay_alu instid0(VALU_DEP_4) | instskip(SKIP_3) | instid1(VALU_DEP_2)
	v_xor_b32_e32 v0, s12, v0
	ds_load_b32 v47, v1 offset:40
	v_and_b32_e32 v2, v2, v3
	v_add_nc_u32_e32 v49, 40, v1
	; wave barrier
	v_and_b32_e32 v0, v2, v0
	s_delay_alu instid0(VALU_DEP_1) | instskip(SKIP_1) | instid1(VALU_DEP_2)
	v_mbcnt_lo_u32_b32 v48, v0, 0
	v_cmp_ne_u32_e64 s12, 0, v0
	v_cmp_eq_u32_e64 s11, 0, v48
	s_delay_alu instid0(VALU_DEP_1) | instskip(NEXT) | instid1(SALU_CYCLE_1)
	s_and_b32 s12, s11, s12
	s_and_saveexec_b32 s11, s12
	s_cbranch_execz .LBB183_10
; %bb.9:                                ;   in Loop: Header=BB183_4 Depth=2
	s_waitcnt lgkmcnt(0)
	v_bcnt_u32_b32 v0, v0, v47
	ds_store_b32 v49, v0
.LBB183_10:                             ;   in Loop: Header=BB183_4 Depth=2
	s_or_b32 exec_lo, exec_lo, s11
	v_lshrrev_b32_e32 v0, s27, v28
	v_lshrrev_b32_e32 v1, s24, v29
	; wave barrier
	s_delay_alu instid0(VALU_DEP_1) | instskip(NEXT) | instid1(VALU_DEP_1)
	v_and_b32_e32 v1, s25, v1
	v_dual_cndmask_b32 v1, 0, v1 :: v_dual_and_b32 v0, s28, v0
	s_delay_alu instid0(VALU_DEP_1) | instskip(NEXT) | instid1(VALU_DEP_1)
	v_lshlrev_b32_e32 v0, s26, v0
	v_cndmask_b32_e64 v0, 0, v0, s10
	s_delay_alu instid0(VALU_DEP_1) | instskip(NEXT) | instid1(VALU_DEP_1)
	v_or_b32_e32 v0, v1, v0
	v_and_b32_e32 v2, 1, v0
	v_lshlrev_b32_e32 v3, 30, v0
	v_lshlrev_b32_e32 v4, 29, v0
	;; [unrolled: 1-line block ×4, first 2 shown]
	v_add_co_u32 v2, s11, v2, -1
	s_delay_alu instid0(VALU_DEP_1)
	v_cndmask_b32_e64 v6, 0, 1, s11
	v_not_b32_e32 v52, v3
	v_cmp_gt_i32_e64 s12, 0, v3
	v_not_b32_e32 v3, v4
	v_lshlrev_b32_e32 v50, 26, v0
	v_cmp_ne_u32_e64 s11, 0, v6
	v_ashrrev_i32_e32 v6, 31, v52
	v_lshlrev_b32_e32 v51, 25, v0
	v_ashrrev_i32_e32 v3, 31, v3
	v_mul_lo_u32 v1, v0, 10
	v_xor_b32_e32 v2, s11, v2
	v_cmp_gt_i32_e64 s11, 0, v4
	v_not_b32_e32 v4, v5
	v_xor_b32_e32 v6, s12, v6
	v_cmp_gt_i32_e64 s12, 0, v5
	v_and_b32_e32 v2, exec_lo, v2
	v_not_b32_e32 v5, v7
	v_ashrrev_i32_e32 v4, 31, v4
	v_xor_b32_e32 v3, s11, v3
	v_cmp_gt_i32_e64 s11, 0, v7
	v_and_b32_e32 v2, v2, v6
	v_not_b32_e32 v6, v50
	v_ashrrev_i32_e32 v5, 31, v5
	v_xor_b32_e32 v4, s12, v4
	v_lshlrev_b32_e32 v0, 24, v0
	v_and_b32_e32 v2, v2, v3
	v_cmp_gt_i32_e64 s12, 0, v50
	v_not_b32_e32 v3, v51
	v_ashrrev_i32_e32 v6, 31, v6
	v_xor_b32_e32 v5, s11, v5
	v_and_b32_e32 v2, v2, v4
	v_cmp_gt_i32_e64 s11, 0, v51
	v_not_b32_e32 v4, v0
	v_ashrrev_i32_e32 v3, 31, v3
	v_xor_b32_e32 v6, s12, v6
	v_and_b32_e32 v2, v2, v5
	v_cmp_gt_i32_e64 s12, 0, v0
	v_ashrrev_i32_e32 v0, 31, v4
	v_xor_b32_e32 v3, s11, v3
	v_add_lshl_u32 v1, v1, v17, 2
	v_and_b32_e32 v2, v2, v6
	s_delay_alu instid0(VALU_DEP_4) | instskip(SKIP_3) | instid1(VALU_DEP_2)
	v_xor_b32_e32 v0, s12, v0
	ds_load_b32 v50, v1 offset:40
	v_and_b32_e32 v2, v2, v3
	v_add_nc_u32_e32 v52, 40, v1
	; wave barrier
	v_and_b32_e32 v0, v2, v0
	s_delay_alu instid0(VALU_DEP_1) | instskip(SKIP_1) | instid1(VALU_DEP_2)
	v_mbcnt_lo_u32_b32 v51, v0, 0
	v_cmp_ne_u32_e64 s12, 0, v0
	v_cmp_eq_u32_e64 s11, 0, v51
	s_delay_alu instid0(VALU_DEP_1) | instskip(NEXT) | instid1(SALU_CYCLE_1)
	s_and_b32 s12, s11, s12
	s_and_saveexec_b32 s11, s12
	s_cbranch_execz .LBB183_12
; %bb.11:                               ;   in Loop: Header=BB183_4 Depth=2
	s_waitcnt lgkmcnt(0)
	v_bcnt_u32_b32 v0, v0, v50
	ds_store_b32 v52, v0
.LBB183_12:                             ;   in Loop: Header=BB183_4 Depth=2
	s_or_b32 exec_lo, exec_lo, s11
	v_lshrrev_b32_e32 v0, s27, v40
	v_lshrrev_b32_e32 v1, s24, v41
	; wave barrier
	s_delay_alu instid0(VALU_DEP_1) | instskip(NEXT) | instid1(VALU_DEP_1)
	v_and_b32_e32 v1, s25, v1
	v_dual_cndmask_b32 v1, 0, v1 :: v_dual_and_b32 v0, s28, v0
	s_delay_alu instid0(VALU_DEP_1) | instskip(NEXT) | instid1(VALU_DEP_1)
	v_lshlrev_b32_e32 v0, s26, v0
	v_cndmask_b32_e64 v0, 0, v0, s10
	s_delay_alu instid0(VALU_DEP_1) | instskip(NEXT) | instid1(VALU_DEP_1)
	v_or_b32_e32 v0, v1, v0
	v_and_b32_e32 v2, 1, v0
	v_lshlrev_b32_e32 v3, 30, v0
	v_lshlrev_b32_e32 v4, 29, v0
	;; [unrolled: 1-line block ×4, first 2 shown]
	v_add_co_u32 v2, s11, v2, -1
	s_delay_alu instid0(VALU_DEP_1)
	v_cndmask_b32_e64 v6, 0, 1, s11
	v_not_b32_e32 v55, v3
	v_cmp_gt_i32_e64 s12, 0, v3
	v_not_b32_e32 v3, v4
	v_lshlrev_b32_e32 v53, 26, v0
	v_cmp_ne_u32_e64 s11, 0, v6
	v_ashrrev_i32_e32 v6, 31, v55
	v_lshlrev_b32_e32 v54, 25, v0
	v_ashrrev_i32_e32 v3, 31, v3
	v_mul_lo_u32 v1, v0, 10
	v_xor_b32_e32 v2, s11, v2
	v_cmp_gt_i32_e64 s11, 0, v4
	v_not_b32_e32 v4, v5
	v_xor_b32_e32 v6, s12, v6
	v_cmp_gt_i32_e64 s12, 0, v5
	v_and_b32_e32 v2, exec_lo, v2
	v_not_b32_e32 v5, v7
	v_ashrrev_i32_e32 v4, 31, v4
	v_xor_b32_e32 v3, s11, v3
	v_cmp_gt_i32_e64 s11, 0, v7
	v_and_b32_e32 v2, v2, v6
	v_not_b32_e32 v6, v53
	v_ashrrev_i32_e32 v5, 31, v5
	v_xor_b32_e32 v4, s12, v4
	v_lshlrev_b32_e32 v0, 24, v0
	v_and_b32_e32 v2, v2, v3
	v_cmp_gt_i32_e64 s12, 0, v53
	v_not_b32_e32 v3, v54
	v_ashrrev_i32_e32 v6, 31, v6
	v_xor_b32_e32 v5, s11, v5
	v_and_b32_e32 v2, v2, v4
	v_cmp_gt_i32_e64 s11, 0, v54
	v_not_b32_e32 v4, v0
	v_ashrrev_i32_e32 v3, 31, v3
	v_xor_b32_e32 v6, s12, v6
	v_and_b32_e32 v2, v2, v5
	v_cmp_gt_i32_e64 s12, 0, v0
	v_ashrrev_i32_e32 v0, 31, v4
	v_xor_b32_e32 v3, s11, v3
	v_add_lshl_u32 v1, v1, v17, 2
	v_and_b32_e32 v2, v2, v6
	s_delay_alu instid0(VALU_DEP_4) | instskip(SKIP_3) | instid1(VALU_DEP_2)
	v_xor_b32_e32 v0, s12, v0
	ds_load_b32 v53, v1 offset:40
	v_and_b32_e32 v2, v2, v3
	v_add_nc_u32_e32 v55, 40, v1
	; wave barrier
	v_and_b32_e32 v0, v2, v0
	s_delay_alu instid0(VALU_DEP_1) | instskip(SKIP_1) | instid1(VALU_DEP_2)
	v_mbcnt_lo_u32_b32 v54, v0, 0
	v_cmp_ne_u32_e64 s12, 0, v0
	v_cmp_eq_u32_e64 s11, 0, v54
	s_delay_alu instid0(VALU_DEP_1) | instskip(NEXT) | instid1(SALU_CYCLE_1)
	s_and_b32 s12, s11, s12
	s_and_saveexec_b32 s11, s12
	s_cbranch_execz .LBB183_14
; %bb.13:                               ;   in Loop: Header=BB183_4 Depth=2
	s_waitcnt lgkmcnt(0)
	v_bcnt_u32_b32 v0, v0, v53
	ds_store_b32 v55, v0
.LBB183_14:                             ;   in Loop: Header=BB183_4 Depth=2
	s_or_b32 exec_lo, exec_lo, s11
	v_lshrrev_b32_e32 v0, s27, v38
	v_lshrrev_b32_e32 v1, s24, v39
	; wave barrier
	s_delay_alu instid0(VALU_DEP_1) | instskip(NEXT) | instid1(VALU_DEP_1)
	v_and_b32_e32 v1, s25, v1
	v_dual_cndmask_b32 v1, 0, v1 :: v_dual_and_b32 v0, s28, v0
	s_delay_alu instid0(VALU_DEP_1) | instskip(NEXT) | instid1(VALU_DEP_1)
	v_lshlrev_b32_e32 v0, s26, v0
	v_cndmask_b32_e64 v0, 0, v0, s10
	s_delay_alu instid0(VALU_DEP_1) | instskip(NEXT) | instid1(VALU_DEP_1)
	v_or_b32_e32 v0, v1, v0
	v_and_b32_e32 v2, 1, v0
	v_lshlrev_b32_e32 v3, 30, v0
	v_lshlrev_b32_e32 v4, 29, v0
	;; [unrolled: 1-line block ×4, first 2 shown]
	v_add_co_u32 v2, s11, v2, -1
	s_delay_alu instid0(VALU_DEP_1)
	v_cndmask_b32_e64 v6, 0, 1, s11
	v_not_b32_e32 v58, v3
	v_cmp_gt_i32_e64 s12, 0, v3
	v_not_b32_e32 v3, v4
	v_lshlrev_b32_e32 v56, 26, v0
	v_cmp_ne_u32_e64 s11, 0, v6
	v_ashrrev_i32_e32 v6, 31, v58
	v_lshlrev_b32_e32 v57, 25, v0
	v_ashrrev_i32_e32 v3, 31, v3
	v_mul_lo_u32 v1, v0, 10
	v_xor_b32_e32 v2, s11, v2
	v_cmp_gt_i32_e64 s11, 0, v4
	v_not_b32_e32 v4, v5
	v_xor_b32_e32 v6, s12, v6
	v_cmp_gt_i32_e64 s12, 0, v5
	v_and_b32_e32 v2, exec_lo, v2
	v_not_b32_e32 v5, v7
	v_ashrrev_i32_e32 v4, 31, v4
	v_xor_b32_e32 v3, s11, v3
	v_cmp_gt_i32_e64 s11, 0, v7
	v_and_b32_e32 v2, v2, v6
	v_not_b32_e32 v6, v56
	v_ashrrev_i32_e32 v5, 31, v5
	v_xor_b32_e32 v4, s12, v4
	v_lshlrev_b32_e32 v0, 24, v0
	v_and_b32_e32 v2, v2, v3
	v_cmp_gt_i32_e64 s12, 0, v56
	v_not_b32_e32 v3, v57
	v_ashrrev_i32_e32 v6, 31, v6
	v_xor_b32_e32 v5, s11, v5
	v_and_b32_e32 v2, v2, v4
	v_cmp_gt_i32_e64 s11, 0, v57
	v_not_b32_e32 v4, v0
	v_ashrrev_i32_e32 v3, 31, v3
	v_xor_b32_e32 v6, s12, v6
	v_and_b32_e32 v2, v2, v5
	v_cmp_gt_i32_e64 s12, 0, v0
	v_ashrrev_i32_e32 v0, 31, v4
	v_xor_b32_e32 v3, s11, v3
	v_add_lshl_u32 v1, v1, v17, 2
	v_and_b32_e32 v2, v2, v6
	s_delay_alu instid0(VALU_DEP_4) | instskip(SKIP_3) | instid1(VALU_DEP_2)
	v_xor_b32_e32 v0, s12, v0
	ds_load_b32 v56, v1 offset:40
	v_and_b32_e32 v2, v2, v3
	v_add_nc_u32_e32 v58, 40, v1
	; wave barrier
	v_and_b32_e32 v0, v2, v0
	s_delay_alu instid0(VALU_DEP_1) | instskip(SKIP_1) | instid1(VALU_DEP_2)
	v_mbcnt_lo_u32_b32 v57, v0, 0
	v_cmp_ne_u32_e64 s12, 0, v0
	v_cmp_eq_u32_e64 s11, 0, v57
	s_delay_alu instid0(VALU_DEP_1) | instskip(NEXT) | instid1(SALU_CYCLE_1)
	s_and_b32 s12, s11, s12
	s_and_saveexec_b32 s11, s12
	s_cbranch_execz .LBB183_16
; %bb.15:                               ;   in Loop: Header=BB183_4 Depth=2
	s_waitcnt lgkmcnt(0)
	v_bcnt_u32_b32 v0, v0, v56
	ds_store_b32 v58, v0
.LBB183_16:                             ;   in Loop: Header=BB183_4 Depth=2
	s_or_b32 exec_lo, exec_lo, s11
	v_lshrrev_b32_e32 v0, s27, v36
	v_lshrrev_b32_e32 v1, s24, v37
	; wave barrier
	s_delay_alu instid0(VALU_DEP_1) | instskip(NEXT) | instid1(VALU_DEP_1)
	v_and_b32_e32 v1, s25, v1
	v_dual_cndmask_b32 v1, 0, v1 :: v_dual_and_b32 v0, s28, v0
	s_delay_alu instid0(VALU_DEP_1) | instskip(NEXT) | instid1(VALU_DEP_1)
	v_lshlrev_b32_e32 v0, s26, v0
	v_cndmask_b32_e64 v0, 0, v0, s10
	s_delay_alu instid0(VALU_DEP_1) | instskip(NEXT) | instid1(VALU_DEP_1)
	v_or_b32_e32 v0, v1, v0
	v_and_b32_e32 v2, 1, v0
	v_lshlrev_b32_e32 v3, 30, v0
	v_lshlrev_b32_e32 v4, 29, v0
	;; [unrolled: 1-line block ×4, first 2 shown]
	v_add_co_u32 v2, s11, v2, -1
	s_delay_alu instid0(VALU_DEP_1)
	v_cndmask_b32_e64 v6, 0, 1, s11
	v_not_b32_e32 v61, v3
	v_cmp_gt_i32_e64 s12, 0, v3
	v_not_b32_e32 v3, v4
	v_lshlrev_b32_e32 v59, 26, v0
	v_cmp_ne_u32_e64 s11, 0, v6
	v_ashrrev_i32_e32 v6, 31, v61
	v_lshlrev_b32_e32 v60, 25, v0
	v_ashrrev_i32_e32 v3, 31, v3
	v_mul_lo_u32 v1, v0, 10
	v_xor_b32_e32 v2, s11, v2
	v_cmp_gt_i32_e64 s11, 0, v4
	v_not_b32_e32 v4, v5
	v_xor_b32_e32 v6, s12, v6
	v_cmp_gt_i32_e64 s12, 0, v5
	v_and_b32_e32 v2, exec_lo, v2
	v_not_b32_e32 v5, v7
	v_ashrrev_i32_e32 v4, 31, v4
	v_xor_b32_e32 v3, s11, v3
	v_cmp_gt_i32_e64 s11, 0, v7
	v_and_b32_e32 v2, v2, v6
	v_not_b32_e32 v6, v59
	v_ashrrev_i32_e32 v5, 31, v5
	v_xor_b32_e32 v4, s12, v4
	v_lshlrev_b32_e32 v0, 24, v0
	v_and_b32_e32 v2, v2, v3
	v_cmp_gt_i32_e64 s12, 0, v59
	v_not_b32_e32 v3, v60
	v_ashrrev_i32_e32 v6, 31, v6
	v_xor_b32_e32 v5, s11, v5
	v_and_b32_e32 v2, v2, v4
	v_cmp_gt_i32_e64 s11, 0, v60
	v_not_b32_e32 v4, v0
	v_ashrrev_i32_e32 v3, 31, v3
	v_xor_b32_e32 v6, s12, v6
	v_and_b32_e32 v2, v2, v5
	v_cmp_gt_i32_e64 s12, 0, v0
	v_ashrrev_i32_e32 v0, 31, v4
	v_xor_b32_e32 v3, s11, v3
	v_add_lshl_u32 v1, v1, v17, 2
	v_and_b32_e32 v2, v2, v6
	s_delay_alu instid0(VALU_DEP_4) | instskip(SKIP_3) | instid1(VALU_DEP_2)
	v_xor_b32_e32 v0, s12, v0
	ds_load_b32 v59, v1 offset:40
	v_and_b32_e32 v2, v2, v3
	v_add_nc_u32_e32 v61, 40, v1
	; wave barrier
	v_and_b32_e32 v0, v2, v0
	s_delay_alu instid0(VALU_DEP_1) | instskip(SKIP_1) | instid1(VALU_DEP_2)
	v_mbcnt_lo_u32_b32 v60, v0, 0
	v_cmp_ne_u32_e64 s12, 0, v0
	v_cmp_eq_u32_e64 s11, 0, v60
	s_delay_alu instid0(VALU_DEP_1) | instskip(NEXT) | instid1(SALU_CYCLE_1)
	s_and_b32 s12, s11, s12
	s_and_saveexec_b32 s11, s12
	s_cbranch_execz .LBB183_18
; %bb.17:                               ;   in Loop: Header=BB183_4 Depth=2
	s_waitcnt lgkmcnt(0)
	v_bcnt_u32_b32 v0, v0, v59
	ds_store_b32 v61, v0
.LBB183_18:                             ;   in Loop: Header=BB183_4 Depth=2
	s_or_b32 exec_lo, exec_lo, s11
	v_lshrrev_b32_e32 v0, s27, v34
	v_lshrrev_b32_e32 v1, s24, v35
	; wave barrier
	s_delay_alu instid0(VALU_DEP_1) | instskip(NEXT) | instid1(VALU_DEP_1)
	v_and_b32_e32 v1, s25, v1
	v_dual_cndmask_b32 v1, 0, v1 :: v_dual_and_b32 v0, s28, v0
	s_delay_alu instid0(VALU_DEP_1) | instskip(NEXT) | instid1(VALU_DEP_1)
	v_lshlrev_b32_e32 v0, s26, v0
	v_cndmask_b32_e64 v0, 0, v0, s10
	s_delay_alu instid0(VALU_DEP_1) | instskip(NEXT) | instid1(VALU_DEP_1)
	v_or_b32_e32 v0, v1, v0
	v_and_b32_e32 v2, 1, v0
	v_lshlrev_b32_e32 v3, 30, v0
	v_lshlrev_b32_e32 v4, 29, v0
	;; [unrolled: 1-line block ×4, first 2 shown]
	v_add_co_u32 v2, s10, v2, -1
	s_delay_alu instid0(VALU_DEP_1)
	v_cndmask_b32_e64 v6, 0, 1, s10
	v_not_b32_e32 v64, v3
	v_cmp_gt_i32_e64 s10, 0, v3
	v_not_b32_e32 v3, v4
	v_lshlrev_b32_e32 v62, 26, v0
	v_cmp_ne_u32_e32 vcc_lo, 0, v6
	v_ashrrev_i32_e32 v6, 31, v64
	v_lshlrev_b32_e32 v63, 25, v0
	v_ashrrev_i32_e32 v3, 31, v3
	v_mul_lo_u32 v1, v0, 10
	v_xor_b32_e32 v2, vcc_lo, v2
	v_cmp_gt_i32_e32 vcc_lo, 0, v4
	v_not_b32_e32 v4, v5
	v_xor_b32_e32 v6, s10, v6
	v_cmp_gt_i32_e64 s10, 0, v5
	v_and_b32_e32 v2, exec_lo, v2
	v_not_b32_e32 v5, v7
	v_ashrrev_i32_e32 v4, 31, v4
	v_xor_b32_e32 v3, vcc_lo, v3
	v_cmp_gt_i32_e32 vcc_lo, 0, v7
	v_and_b32_e32 v2, v2, v6
	v_not_b32_e32 v6, v62
	v_ashrrev_i32_e32 v5, 31, v5
	v_xor_b32_e32 v4, s10, v4
	v_lshlrev_b32_e32 v0, 24, v0
	v_and_b32_e32 v2, v2, v3
	v_cmp_gt_i32_e64 s10, 0, v62
	v_not_b32_e32 v3, v63
	v_ashrrev_i32_e32 v6, 31, v6
	v_xor_b32_e32 v5, vcc_lo, v5
	v_and_b32_e32 v2, v2, v4
	v_cmp_gt_i32_e32 vcc_lo, 0, v63
	v_not_b32_e32 v4, v0
	v_ashrrev_i32_e32 v3, 31, v3
	v_xor_b32_e32 v6, s10, v6
	v_and_b32_e32 v2, v2, v5
	v_cmp_gt_i32_e64 s10, 0, v0
	v_ashrrev_i32_e32 v0, 31, v4
	v_xor_b32_e32 v3, vcc_lo, v3
	v_add_lshl_u32 v1, v1, v17, 2
	v_and_b32_e32 v2, v2, v6
	s_delay_alu instid0(VALU_DEP_4) | instskip(SKIP_3) | instid1(VALU_DEP_2)
	v_xor_b32_e32 v0, s10, v0
	ds_load_b32 v62, v1 offset:40
	v_and_b32_e32 v2, v2, v3
	v_add_nc_u32_e32 v64, 40, v1
	; wave barrier
	v_and_b32_e32 v0, v2, v0
	s_delay_alu instid0(VALU_DEP_1) | instskip(SKIP_1) | instid1(VALU_DEP_2)
	v_mbcnt_lo_u32_b32 v63, v0, 0
	v_cmp_ne_u32_e64 s10, 0, v0
	v_cmp_eq_u32_e32 vcc_lo, 0, v63
	s_delay_alu instid0(VALU_DEP_2) | instskip(NEXT) | instid1(SALU_CYCLE_1)
	s_and_b32 s11, vcc_lo, s10
	s_and_saveexec_b32 s10, s11
	s_cbranch_execz .LBB183_20
; %bb.19:                               ;   in Loop: Header=BB183_4 Depth=2
	s_waitcnt lgkmcnt(0)
	v_bcnt_u32_b32 v0, v0, v62
	ds_store_b32 v64, v0
.LBB183_20:                             ;   in Loop: Header=BB183_4 Depth=2
	s_or_b32 exec_lo, exec_lo, s10
	; wave barrier
	s_waitcnt lgkmcnt(0)
	s_barrier
	buffer_gl0_inv
	ds_load_2addr_b64 v[4:7], v66 offset0:5 offset1:6
	ds_load_2addr_b64 v[0:3], v67 offset0:2 offset1:3
	s_waitcnt lgkmcnt(1)
	v_add_nc_u32_e32 v65, v5, v4
	s_delay_alu instid0(VALU_DEP_1) | instskip(SKIP_1) | instid1(VALU_DEP_1)
	v_add3_u32 v65, v65, v6, v7
	s_waitcnt lgkmcnt(0)
	v_add3_u32 v65, v65, v0, v1
	s_delay_alu instid0(VALU_DEP_1) | instskip(NEXT) | instid1(VALU_DEP_1)
	v_add3_u32 v3, v65, v2, v3
	v_mov_b32_dpp v65, v3 row_shr:1 row_mask:0xf bank_mask:0xf
	s_delay_alu instid0(VALU_DEP_1) | instskip(NEXT) | instid1(VALU_DEP_1)
	v_cndmask_b32_e64 v65, v65, 0, s1
	v_add_nc_u32_e32 v3, v65, v3
	s_delay_alu instid0(VALU_DEP_1) | instskip(NEXT) | instid1(VALU_DEP_1)
	v_mov_b32_dpp v65, v3 row_shr:2 row_mask:0xf bank_mask:0xf
	v_cndmask_b32_e64 v65, 0, v65, s2
	s_delay_alu instid0(VALU_DEP_1) | instskip(NEXT) | instid1(VALU_DEP_1)
	v_add_nc_u32_e32 v3, v3, v65
	v_mov_b32_dpp v65, v3 row_shr:4 row_mask:0xf bank_mask:0xf
	s_delay_alu instid0(VALU_DEP_1) | instskip(NEXT) | instid1(VALU_DEP_1)
	v_cndmask_b32_e64 v65, 0, v65, s3
	v_add_nc_u32_e32 v3, v3, v65
	s_delay_alu instid0(VALU_DEP_1) | instskip(NEXT) | instid1(VALU_DEP_1)
	v_mov_b32_dpp v65, v3 row_shr:8 row_mask:0xf bank_mask:0xf
	v_cndmask_b32_e64 v65, 0, v65, s4
	s_delay_alu instid0(VALU_DEP_1) | instskip(SKIP_3) | instid1(VALU_DEP_1)
	v_add_nc_u32_e32 v3, v3, v65
	ds_swizzle_b32 v65, v3 offset:swizzle(BROADCAST,32,15)
	s_waitcnt lgkmcnt(0)
	v_cndmask_b32_e64 v65, v65, 0, s5
	v_add_nc_u32_e32 v3, v3, v65
	s_and_saveexec_b32 s10, s9
	s_cbranch_execz .LBB183_22
; %bb.21:                               ;   in Loop: Header=BB183_4 Depth=2
	ds_store_b32 v69, v3
.LBB183_22:                             ;   in Loop: Header=BB183_4 Depth=2
	s_or_b32 exec_lo, exec_lo, s10
	s_waitcnt lgkmcnt(0)
	s_barrier
	buffer_gl0_inv
	s_and_saveexec_b32 s10, s6
	s_cbranch_execz .LBB183_24
; %bb.23:                               ;   in Loop: Header=BB183_4 Depth=2
	ds_load_b32 v65, v81
	s_waitcnt lgkmcnt(0)
	v_mov_b32_dpp v82, v65 row_shr:1 row_mask:0xf bank_mask:0xf
	s_delay_alu instid0(VALU_DEP_1) | instskip(NEXT) | instid1(VALU_DEP_1)
	v_cndmask_b32_e64 v82, v82, 0, s1
	v_add_nc_u32_e32 v65, v82, v65
	s_delay_alu instid0(VALU_DEP_1) | instskip(NEXT) | instid1(VALU_DEP_1)
	v_mov_b32_dpp v82, v65 row_shr:2 row_mask:0xf bank_mask:0xf
	v_cndmask_b32_e64 v82, 0, v82, s2
	s_delay_alu instid0(VALU_DEP_1) | instskip(NEXT) | instid1(VALU_DEP_1)
	v_add_nc_u32_e32 v65, v65, v82
	v_mov_b32_dpp v82, v65 row_shr:4 row_mask:0xf bank_mask:0xf
	s_delay_alu instid0(VALU_DEP_1) | instskip(NEXT) | instid1(VALU_DEP_1)
	v_cndmask_b32_e64 v82, 0, v82, s3
	v_add_nc_u32_e32 v65, v65, v82
	s_delay_alu instid0(VALU_DEP_1) | instskip(NEXT) | instid1(VALU_DEP_1)
	v_mov_b32_dpp v82, v65 row_shr:8 row_mask:0xf bank_mask:0xf
	v_cndmask_b32_e64 v82, 0, v82, s4
	s_delay_alu instid0(VALU_DEP_1)
	v_add_nc_u32_e32 v65, v65, v82
	ds_store_b32 v81, v65
.LBB183_24:                             ;   in Loop: Header=BB183_4 Depth=2
	s_or_b32 exec_lo, exec_lo, s10
	v_mov_b32_e32 v65, 0
	s_waitcnt lgkmcnt(0)
	s_barrier
	buffer_gl0_inv
	s_and_saveexec_b32 s10, s7
	s_cbranch_execz .LBB183_26
; %bb.25:                               ;   in Loop: Header=BB183_4 Depth=2
	ds_load_b32 v65, v71
.LBB183_26:                             ;   in Loop: Header=BB183_4 Depth=2
	s_or_b32 exec_lo, exec_lo, s10
	s_waitcnt lgkmcnt(0)
	v_add_nc_u32_e32 v3, v65, v3
	s_cmp_gt_u32 s24, 55
	ds_bpermute_b32 v3, v68, v3
	s_waitcnt lgkmcnt(0)
	v_cndmask_b32_e64 v3, v3, v65, s0
	s_delay_alu instid0(VALU_DEP_1) | instskip(NEXT) | instid1(VALU_DEP_1)
	v_cndmask_b32_e64 v3, v3, 0, s8
	v_add_nc_u32_e32 v4, v3, v4
	s_delay_alu instid0(VALU_DEP_1) | instskip(NEXT) | instid1(VALU_DEP_1)
	v_add_nc_u32_e32 v5, v4, v5
	v_add_nc_u32_e32 v6, v5, v6
	s_delay_alu instid0(VALU_DEP_1) | instskip(NEXT) | instid1(VALU_DEP_1)
	v_add_nc_u32_e32 v82, v6, v7
	;; [unrolled: 3-line block ×3, first 2 shown]
	v_add_nc_u32_e32 v1, v0, v2
	ds_store_2addr_b64 v66, v[3:4], v[5:6] offset0:5 offset1:6
	ds_store_2addr_b64 v67, v[82:83], v[0:1] offset0:2 offset1:3
	s_waitcnt lgkmcnt(0)
	s_barrier
	buffer_gl0_inv
	ds_load_b32 v0, v43
	ds_load_b32 v1, v46
	;; [unrolled: 1-line block ×8, first 2 shown]
	s_waitcnt lgkmcnt(0)
	v_add_nc_u32_e32 v0, v0, v42
	v_add3_u32 v1, v45, v44, v1
	v_add3_u32 v2, v48, v47, v2
	;; [unrolled: 1-line block ×7, first 2 shown]
	v_lshrrev_b32_e32 v42, 2, v0
	v_lshrrev_b32_e32 v43, 2, v1
	;; [unrolled: 1-line block ×8, first 2 shown]
	v_and_b32_e32 v42, 0x3ffffff8, v42
	v_and_b32_e32 v43, 0x3ffffff8, v43
	;; [unrolled: 1-line block ×8, first 2 shown]
	v_lshl_add_u32 v82, v0, 3, v42
	v_lshl_add_u32 v83, v1, 3, v43
	;; [unrolled: 1-line block ×8, first 2 shown]
	s_cbranch_scc0 .LBB183_3
; %bb.27:                               ;   in Loop: Header=BB183_2 Depth=1
                                        ; implicit-def: $sgpr24
                                        ; implicit-def: $vgpr2_vgpr3
                                        ; implicit-def: $vgpr4_vgpr5
                                        ; implicit-def: $vgpr6_vgpr7
                                        ; implicit-def: $vgpr58_vgpr59
                                        ; implicit-def: $vgpr60_vgpr61
                                        ; implicit-def: $vgpr62_vgpr63
                                        ; implicit-def: $vgpr64_vgpr65
                                        ; implicit-def: $vgpr0_vgpr1
                                        ; implicit-def: $vgpr56_vgpr57
                                        ; implicit-def: $vgpr42_vgpr43
                                        ; implicit-def: $vgpr44_vgpr45
                                        ; implicit-def: $vgpr48_vgpr49
                                        ; implicit-def: $vgpr46_vgpr47
                                        ; implicit-def: $vgpr50_vgpr51
                                        ; implicit-def: $vgpr52_vgpr53
                                        ; implicit-def: $vgpr54_vgpr55
                                        ; implicit-def: $sgpr23
                                        ; implicit-def: $sgpr22
	s_branch .LBB183_1
.LBB183_28:
	s_waitcnt lgkmcnt(2)
	v_add_nc_u32_e32 v10, v24, v10
	v_lshlrev_b32_e32 v24, 3, v16
	s_add_u32 s0, s18, s14
	v_add_nc_u32_e32 v8, v22, v8
	s_addc_u32 s1, s19, s15
	v_add_nc_u32_e32 v9, v23, v9
	v_add_co_u32 v22, s2, s0, v24
	s_delay_alu instid0(VALU_DEP_1) | instskip(SKIP_1) | instid1(VALU_DEP_3)
	v_add_co_ci_u32_e64 v23, null, s1, 0, s2
	v_add_nc_u32_e32 v12, v18, v12
	v_add_co_u32 v16, vcc_lo, 0x1000, v22
	s_delay_alu instid0(VALU_DEP_3)
	v_add_co_ci_u32_e32 v17, vcc_lo, 0, v23, vcc_lo
	v_add_co_u32 v18, vcc_lo, 0x2000, v22
	v_add_nc_u32_e32 v13, v19, v13
	v_add_co_ci_u32_e32 v19, vcc_lo, 0, v23, vcc_lo
	v_add_nc_u32_e32 v14, v20, v14
	v_add_co_u32 v20, vcc_lo, 0x3000, v22
	v_add_nc_u32_e32 v15, v21, v15
	v_add_co_ci_u32_e32 v21, vcc_lo, 0, v23, vcc_lo
	v_add_nc_u32_e32 v11, v25, v11
	v_add_co_u32 v22, vcc_lo, 0x4000, v22
	s_waitcnt lgkmcnt(1)
	v_add_nc_u32_e32 v4, v26, v4
	v_add_nc_u32_e32 v5, v27, v5
	;; [unrolled: 1-line block ×4, first 2 shown]
	s_waitcnt lgkmcnt(0)
	v_add_nc_u32_e32 v0, v32, v0
	v_add_nc_u32_e32 v1, v33, v1
	;; [unrolled: 1-line block ×4, first 2 shown]
	v_add_co_ci_u32_e32 v23, vcc_lo, 0, v23, vcc_lo
	s_clause 0x7
	global_store_b64 v24, v[12:13], s[0:1]
	global_store_b64 v24, v[14:15], s[0:1] offset:2560
	global_store_b64 v[16:17], v[8:9], off offset:1024
	global_store_b64 v[16:17], v[10:11], off offset:3584
	;; [unrolled: 1-line block ×6, first 2 shown]
	s_nop 0
	s_sendmsg sendmsg(MSG_DEALLOC_VGPRS)
	s_endpgm
	.section	.rodata,"a",@progbits
	.p2align	6, 0x0
	.amdhsa_kernel _Z17sort_pairs_kernelI22helper_blocked_blockedN15benchmark_utils11custom_typeIiiEELj320ELj8ELj10EEvPKT0_PS4_
		.amdhsa_group_segment_fixed_size 21120
		.amdhsa_private_segment_fixed_size 0
		.amdhsa_kernarg_size 272
		.amdhsa_user_sgpr_count 15
		.amdhsa_user_sgpr_dispatch_ptr 0
		.amdhsa_user_sgpr_queue_ptr 0
		.amdhsa_user_sgpr_kernarg_segment_ptr 1
		.amdhsa_user_sgpr_dispatch_id 0
		.amdhsa_user_sgpr_private_segment_size 0
		.amdhsa_wavefront_size32 1
		.amdhsa_uses_dynamic_stack 0
		.amdhsa_enable_private_segment 0
		.amdhsa_system_sgpr_workgroup_id_x 1
		.amdhsa_system_sgpr_workgroup_id_y 0
		.amdhsa_system_sgpr_workgroup_id_z 0
		.amdhsa_system_sgpr_workgroup_info 0
		.amdhsa_system_vgpr_workitem_id 2
		.amdhsa_next_free_vgpr 90
		.amdhsa_next_free_sgpr 29
		.amdhsa_reserve_vcc 1
		.amdhsa_float_round_mode_32 0
		.amdhsa_float_round_mode_16_64 0
		.amdhsa_float_denorm_mode_32 3
		.amdhsa_float_denorm_mode_16_64 3
		.amdhsa_dx10_clamp 1
		.amdhsa_ieee_mode 1
		.amdhsa_fp16_overflow 0
		.amdhsa_workgroup_processor_mode 1
		.amdhsa_memory_ordered 1
		.amdhsa_forward_progress 0
		.amdhsa_shared_vgpr_count 0
		.amdhsa_exception_fp_ieee_invalid_op 0
		.amdhsa_exception_fp_denorm_src 0
		.amdhsa_exception_fp_ieee_div_zero 0
		.amdhsa_exception_fp_ieee_overflow 0
		.amdhsa_exception_fp_ieee_underflow 0
		.amdhsa_exception_fp_ieee_inexact 0
		.amdhsa_exception_int_div_zero 0
	.end_amdhsa_kernel
	.section	.text._Z17sort_pairs_kernelI22helper_blocked_blockedN15benchmark_utils11custom_typeIiiEELj320ELj8ELj10EEvPKT0_PS4_,"axG",@progbits,_Z17sort_pairs_kernelI22helper_blocked_blockedN15benchmark_utils11custom_typeIiiEELj320ELj8ELj10EEvPKT0_PS4_,comdat
.Lfunc_end183:
	.size	_Z17sort_pairs_kernelI22helper_blocked_blockedN15benchmark_utils11custom_typeIiiEELj320ELj8ELj10EEvPKT0_PS4_, .Lfunc_end183-_Z17sort_pairs_kernelI22helper_blocked_blockedN15benchmark_utils11custom_typeIiiEELj320ELj8ELj10EEvPKT0_PS4_
                                        ; -- End function
	.section	.AMDGPU.csdata,"",@progbits
; Kernel info:
; codeLenInByte = 6232
; NumSgprs: 31
; NumVgprs: 90
; ScratchSize: 0
; MemoryBound: 0
; FloatMode: 240
; IeeeMode: 1
; LDSByteSize: 21120 bytes/workgroup (compile time only)
; SGPRBlocks: 3
; VGPRBlocks: 11
; NumSGPRsForWavesPerEU: 31
; NumVGPRsForWavesPerEU: 90
; Occupancy: 15
; WaveLimiterHint : 1
; COMPUTE_PGM_RSRC2:SCRATCH_EN: 0
; COMPUTE_PGM_RSRC2:USER_SGPR: 15
; COMPUTE_PGM_RSRC2:TRAP_HANDLER: 0
; COMPUTE_PGM_RSRC2:TGID_X_EN: 1
; COMPUTE_PGM_RSRC2:TGID_Y_EN: 0
; COMPUTE_PGM_RSRC2:TGID_Z_EN: 0
; COMPUTE_PGM_RSRC2:TIDIG_COMP_CNT: 2
	.section	.text._Z16sort_keys_kernelI22helper_blocked_blockedN15benchmark_utils11custom_typeIiiEELj512ELj1ELj10EEvPKT0_PS4_,"axG",@progbits,_Z16sort_keys_kernelI22helper_blocked_blockedN15benchmark_utils11custom_typeIiiEELj512ELj1ELj10EEvPKT0_PS4_,comdat
	.protected	_Z16sort_keys_kernelI22helper_blocked_blockedN15benchmark_utils11custom_typeIiiEELj512ELj1ELj10EEvPKT0_PS4_ ; -- Begin function _Z16sort_keys_kernelI22helper_blocked_blockedN15benchmark_utils11custom_typeIiiEELj512ELj1ELj10EEvPKT0_PS4_
	.globl	_Z16sort_keys_kernelI22helper_blocked_blockedN15benchmark_utils11custom_typeIiiEELj512ELj1ELj10EEvPKT0_PS4_
	.p2align	8
	.type	_Z16sort_keys_kernelI22helper_blocked_blockedN15benchmark_utils11custom_typeIiiEELj512ELj1ELj10EEvPKT0_PS4_,@function
_Z16sort_keys_kernelI22helper_blocked_blockedN15benchmark_utils11custom_typeIiiEELj512ELj1ELj10EEvPKT0_PS4_: ; @_Z16sort_keys_kernelI22helper_blocked_blockedN15benchmark_utils11custom_typeIiiEELj512ELj1ELj10EEvPKT0_PS4_
; %bb.0:
	s_clause 0x1
	s_load_b128 s[16:19], s[0:1], 0x0
	s_load_b32 s8, s[0:1], 0x1c
	s_mov_b32 s21, 0
	s_lshl_b32 s20, s15, 9
	s_mov_b32 s14, s21
	s_mov_b32 s15, s21
	v_dual_mov_b32 v9, s14 :: v_dual_and_b32 v8, 0x3ff, v0
	s_lshl_b64 s[12:13], s[20:21], 3
	v_mov_b32_e32 v10, s15
	v_mbcnt_lo_u32_b32 v5, -1, 0
	s_delay_alu instid0(VALU_DEP_3)
	v_lshlrev_b32_e32 v1, 3, v8
	v_bfe_u32 v3, v0, 10, 10
	v_bfe_u32 v0, v0, 20, 10
	s_mov_b32 s20, s21
	v_and_b32_e32 v6, 16, v5
	v_add_nc_u32_e32 v7, -1, v5
	v_dual_mov_b32 v11, s20 :: v_dual_and_b32 v4, 15, v5
	v_mov_b32_e32 v12, s21
	s_waitcnt lgkmcnt(0)
	s_add_u32 s0, s16, s12
	s_addc_u32 s1, s17, s13
	s_lshr_b32 s9, s8, 16
	global_load_b64 v[1:2], v1, s[0:1]
	v_mad_u32_u24 v0, v0, s9, v3
	v_lshlrev_b32_e32 v15, 5, v8
	v_cmp_eq_u32_e64 s4, 0, v6
	v_and_b32_e32 v6, 0x1e0, v8
	v_cmp_gt_i32_e64 s7, 0, v7
	v_lshrrev_b32_e32 v13, 3, v8
	s_and_b32 s8, s8, 0xffff
	v_cmp_eq_u32_e64 s0, 0, v4
	v_cmp_lt_u32_e64 s1, 1, v4
	v_cmp_lt_u32_e64 s2, 3, v4
	;; [unrolled: 1-line block ×3, first 2 shown]
	v_mad_u64_u32 v[3:4], null, v0, s8, v[8:9]
	v_cndmask_b32_e64 v7, v7, v5, s7
	v_lshlrev_b32_e32 v23, 2, v8
	v_or_b32_e32 v14, 31, v6
	v_and_b32_e32 v17, 60, v13
	v_or_b32_e32 v0, v5, v6
	v_mad_i32_i24 v19, 0xffffffe4, v8, v15
	v_cmp_eq_u32_e32 vcc_lo, 0, v5
	v_cmp_gt_u32_e64 s5, 16, v8
	v_cmp_lt_u32_e64 s6, 31, v8
	v_cmp_eq_u32_e64 s7, 0, v8
	v_add_nc_u32_e32 v16, 64, v15
	v_lshlrev_b32_e32 v18, 2, v7
	v_cmp_eq_u32_e64 s8, v14, v8
	v_add_nc_u32_e32 v20, -4, v17
	v_lshlrev_b32_e32 v21, 3, v0
	v_lshrrev_b32_e32 v22, 5, v3
	v_add_nc_u32_e32 v23, v19, v23
	s_mov_b32 s16, 10
	s_waitcnt vmcnt(0)
	v_xor_b32_e32 v13, 0x80000000, v1
	v_xor_b32_e32 v14, 0x80000000, v2
	s_branch .LBB184_2
.LBB184_1:                              ;   in Loop: Header=BB184_2 Depth=1
	s_or_b32 exec_lo, exec_lo, s9
	s_waitcnt lgkmcnt(0)
	v_add_nc_u32_e32 v3, v26, v3
	s_add_i32 s16, s16, -1
	s_delay_alu instid0(SALU_CYCLE_1) | instskip(SKIP_3) | instid1(VALU_DEP_1)
	s_cmp_eq_u32 s16, 0
	ds_bpermute_b32 v3, v18, v3
	s_waitcnt lgkmcnt(0)
	v_cndmask_b32_e32 v3, v3, v26, vcc_lo
	v_cndmask_b32_e64 v3, v3, 0, s7
	s_delay_alu instid0(VALU_DEP_1) | instskip(NEXT) | instid1(VALU_DEP_1)
	v_add_nc_u32_e32 v4, v3, v4
	v_add_nc_u32_e32 v5, v4, v5
	s_delay_alu instid0(VALU_DEP_1) | instskip(NEXT) | instid1(VALU_DEP_1)
	v_add_nc_u32_e32 v6, v5, v6
	v_add_nc_u32_e32 v26, v6, v7
	;; [unrolled: 3-line block ×3, first 2 shown]
	s_delay_alu instid0(VALU_DEP_1)
	v_add_nc_u32_e32 v1, v0, v2
	ds_store_2addr_b64 v15, v[3:4], v[5:6] offset0:8 offset1:9
	ds_store_2addr_b64 v16, v[26:27], v[0:1] offset0:2 offset1:3
	s_waitcnt lgkmcnt(0)
	s_barrier
	buffer_gl0_inv
	ds_load_b32 v0, v25
	v_lshlrev_b32_e32 v1, 3, v24
	s_waitcnt lgkmcnt(0)
	s_barrier
	buffer_gl0_inv
	v_lshl_add_u32 v0, v0, 3, v1
	ds_store_b64 v0, v[13:14]
	s_waitcnt lgkmcnt(0)
	s_barrier
	buffer_gl0_inv
	ds_load_b64 v[13:14], v23
	s_cbranch_scc1 .LBB184_66
.LBB184_2:                              ; =>This Inner Loop Header: Depth=1
	s_waitcnt lgkmcnt(0)
	s_delay_alu instid0(VALU_DEP_1)
	v_and_b32_e32 v0, 1, v14
	v_lshlrev_b32_e32 v1, 30, v14
	v_lshlrev_b32_e32 v2, 29, v14
	;; [unrolled: 1-line block ×4, first 2 shown]
	v_add_co_u32 v0, s9, v0, -1
	s_delay_alu instid0(VALU_DEP_1)
	v_cndmask_b32_e64 v3, 0, 1, s9
	v_not_b32_e32 v7, v1
	v_cmp_gt_i32_e64 s10, 0, v1
	v_not_b32_e32 v1, v2
	v_lshlrev_b32_e32 v6, 26, v14
	v_cmp_ne_u32_e64 s9, 0, v3
	v_ashrrev_i32_e32 v7, 31, v7
	v_lshlrev_b32_e32 v3, 25, v14
	v_ashrrev_i32_e32 v1, 31, v1
	v_cmp_gt_i32_e64 s11, 0, v5
	v_xor_b32_e32 v0, s9, v0
	v_cmp_gt_i32_e64 s9, 0, v2
	v_not_b32_e32 v2, v4
	v_xor_b32_e32 v7, s10, v7
	v_cmp_gt_i32_e64 s10, 0, v4
	v_and_b32_e32 v0, exec_lo, v0
	v_xor_b32_e32 v1, s9, v1
	v_ashrrev_i32_e32 v2, 31, v2
	v_not_b32_e32 v4, v5
	v_not_b32_e32 v5, v6
	v_and_b32_e32 v0, v0, v7
	v_cmp_gt_i32_e64 s9, 0, v6
	v_xor_b32_e32 v2, s10, v2
	v_not_b32_e32 v6, v3
	ds_store_2addr_b64 v15, v[11:12], v[9:10] offset0:8 offset1:9
	ds_store_2addr_b64 v16, v[11:12], v[9:10] offset0:2 offset1:3
	v_and_b32_e32 v0, v0, v1
	v_ashrrev_i32_e32 v1, 31, v4
	v_ashrrev_i32_e32 v4, 31, v5
	v_lshlrev_b32_e32 v5, 24, v14
	s_waitcnt lgkmcnt(0)
	v_and_b32_e32 v0, v0, v2
	v_xor_b32_e32 v1, s11, v1
	v_xor_b32_e32 v2, s9, v4
	v_cmp_gt_i32_e64 s9, 0, v3
	v_not_b32_e32 v3, v5
	v_ashrrev_i32_e32 v4, 31, v6
	v_and_b32_e32 v0, v0, v1
	v_cmp_gt_i32_e64 s10, 0, v5
	s_barrier
	v_ashrrev_i32_e32 v1, 31, v3
	v_xor_b32_e32 v3, s9, v4
	v_and_b32_e32 v0, v0, v2
	buffer_gl0_inv
	v_xor_b32_e32 v1, s10, v1
	; wave barrier
	v_and_b32_e32 v0, v0, v3
	s_delay_alu instid0(VALU_DEP_1) | instskip(SKIP_1) | instid1(VALU_DEP_2)
	v_and_b32_e32 v0, v0, v1
	v_and_b32_e32 v1, 0xff, v14
	v_mbcnt_lo_u32_b32 v24, v0, 0
	s_delay_alu instid0(VALU_DEP_2) | instskip(SKIP_1) | instid1(VALU_DEP_3)
	v_lshl_add_u32 v1, v1, 4, v22
	v_cmp_ne_u32_e64 s10, 0, v0
	v_cmp_eq_u32_e64 s9, 0, v24
	s_delay_alu instid0(VALU_DEP_3) | instskip(NEXT) | instid1(VALU_DEP_2)
	v_lshl_add_u32 v25, v1, 2, 64
	s_and_b32 s10, s10, s9
	s_delay_alu instid0(SALU_CYCLE_1)
	s_and_saveexec_b32 s9, s10
	s_cbranch_execz .LBB184_4
; %bb.3:                                ;   in Loop: Header=BB184_2 Depth=1
	v_bcnt_u32_b32 v0, v0, 0
	ds_store_b32 v25, v0
.LBB184_4:                              ;   in Loop: Header=BB184_2 Depth=1
	s_or_b32 exec_lo, exec_lo, s9
	; wave barrier
	s_waitcnt lgkmcnt(0)
	s_barrier
	buffer_gl0_inv
	ds_load_2addr_b64 v[4:7], v15 offset0:8 offset1:9
	ds_load_2addr_b64 v[0:3], v16 offset0:2 offset1:3
	s_waitcnt lgkmcnt(1)
	v_add_nc_u32_e32 v26, v5, v4
	s_delay_alu instid0(VALU_DEP_1) | instskip(SKIP_1) | instid1(VALU_DEP_1)
	v_add3_u32 v26, v26, v6, v7
	s_waitcnt lgkmcnt(0)
	v_add3_u32 v26, v26, v0, v1
	s_delay_alu instid0(VALU_DEP_1) | instskip(NEXT) | instid1(VALU_DEP_1)
	v_add3_u32 v3, v26, v2, v3
	v_mov_b32_dpp v26, v3 row_shr:1 row_mask:0xf bank_mask:0xf
	s_delay_alu instid0(VALU_DEP_1) | instskip(NEXT) | instid1(VALU_DEP_1)
	v_cndmask_b32_e64 v26, v26, 0, s0
	v_add_nc_u32_e32 v3, v26, v3
	s_delay_alu instid0(VALU_DEP_1) | instskip(NEXT) | instid1(VALU_DEP_1)
	v_mov_b32_dpp v26, v3 row_shr:2 row_mask:0xf bank_mask:0xf
	v_cndmask_b32_e64 v26, 0, v26, s1
	s_delay_alu instid0(VALU_DEP_1) | instskip(NEXT) | instid1(VALU_DEP_1)
	v_add_nc_u32_e32 v3, v3, v26
	v_mov_b32_dpp v26, v3 row_shr:4 row_mask:0xf bank_mask:0xf
	s_delay_alu instid0(VALU_DEP_1) | instskip(NEXT) | instid1(VALU_DEP_1)
	v_cndmask_b32_e64 v26, 0, v26, s2
	v_add_nc_u32_e32 v3, v3, v26
	s_delay_alu instid0(VALU_DEP_1) | instskip(NEXT) | instid1(VALU_DEP_1)
	v_mov_b32_dpp v26, v3 row_shr:8 row_mask:0xf bank_mask:0xf
	v_cndmask_b32_e64 v26, 0, v26, s3
	s_delay_alu instid0(VALU_DEP_1) | instskip(SKIP_3) | instid1(VALU_DEP_1)
	v_add_nc_u32_e32 v3, v3, v26
	ds_swizzle_b32 v26, v3 offset:swizzle(BROADCAST,32,15)
	s_waitcnt lgkmcnt(0)
	v_cndmask_b32_e64 v26, v26, 0, s4
	v_add_nc_u32_e32 v3, v3, v26
	s_and_saveexec_b32 s9, s8
	s_cbranch_execz .LBB184_6
; %bb.5:                                ;   in Loop: Header=BB184_2 Depth=1
	ds_store_b32 v17, v3
.LBB184_6:                              ;   in Loop: Header=BB184_2 Depth=1
	s_or_b32 exec_lo, exec_lo, s9
	s_waitcnt lgkmcnt(0)
	s_barrier
	buffer_gl0_inv
	s_and_saveexec_b32 s9, s5
	s_cbranch_execz .LBB184_8
; %bb.7:                                ;   in Loop: Header=BB184_2 Depth=1
	ds_load_b32 v26, v19
	s_waitcnt lgkmcnt(0)
	v_mov_b32_dpp v27, v26 row_shr:1 row_mask:0xf bank_mask:0xf
	s_delay_alu instid0(VALU_DEP_1) | instskip(NEXT) | instid1(VALU_DEP_1)
	v_cndmask_b32_e64 v27, v27, 0, s0
	v_add_nc_u32_e32 v26, v27, v26
	s_delay_alu instid0(VALU_DEP_1) | instskip(NEXT) | instid1(VALU_DEP_1)
	v_mov_b32_dpp v27, v26 row_shr:2 row_mask:0xf bank_mask:0xf
	v_cndmask_b32_e64 v27, 0, v27, s1
	s_delay_alu instid0(VALU_DEP_1) | instskip(NEXT) | instid1(VALU_DEP_1)
	v_add_nc_u32_e32 v26, v26, v27
	v_mov_b32_dpp v27, v26 row_shr:4 row_mask:0xf bank_mask:0xf
	s_delay_alu instid0(VALU_DEP_1) | instskip(NEXT) | instid1(VALU_DEP_1)
	v_cndmask_b32_e64 v27, 0, v27, s2
	v_add_nc_u32_e32 v26, v26, v27
	s_delay_alu instid0(VALU_DEP_1) | instskip(NEXT) | instid1(VALU_DEP_1)
	v_mov_b32_dpp v27, v26 row_shr:8 row_mask:0xf bank_mask:0xf
	v_cndmask_b32_e64 v27, 0, v27, s3
	s_delay_alu instid0(VALU_DEP_1)
	v_add_nc_u32_e32 v26, v26, v27
	ds_store_b32 v19, v26
.LBB184_8:                              ;   in Loop: Header=BB184_2 Depth=1
	s_or_b32 exec_lo, exec_lo, s9
	v_mov_b32_e32 v26, 0
	s_waitcnt lgkmcnt(0)
	s_barrier
	buffer_gl0_inv
	s_and_saveexec_b32 s9, s6
	s_cbranch_execz .LBB184_10
; %bb.9:                                ;   in Loop: Header=BB184_2 Depth=1
	ds_load_b32 v26, v20
.LBB184_10:                             ;   in Loop: Header=BB184_2 Depth=1
	s_or_b32 exec_lo, exec_lo, s9
	s_waitcnt lgkmcnt(0)
	v_add_nc_u32_e32 v3, v26, v3
	ds_bpermute_b32 v3, v18, v3
	s_waitcnt lgkmcnt(0)
	v_cndmask_b32_e32 v3, v3, v26, vcc_lo
	s_delay_alu instid0(VALU_DEP_1) | instskip(NEXT) | instid1(VALU_DEP_1)
	v_cndmask_b32_e64 v3, v3, 0, s7
	v_add_nc_u32_e32 v4, v3, v4
	s_delay_alu instid0(VALU_DEP_1) | instskip(NEXT) | instid1(VALU_DEP_1)
	v_add_nc_u32_e32 v5, v4, v5
	v_add_nc_u32_e32 v6, v5, v6
	s_delay_alu instid0(VALU_DEP_1) | instskip(NEXT) | instid1(VALU_DEP_1)
	v_add_nc_u32_e32 v26, v6, v7
	;; [unrolled: 3-line block ×3, first 2 shown]
	v_add_nc_u32_e32 v1, v0, v2
	ds_store_2addr_b64 v15, v[3:4], v[5:6] offset0:8 offset1:9
	ds_store_2addr_b64 v16, v[26:27], v[0:1] offset0:2 offset1:3
	s_waitcnt lgkmcnt(0)
	s_barrier
	buffer_gl0_inv
	ds_load_b32 v0, v25
	v_lshlrev_b32_e32 v1, 3, v24
	s_waitcnt lgkmcnt(0)
	s_barrier
	buffer_gl0_inv
	v_lshl_add_u32 v0, v0, 3, v1
	ds_store_b64 v0, v[13:14]
	s_waitcnt lgkmcnt(0)
	s_barrier
	buffer_gl0_inv
	ds_load_b64 v[13:14], v21
	s_waitcnt lgkmcnt(0)
	s_barrier
	buffer_gl0_inv
	ds_store_2addr_b64 v15, v[11:12], v[9:10] offset0:8 offset1:9
	ds_store_2addr_b64 v16, v[11:12], v[9:10] offset0:2 offset1:3
	s_waitcnt lgkmcnt(0)
	s_barrier
	buffer_gl0_inv
	; wave barrier
	v_bfe_u32 v0, v14, 8, 1
	v_lshrrev_b32_e32 v1, 8, v14
	s_delay_alu instid0(VALU_DEP_2) | instskip(NEXT) | instid1(VALU_DEP_1)
	v_add_co_u32 v0, s9, v0, -1
	v_cndmask_b32_e64 v2, 0, 1, s9
	s_delay_alu instid0(VALU_DEP_3)
	v_lshlrev_b32_e32 v3, 30, v1
	v_lshlrev_b32_e32 v4, 29, v1
	;; [unrolled: 1-line block ×4, first 2 shown]
	v_cmp_ne_u32_e64 s9, 0, v2
	v_not_b32_e32 v2, v3
	v_cmp_gt_i32_e64 s10, 0, v3
	v_not_b32_e32 v3, v4
	v_lshlrev_b32_e32 v7, 26, v1
	v_xor_b32_e32 v0, s9, v0
	v_ashrrev_i32_e32 v2, 31, v2
	v_cmp_gt_i32_e64 s9, 0, v4
	v_not_b32_e32 v4, v5
	v_ashrrev_i32_e32 v3, 31, v3
	v_and_b32_e32 v0, exec_lo, v0
	v_xor_b32_e32 v2, s10, v2
	v_cmp_gt_i32_e64 s10, 0, v5
	v_not_b32_e32 v5, v6
	v_ashrrev_i32_e32 v4, 31, v4
	v_xor_b32_e32 v3, s9, v3
	v_and_b32_e32 v0, v0, v2
	v_lshlrev_b32_e32 v24, 25, v1
	v_cmp_gt_i32_e64 s9, 0, v6
	v_not_b32_e32 v2, v7
	v_ashrrev_i32_e32 v5, 31, v5
	v_xor_b32_e32 v4, s10, v4
	v_and_b32_e32 v0, v0, v3
	v_lshlrev_b32_e32 v1, 24, v1
	v_cmp_gt_i32_e64 s10, 0, v7
	v_not_b32_e32 v3, v24
	v_ashrrev_i32_e32 v2, 31, v2
	v_xor_b32_e32 v5, s9, v5
	v_and_b32_e32 v0, v0, v4
	v_cmp_gt_i32_e64 s9, 0, v24
	v_not_b32_e32 v4, v1
	v_ashrrev_i32_e32 v3, 31, v3
	v_xor_b32_e32 v2, s10, v2
	v_and_b32_e32 v0, v0, v5
	v_cmp_gt_i32_e64 s10, 0, v1
	v_ashrrev_i32_e32 v1, 31, v4
	v_xor_b32_e32 v3, s9, v3
	s_delay_alu instid0(VALU_DEP_4) | instskip(SKIP_1) | instid1(VALU_DEP_4)
	v_and_b32_e32 v0, v0, v2
	v_lshrrev_b32_e32 v2, 4, v14
	v_xor_b32_e32 v1, s10, v1
	s_delay_alu instid0(VALU_DEP_3) | instskip(NEXT) | instid1(VALU_DEP_1)
	v_and_b32_e32 v0, v0, v3
	v_and_b32_e32 v0, v0, v1
	s_delay_alu instid0(VALU_DEP_4) | instskip(NEXT) | instid1(VALU_DEP_2)
	v_and_b32_e32 v1, 0xff0, v2
	v_mbcnt_lo_u32_b32 v24, v0, 0
	s_delay_alu instid0(VALU_DEP_2) | instskip(SKIP_1) | instid1(VALU_DEP_3)
	v_add_nc_u32_e32 v1, v1, v22
	v_cmp_ne_u32_e64 s10, 0, v0
	v_cmp_eq_u32_e64 s9, 0, v24
	s_delay_alu instid0(VALU_DEP_3) | instskip(NEXT) | instid1(VALU_DEP_2)
	v_lshl_add_u32 v25, v1, 2, 64
	s_and_b32 s10, s10, s9
	s_delay_alu instid0(SALU_CYCLE_1)
	s_and_saveexec_b32 s9, s10
	s_cbranch_execz .LBB184_12
; %bb.11:                               ;   in Loop: Header=BB184_2 Depth=1
	v_bcnt_u32_b32 v0, v0, 0
	ds_store_b32 v25, v0
.LBB184_12:                             ;   in Loop: Header=BB184_2 Depth=1
	s_or_b32 exec_lo, exec_lo, s9
	; wave barrier
	s_waitcnt lgkmcnt(0)
	s_barrier
	buffer_gl0_inv
	ds_load_2addr_b64 v[4:7], v15 offset0:8 offset1:9
	ds_load_2addr_b64 v[0:3], v16 offset0:2 offset1:3
	s_waitcnt lgkmcnt(1)
	v_add_nc_u32_e32 v26, v5, v4
	s_delay_alu instid0(VALU_DEP_1) | instskip(SKIP_1) | instid1(VALU_DEP_1)
	v_add3_u32 v26, v26, v6, v7
	s_waitcnt lgkmcnt(0)
	v_add3_u32 v26, v26, v0, v1
	s_delay_alu instid0(VALU_DEP_1) | instskip(NEXT) | instid1(VALU_DEP_1)
	v_add3_u32 v3, v26, v2, v3
	v_mov_b32_dpp v26, v3 row_shr:1 row_mask:0xf bank_mask:0xf
	s_delay_alu instid0(VALU_DEP_1) | instskip(NEXT) | instid1(VALU_DEP_1)
	v_cndmask_b32_e64 v26, v26, 0, s0
	v_add_nc_u32_e32 v3, v26, v3
	s_delay_alu instid0(VALU_DEP_1) | instskip(NEXT) | instid1(VALU_DEP_1)
	v_mov_b32_dpp v26, v3 row_shr:2 row_mask:0xf bank_mask:0xf
	v_cndmask_b32_e64 v26, 0, v26, s1
	s_delay_alu instid0(VALU_DEP_1) | instskip(NEXT) | instid1(VALU_DEP_1)
	v_add_nc_u32_e32 v3, v3, v26
	v_mov_b32_dpp v26, v3 row_shr:4 row_mask:0xf bank_mask:0xf
	s_delay_alu instid0(VALU_DEP_1) | instskip(NEXT) | instid1(VALU_DEP_1)
	v_cndmask_b32_e64 v26, 0, v26, s2
	v_add_nc_u32_e32 v3, v3, v26
	s_delay_alu instid0(VALU_DEP_1) | instskip(NEXT) | instid1(VALU_DEP_1)
	v_mov_b32_dpp v26, v3 row_shr:8 row_mask:0xf bank_mask:0xf
	v_cndmask_b32_e64 v26, 0, v26, s3
	s_delay_alu instid0(VALU_DEP_1) | instskip(SKIP_3) | instid1(VALU_DEP_1)
	v_add_nc_u32_e32 v3, v3, v26
	ds_swizzle_b32 v26, v3 offset:swizzle(BROADCAST,32,15)
	s_waitcnt lgkmcnt(0)
	v_cndmask_b32_e64 v26, v26, 0, s4
	v_add_nc_u32_e32 v3, v3, v26
	s_and_saveexec_b32 s9, s8
	s_cbranch_execz .LBB184_14
; %bb.13:                               ;   in Loop: Header=BB184_2 Depth=1
	ds_store_b32 v17, v3
.LBB184_14:                             ;   in Loop: Header=BB184_2 Depth=1
	s_or_b32 exec_lo, exec_lo, s9
	s_waitcnt lgkmcnt(0)
	s_barrier
	buffer_gl0_inv
	s_and_saveexec_b32 s9, s5
	s_cbranch_execz .LBB184_16
; %bb.15:                               ;   in Loop: Header=BB184_2 Depth=1
	ds_load_b32 v26, v19
	s_waitcnt lgkmcnt(0)
	v_mov_b32_dpp v27, v26 row_shr:1 row_mask:0xf bank_mask:0xf
	s_delay_alu instid0(VALU_DEP_1) | instskip(NEXT) | instid1(VALU_DEP_1)
	v_cndmask_b32_e64 v27, v27, 0, s0
	v_add_nc_u32_e32 v26, v27, v26
	s_delay_alu instid0(VALU_DEP_1) | instskip(NEXT) | instid1(VALU_DEP_1)
	v_mov_b32_dpp v27, v26 row_shr:2 row_mask:0xf bank_mask:0xf
	v_cndmask_b32_e64 v27, 0, v27, s1
	s_delay_alu instid0(VALU_DEP_1) | instskip(NEXT) | instid1(VALU_DEP_1)
	v_add_nc_u32_e32 v26, v26, v27
	v_mov_b32_dpp v27, v26 row_shr:4 row_mask:0xf bank_mask:0xf
	s_delay_alu instid0(VALU_DEP_1) | instskip(NEXT) | instid1(VALU_DEP_1)
	v_cndmask_b32_e64 v27, 0, v27, s2
	v_add_nc_u32_e32 v26, v26, v27
	s_delay_alu instid0(VALU_DEP_1) | instskip(NEXT) | instid1(VALU_DEP_1)
	v_mov_b32_dpp v27, v26 row_shr:8 row_mask:0xf bank_mask:0xf
	v_cndmask_b32_e64 v27, 0, v27, s3
	s_delay_alu instid0(VALU_DEP_1)
	v_add_nc_u32_e32 v26, v26, v27
	ds_store_b32 v19, v26
.LBB184_16:                             ;   in Loop: Header=BB184_2 Depth=1
	s_or_b32 exec_lo, exec_lo, s9
	v_mov_b32_e32 v26, 0
	s_waitcnt lgkmcnt(0)
	s_barrier
	buffer_gl0_inv
	s_and_saveexec_b32 s9, s6
	s_cbranch_execz .LBB184_18
; %bb.17:                               ;   in Loop: Header=BB184_2 Depth=1
	ds_load_b32 v26, v20
.LBB184_18:                             ;   in Loop: Header=BB184_2 Depth=1
	s_or_b32 exec_lo, exec_lo, s9
	s_waitcnt lgkmcnt(0)
	v_add_nc_u32_e32 v3, v26, v3
	ds_bpermute_b32 v3, v18, v3
	s_waitcnt lgkmcnt(0)
	v_cndmask_b32_e32 v3, v3, v26, vcc_lo
	s_delay_alu instid0(VALU_DEP_1) | instskip(NEXT) | instid1(VALU_DEP_1)
	v_cndmask_b32_e64 v3, v3, 0, s7
	v_add_nc_u32_e32 v4, v3, v4
	s_delay_alu instid0(VALU_DEP_1) | instskip(NEXT) | instid1(VALU_DEP_1)
	v_add_nc_u32_e32 v5, v4, v5
	v_add_nc_u32_e32 v6, v5, v6
	s_delay_alu instid0(VALU_DEP_1) | instskip(NEXT) | instid1(VALU_DEP_1)
	v_add_nc_u32_e32 v26, v6, v7
	;; [unrolled: 3-line block ×3, first 2 shown]
	v_add_nc_u32_e32 v1, v0, v2
	ds_store_2addr_b64 v15, v[3:4], v[5:6] offset0:8 offset1:9
	ds_store_2addr_b64 v16, v[26:27], v[0:1] offset0:2 offset1:3
	s_waitcnt lgkmcnt(0)
	s_barrier
	buffer_gl0_inv
	ds_load_b32 v0, v25
	v_lshlrev_b32_e32 v1, 3, v24
	s_waitcnt lgkmcnt(0)
	s_barrier
	buffer_gl0_inv
	v_lshl_add_u32 v0, v0, 3, v1
	ds_store_b64 v0, v[13:14]
	s_waitcnt lgkmcnt(0)
	s_barrier
	buffer_gl0_inv
	ds_load_b64 v[13:14], v21
	s_waitcnt lgkmcnt(0)
	s_barrier
	buffer_gl0_inv
	v_bfe_u32 v0, v14, 16, 1
	v_lshrrev_b32_e32 v1, 16, v14
	s_delay_alu instid0(VALU_DEP_2) | instskip(NEXT) | instid1(VALU_DEP_1)
	v_add_co_u32 v0, s9, v0, -1
	v_cndmask_b32_e64 v2, 0, 1, s9
	s_delay_alu instid0(VALU_DEP_3)
	v_lshlrev_b32_e32 v3, 30, v1
	v_lshlrev_b32_e32 v4, 29, v1
	;; [unrolled: 1-line block ×4, first 2 shown]
	v_cmp_ne_u32_e64 s9, 0, v2
	v_not_b32_e32 v2, v3
	v_cmp_gt_i32_e64 s10, 0, v3
	v_not_b32_e32 v3, v4
	v_lshlrev_b32_e32 v7, 26, v1
	v_xor_b32_e32 v0, s9, v0
	v_ashrrev_i32_e32 v2, 31, v2
	v_cmp_gt_i32_e64 s9, 0, v4
	v_not_b32_e32 v4, v5
	v_ashrrev_i32_e32 v3, 31, v3
	v_and_b32_e32 v0, exec_lo, v0
	v_xor_b32_e32 v2, s10, v2
	v_cmp_gt_i32_e64 s10, 0, v5
	v_not_b32_e32 v5, v6
	v_ashrrev_i32_e32 v4, 31, v4
	v_xor_b32_e32 v3, s9, v3
	v_and_b32_e32 v0, v0, v2
	v_lshlrev_b32_e32 v24, 25, v1
	v_cmp_gt_i32_e64 s9, 0, v6
	v_not_b32_e32 v2, v7
	v_ashrrev_i32_e32 v5, 31, v5
	v_xor_b32_e32 v4, s10, v4
	v_and_b32_e32 v0, v0, v3
	v_lshlrev_b32_e32 v1, 24, v1
	v_cmp_gt_i32_e64 s10, 0, v7
	v_not_b32_e32 v3, v24
	v_ashrrev_i32_e32 v2, 31, v2
	v_xor_b32_e32 v5, s9, v5
	v_and_b32_e32 v0, v0, v4
	v_cmp_gt_i32_e64 s9, 0, v24
	v_not_b32_e32 v4, v1
	v_ashrrev_i32_e32 v3, 31, v3
	v_xor_b32_e32 v2, s10, v2
	v_and_b32_e32 v0, v0, v5
	v_cmp_gt_i32_e64 s10, 0, v1
	v_ashrrev_i32_e32 v1, 31, v4
	v_xor_b32_e32 v3, s9, v3
	v_lshrrev_b32_e32 v6, 12, v14
	v_and_b32_e32 v0, v0, v2
	s_delay_alu instid0(VALU_DEP_4) | instskip(SKIP_1) | instid1(VALU_DEP_3)
	v_xor_b32_e32 v5, s10, v1
	v_dual_mov_b32 v1, s20 :: v_dual_mov_b32 v2, s21
	v_dual_mov_b32 v3, s14 :: v_dual_and_b32 v0, v0, v3
	v_mov_b32_e32 v4, s15
	ds_store_2addr_b64 v15, v[1:2], v[3:4] offset0:8 offset1:9
	ds_store_2addr_b64 v16, v[1:2], v[3:4] offset0:2 offset1:3
	v_and_b32_e32 v0, v0, v5
	v_and_b32_e32 v5, 0xff0, v6
	s_waitcnt lgkmcnt(0)
	s_barrier
	buffer_gl0_inv
	v_mbcnt_lo_u32_b32 v24, v0, 0
	v_add_nc_u32_e32 v1, v5, v22
	v_cmp_ne_u32_e64 s10, 0, v0
	; wave barrier
	s_delay_alu instid0(VALU_DEP_3) | instskip(NEXT) | instid1(VALU_DEP_3)
	v_cmp_eq_u32_e64 s9, 0, v24
	v_lshl_add_u32 v25, v1, 2, 64
	s_delay_alu instid0(VALU_DEP_2) | instskip(NEXT) | instid1(SALU_CYCLE_1)
	s_and_b32 s10, s10, s9
	s_and_saveexec_b32 s9, s10
	s_cbranch_execz .LBB184_20
; %bb.19:                               ;   in Loop: Header=BB184_2 Depth=1
	v_bcnt_u32_b32 v0, v0, 0
	ds_store_b32 v25, v0
.LBB184_20:                             ;   in Loop: Header=BB184_2 Depth=1
	s_or_b32 exec_lo, exec_lo, s9
	; wave barrier
	s_waitcnt lgkmcnt(0)
	s_barrier
	buffer_gl0_inv
	ds_load_2addr_b64 v[4:7], v15 offset0:8 offset1:9
	ds_load_2addr_b64 v[0:3], v16 offset0:2 offset1:3
	s_waitcnt lgkmcnt(1)
	v_add_nc_u32_e32 v26, v5, v4
	s_delay_alu instid0(VALU_DEP_1) | instskip(SKIP_1) | instid1(VALU_DEP_1)
	v_add3_u32 v26, v26, v6, v7
	s_waitcnt lgkmcnt(0)
	v_add3_u32 v26, v26, v0, v1
	s_delay_alu instid0(VALU_DEP_1) | instskip(NEXT) | instid1(VALU_DEP_1)
	v_add3_u32 v3, v26, v2, v3
	v_mov_b32_dpp v26, v3 row_shr:1 row_mask:0xf bank_mask:0xf
	s_delay_alu instid0(VALU_DEP_1) | instskip(NEXT) | instid1(VALU_DEP_1)
	v_cndmask_b32_e64 v26, v26, 0, s0
	v_add_nc_u32_e32 v3, v26, v3
	s_delay_alu instid0(VALU_DEP_1) | instskip(NEXT) | instid1(VALU_DEP_1)
	v_mov_b32_dpp v26, v3 row_shr:2 row_mask:0xf bank_mask:0xf
	v_cndmask_b32_e64 v26, 0, v26, s1
	s_delay_alu instid0(VALU_DEP_1) | instskip(NEXT) | instid1(VALU_DEP_1)
	v_add_nc_u32_e32 v3, v3, v26
	v_mov_b32_dpp v26, v3 row_shr:4 row_mask:0xf bank_mask:0xf
	s_delay_alu instid0(VALU_DEP_1) | instskip(NEXT) | instid1(VALU_DEP_1)
	v_cndmask_b32_e64 v26, 0, v26, s2
	v_add_nc_u32_e32 v3, v3, v26
	s_delay_alu instid0(VALU_DEP_1) | instskip(NEXT) | instid1(VALU_DEP_1)
	v_mov_b32_dpp v26, v3 row_shr:8 row_mask:0xf bank_mask:0xf
	v_cndmask_b32_e64 v26, 0, v26, s3
	s_delay_alu instid0(VALU_DEP_1) | instskip(SKIP_3) | instid1(VALU_DEP_1)
	v_add_nc_u32_e32 v3, v3, v26
	ds_swizzle_b32 v26, v3 offset:swizzle(BROADCAST,32,15)
	s_waitcnt lgkmcnt(0)
	v_cndmask_b32_e64 v26, v26, 0, s4
	v_add_nc_u32_e32 v3, v3, v26
	s_and_saveexec_b32 s9, s8
	s_cbranch_execz .LBB184_22
; %bb.21:                               ;   in Loop: Header=BB184_2 Depth=1
	ds_store_b32 v17, v3
.LBB184_22:                             ;   in Loop: Header=BB184_2 Depth=1
	s_or_b32 exec_lo, exec_lo, s9
	s_waitcnt lgkmcnt(0)
	s_barrier
	buffer_gl0_inv
	s_and_saveexec_b32 s9, s5
	s_cbranch_execz .LBB184_24
; %bb.23:                               ;   in Loop: Header=BB184_2 Depth=1
	ds_load_b32 v26, v19
	s_waitcnt lgkmcnt(0)
	v_mov_b32_dpp v27, v26 row_shr:1 row_mask:0xf bank_mask:0xf
	s_delay_alu instid0(VALU_DEP_1) | instskip(NEXT) | instid1(VALU_DEP_1)
	v_cndmask_b32_e64 v27, v27, 0, s0
	v_add_nc_u32_e32 v26, v27, v26
	s_delay_alu instid0(VALU_DEP_1) | instskip(NEXT) | instid1(VALU_DEP_1)
	v_mov_b32_dpp v27, v26 row_shr:2 row_mask:0xf bank_mask:0xf
	v_cndmask_b32_e64 v27, 0, v27, s1
	s_delay_alu instid0(VALU_DEP_1) | instskip(NEXT) | instid1(VALU_DEP_1)
	v_add_nc_u32_e32 v26, v26, v27
	v_mov_b32_dpp v27, v26 row_shr:4 row_mask:0xf bank_mask:0xf
	s_delay_alu instid0(VALU_DEP_1) | instskip(NEXT) | instid1(VALU_DEP_1)
	v_cndmask_b32_e64 v27, 0, v27, s2
	v_add_nc_u32_e32 v26, v26, v27
	s_delay_alu instid0(VALU_DEP_1) | instskip(NEXT) | instid1(VALU_DEP_1)
	v_mov_b32_dpp v27, v26 row_shr:8 row_mask:0xf bank_mask:0xf
	v_cndmask_b32_e64 v27, 0, v27, s3
	s_delay_alu instid0(VALU_DEP_1)
	v_add_nc_u32_e32 v26, v26, v27
	ds_store_b32 v19, v26
.LBB184_24:                             ;   in Loop: Header=BB184_2 Depth=1
	s_or_b32 exec_lo, exec_lo, s9
	v_mov_b32_e32 v26, 0
	s_waitcnt lgkmcnt(0)
	s_barrier
	buffer_gl0_inv
	s_and_saveexec_b32 s9, s6
	s_cbranch_execz .LBB184_26
; %bb.25:                               ;   in Loop: Header=BB184_2 Depth=1
	ds_load_b32 v26, v20
.LBB184_26:                             ;   in Loop: Header=BB184_2 Depth=1
	s_or_b32 exec_lo, exec_lo, s9
	s_waitcnt lgkmcnt(0)
	v_add_nc_u32_e32 v3, v26, v3
	ds_bpermute_b32 v3, v18, v3
	s_waitcnt lgkmcnt(0)
	v_cndmask_b32_e32 v3, v3, v26, vcc_lo
	s_delay_alu instid0(VALU_DEP_1) | instskip(NEXT) | instid1(VALU_DEP_1)
	v_cndmask_b32_e64 v3, v3, 0, s7
	v_add_nc_u32_e32 v4, v3, v4
	s_delay_alu instid0(VALU_DEP_1) | instskip(NEXT) | instid1(VALU_DEP_1)
	v_add_nc_u32_e32 v5, v4, v5
	v_add_nc_u32_e32 v6, v5, v6
	s_delay_alu instid0(VALU_DEP_1) | instskip(NEXT) | instid1(VALU_DEP_1)
	v_add_nc_u32_e32 v26, v6, v7
	;; [unrolled: 3-line block ×3, first 2 shown]
	v_add_nc_u32_e32 v1, v0, v2
	ds_store_2addr_b64 v15, v[3:4], v[5:6] offset0:8 offset1:9
	ds_store_2addr_b64 v16, v[26:27], v[0:1] offset0:2 offset1:3
	s_waitcnt lgkmcnt(0)
	s_barrier
	buffer_gl0_inv
	ds_load_b32 v0, v25
	v_lshlrev_b32_e32 v1, 3, v24
	s_waitcnt lgkmcnt(0)
	s_barrier
	buffer_gl0_inv
	v_lshl_add_u32 v0, v0, 3, v1
	ds_store_b64 v0, v[13:14]
	s_waitcnt lgkmcnt(0)
	s_barrier
	buffer_gl0_inv
	ds_load_b64 v[13:14], v21
	s_waitcnt lgkmcnt(0)
	s_barrier
	buffer_gl0_inv
	v_bfe_u32 v0, v14, 24, 1
	v_lshrrev_b32_e32 v5, 24, v14
	s_delay_alu instid0(VALU_DEP_2) | instskip(NEXT) | instid1(VALU_DEP_1)
	v_add_co_u32 v0, s9, v0, -1
	v_cndmask_b32_e64 v1, 0, 1, s9
	s_delay_alu instid0(VALU_DEP_3)
	v_lshlrev_b32_e32 v2, 30, v5
	v_lshlrev_b32_e32 v3, 29, v5
	;; [unrolled: 1-line block ×4, first 2 shown]
	v_cmp_ne_u32_e64 s9, 0, v1
	v_not_b32_e32 v1, v2
	v_cmp_gt_i32_e64 s10, 0, v2
	v_not_b32_e32 v2, v3
	v_lshlrev_b32_e32 v7, 26, v5
	v_xor_b32_e32 v0, s9, v0
	v_ashrrev_i32_e32 v1, 31, v1
	v_cmp_gt_i32_e64 s9, 0, v3
	v_not_b32_e32 v3, v4
	v_ashrrev_i32_e32 v2, 31, v2
	v_and_b32_e32 v0, exec_lo, v0
	v_xor_b32_e32 v1, s10, v1
	v_cmp_gt_i32_e64 s10, 0, v4
	v_not_b32_e32 v4, v6
	v_ashrrev_i32_e32 v3, 31, v3
	v_xor_b32_e32 v2, s9, v2
	v_and_b32_e32 v0, v0, v1
	v_lshlrev_b32_e32 v24, 25, v5
	v_cmp_gt_i32_e64 s9, 0, v6
	v_not_b32_e32 v1, v7
	v_ashrrev_i32_e32 v4, 31, v4
	v_xor_b32_e32 v3, s10, v3
	v_and_b32_e32 v0, v0, v2
	v_cmp_gt_i32_e64 s10, 0, v7
	v_not_b32_e32 v2, v24
	v_ashrrev_i32_e32 v1, 31, v1
	v_xor_b32_e32 v4, s9, v4
	v_and_b32_e32 v0, v0, v3
	v_not_b32_e32 v3, v14
	v_cmp_gt_i32_e64 s9, 0, v24
	v_ashrrev_i32_e32 v2, 31, v2
	v_xor_b32_e32 v1, s10, v1
	v_and_b32_e32 v0, v0, v4
	v_cmp_gt_i32_e64 s10, 0, v14
	v_ashrrev_i32_e32 v3, 31, v3
	v_xor_b32_e32 v2, s9, v2
	s_delay_alu instid0(VALU_DEP_4) | instskip(NEXT) | instid1(VALU_DEP_3)
	v_and_b32_e32 v0, v0, v1
	v_xor_b32_e32 v3, s10, v3
	s_delay_alu instid0(VALU_DEP_2) | instskip(SKIP_1) | instid1(VALU_DEP_2)
	v_dual_mov_b32 v1, s20 :: v_dual_and_b32 v0, v0, v2
	v_mov_b32_e32 v2, s21
	v_dual_mov_b32 v3, s14 :: v_dual_and_b32 v0, v0, v3
	v_mov_b32_e32 v4, s15
	ds_store_2addr_b64 v15, v[1:2], v[3:4] offset0:8 offset1:9
	ds_store_2addr_b64 v16, v[1:2], v[3:4] offset0:2 offset1:3
	v_mbcnt_lo_u32_b32 v24, v0, 0
	v_lshl_add_u32 v1, v5, 4, v22
	v_cmp_ne_u32_e64 s10, 0, v0
	s_waitcnt lgkmcnt(0)
	s_barrier
	v_cmp_eq_u32_e64 s9, 0, v24
	v_lshl_add_u32 v25, v1, 2, 64
	buffer_gl0_inv
	; wave barrier
	s_and_b32 s10, s10, s9
	s_delay_alu instid0(SALU_CYCLE_1)
	s_and_saveexec_b32 s9, s10
	s_cbranch_execz .LBB184_28
; %bb.27:                               ;   in Loop: Header=BB184_2 Depth=1
	v_bcnt_u32_b32 v0, v0, 0
	ds_store_b32 v25, v0
.LBB184_28:                             ;   in Loop: Header=BB184_2 Depth=1
	s_or_b32 exec_lo, exec_lo, s9
	; wave barrier
	s_waitcnt lgkmcnt(0)
	s_barrier
	buffer_gl0_inv
	ds_load_2addr_b64 v[4:7], v15 offset0:8 offset1:9
	ds_load_2addr_b64 v[0:3], v16 offset0:2 offset1:3
	s_waitcnt lgkmcnt(1)
	v_add_nc_u32_e32 v26, v5, v4
	s_delay_alu instid0(VALU_DEP_1) | instskip(SKIP_1) | instid1(VALU_DEP_1)
	v_add3_u32 v26, v26, v6, v7
	s_waitcnt lgkmcnt(0)
	v_add3_u32 v26, v26, v0, v1
	s_delay_alu instid0(VALU_DEP_1) | instskip(NEXT) | instid1(VALU_DEP_1)
	v_add3_u32 v3, v26, v2, v3
	v_mov_b32_dpp v26, v3 row_shr:1 row_mask:0xf bank_mask:0xf
	s_delay_alu instid0(VALU_DEP_1) | instskip(NEXT) | instid1(VALU_DEP_1)
	v_cndmask_b32_e64 v26, v26, 0, s0
	v_add_nc_u32_e32 v3, v26, v3
	s_delay_alu instid0(VALU_DEP_1) | instskip(NEXT) | instid1(VALU_DEP_1)
	v_mov_b32_dpp v26, v3 row_shr:2 row_mask:0xf bank_mask:0xf
	v_cndmask_b32_e64 v26, 0, v26, s1
	s_delay_alu instid0(VALU_DEP_1) | instskip(NEXT) | instid1(VALU_DEP_1)
	v_add_nc_u32_e32 v3, v3, v26
	v_mov_b32_dpp v26, v3 row_shr:4 row_mask:0xf bank_mask:0xf
	s_delay_alu instid0(VALU_DEP_1) | instskip(NEXT) | instid1(VALU_DEP_1)
	v_cndmask_b32_e64 v26, 0, v26, s2
	v_add_nc_u32_e32 v3, v3, v26
	s_delay_alu instid0(VALU_DEP_1) | instskip(NEXT) | instid1(VALU_DEP_1)
	v_mov_b32_dpp v26, v3 row_shr:8 row_mask:0xf bank_mask:0xf
	v_cndmask_b32_e64 v26, 0, v26, s3
	s_delay_alu instid0(VALU_DEP_1) | instskip(SKIP_3) | instid1(VALU_DEP_1)
	v_add_nc_u32_e32 v3, v3, v26
	ds_swizzle_b32 v26, v3 offset:swizzle(BROADCAST,32,15)
	s_waitcnt lgkmcnt(0)
	v_cndmask_b32_e64 v26, v26, 0, s4
	v_add_nc_u32_e32 v3, v3, v26
	s_and_saveexec_b32 s9, s8
	s_cbranch_execz .LBB184_30
; %bb.29:                               ;   in Loop: Header=BB184_2 Depth=1
	ds_store_b32 v17, v3
.LBB184_30:                             ;   in Loop: Header=BB184_2 Depth=1
	s_or_b32 exec_lo, exec_lo, s9
	s_waitcnt lgkmcnt(0)
	s_barrier
	buffer_gl0_inv
	s_and_saveexec_b32 s9, s5
	s_cbranch_execz .LBB184_32
; %bb.31:                               ;   in Loop: Header=BB184_2 Depth=1
	ds_load_b32 v26, v19
	s_waitcnt lgkmcnt(0)
	v_mov_b32_dpp v27, v26 row_shr:1 row_mask:0xf bank_mask:0xf
	s_delay_alu instid0(VALU_DEP_1) | instskip(NEXT) | instid1(VALU_DEP_1)
	v_cndmask_b32_e64 v27, v27, 0, s0
	v_add_nc_u32_e32 v26, v27, v26
	s_delay_alu instid0(VALU_DEP_1) | instskip(NEXT) | instid1(VALU_DEP_1)
	v_mov_b32_dpp v27, v26 row_shr:2 row_mask:0xf bank_mask:0xf
	v_cndmask_b32_e64 v27, 0, v27, s1
	s_delay_alu instid0(VALU_DEP_1) | instskip(NEXT) | instid1(VALU_DEP_1)
	v_add_nc_u32_e32 v26, v26, v27
	v_mov_b32_dpp v27, v26 row_shr:4 row_mask:0xf bank_mask:0xf
	s_delay_alu instid0(VALU_DEP_1) | instskip(NEXT) | instid1(VALU_DEP_1)
	v_cndmask_b32_e64 v27, 0, v27, s2
	v_add_nc_u32_e32 v26, v26, v27
	s_delay_alu instid0(VALU_DEP_1) | instskip(NEXT) | instid1(VALU_DEP_1)
	v_mov_b32_dpp v27, v26 row_shr:8 row_mask:0xf bank_mask:0xf
	v_cndmask_b32_e64 v27, 0, v27, s3
	s_delay_alu instid0(VALU_DEP_1)
	v_add_nc_u32_e32 v26, v26, v27
	ds_store_b32 v19, v26
.LBB184_32:                             ;   in Loop: Header=BB184_2 Depth=1
	s_or_b32 exec_lo, exec_lo, s9
	v_mov_b32_e32 v26, 0
	s_waitcnt lgkmcnt(0)
	s_barrier
	buffer_gl0_inv
	s_and_saveexec_b32 s9, s6
	s_cbranch_execz .LBB184_34
; %bb.33:                               ;   in Loop: Header=BB184_2 Depth=1
	ds_load_b32 v26, v20
.LBB184_34:                             ;   in Loop: Header=BB184_2 Depth=1
	s_or_b32 exec_lo, exec_lo, s9
	s_waitcnt lgkmcnt(0)
	v_add_nc_u32_e32 v3, v26, v3
	ds_bpermute_b32 v3, v18, v3
	s_waitcnt lgkmcnt(0)
	v_cndmask_b32_e32 v3, v3, v26, vcc_lo
	s_delay_alu instid0(VALU_DEP_1) | instskip(NEXT) | instid1(VALU_DEP_1)
	v_cndmask_b32_e64 v3, v3, 0, s7
	v_add_nc_u32_e32 v4, v3, v4
	s_delay_alu instid0(VALU_DEP_1) | instskip(NEXT) | instid1(VALU_DEP_1)
	v_add_nc_u32_e32 v5, v4, v5
	v_add_nc_u32_e32 v6, v5, v6
	s_delay_alu instid0(VALU_DEP_1) | instskip(NEXT) | instid1(VALU_DEP_1)
	v_add_nc_u32_e32 v26, v6, v7
	;; [unrolled: 3-line block ×3, first 2 shown]
	v_add_nc_u32_e32 v1, v0, v2
	ds_store_2addr_b64 v15, v[3:4], v[5:6] offset0:8 offset1:9
	ds_store_2addr_b64 v16, v[26:27], v[0:1] offset0:2 offset1:3
	s_waitcnt lgkmcnt(0)
	s_barrier
	buffer_gl0_inv
	ds_load_b32 v0, v25
	v_lshlrev_b32_e32 v1, 3, v24
	s_waitcnt lgkmcnt(0)
	s_barrier
	buffer_gl0_inv
	v_lshl_add_u32 v0, v0, 3, v1
	ds_store_b64 v0, v[13:14]
	s_waitcnt lgkmcnt(0)
	s_barrier
	buffer_gl0_inv
	ds_load_b64 v[13:14], v21
	s_waitcnt lgkmcnt(0)
	s_barrier
	buffer_gl0_inv
	v_and_b32_e32 v0, 1, v13
	v_lshlrev_b32_e32 v1, 30, v13
	v_lshlrev_b32_e32 v2, 29, v13
	;; [unrolled: 1-line block ×4, first 2 shown]
	v_add_co_u32 v0, s9, v0, -1
	s_delay_alu instid0(VALU_DEP_1)
	v_cndmask_b32_e64 v4, 0, 1, s9
	v_not_b32_e32 v24, v1
	v_cmp_gt_i32_e64 s10, 0, v1
	v_not_b32_e32 v1, v2
	v_lshlrev_b32_e32 v6, 26, v13
	v_cmp_ne_u32_e64 s9, 0, v4
	v_ashrrev_i32_e32 v24, 31, v24
	v_lshlrev_b32_e32 v7, 25, v13
	v_ashrrev_i32_e32 v1, 31, v1
	v_lshlrev_b32_e32 v4, 24, v13
	v_xor_b32_e32 v0, s9, v0
	v_cmp_gt_i32_e64 s9, 0, v2
	v_not_b32_e32 v2, v3
	v_xor_b32_e32 v24, s10, v24
	v_cmp_gt_i32_e64 s10, 0, v3
	v_and_b32_e32 v0, exec_lo, v0
	v_not_b32_e32 v3, v5
	v_ashrrev_i32_e32 v2, 31, v2
	v_xor_b32_e32 v1, s9, v1
	v_cmp_gt_i32_e64 s9, 0, v5
	v_and_b32_e32 v0, v0, v24
	v_not_b32_e32 v5, v6
	v_ashrrev_i32_e32 v3, 31, v3
	v_xor_b32_e32 v2, s10, v2
	v_cmp_gt_i32_e64 s10, 0, v6
	v_and_b32_e32 v0, v0, v1
	;; [unrolled: 5-line block ×3, first 2 shown]
	v_not_b32_e32 v2, v4
	v_ashrrev_i32_e32 v1, 31, v1
	v_xor_b32_e32 v5, s10, v5
	v_cmp_gt_i32_e64 s10, 0, v4
	v_dual_mov_b32 v3, s14 :: v_dual_and_b32 v0, v0, v3
	v_ashrrev_i32_e32 v2, 31, v2
	v_xor_b32_e32 v1, s9, v1
	v_mov_b32_e32 v4, s15
	s_delay_alu instid0(VALU_DEP_4) | instskip(NEXT) | instid1(VALU_DEP_4)
	v_and_b32_e32 v0, v0, v5
	v_xor_b32_e32 v5, s10, v2
	s_delay_alu instid0(VALU_DEP_2)
	v_dual_mov_b32 v1, s20 :: v_dual_and_b32 v0, v0, v1
	v_mov_b32_e32 v2, s21
	ds_store_2addr_b64 v15, v[1:2], v[3:4] offset0:8 offset1:9
	ds_store_2addr_b64 v16, v[1:2], v[3:4] offset0:2 offset1:3
	v_and_b32_e32 v0, v0, v5
	v_and_b32_e32 v5, 0xff, v13
	s_waitcnt lgkmcnt(0)
	s_barrier
	buffer_gl0_inv
	v_mbcnt_lo_u32_b32 v24, v0, 0
	v_lshl_add_u32 v1, v5, 4, v22
	v_cmp_ne_u32_e64 s10, 0, v0
	; wave barrier
	s_delay_alu instid0(VALU_DEP_3) | instskip(NEXT) | instid1(VALU_DEP_3)
	v_cmp_eq_u32_e64 s9, 0, v24
	v_lshl_add_u32 v25, v1, 2, 64
	s_delay_alu instid0(VALU_DEP_2) | instskip(NEXT) | instid1(SALU_CYCLE_1)
	s_and_b32 s10, s10, s9
	s_and_saveexec_b32 s9, s10
	s_cbranch_execz .LBB184_36
; %bb.35:                               ;   in Loop: Header=BB184_2 Depth=1
	v_bcnt_u32_b32 v0, v0, 0
	ds_store_b32 v25, v0
.LBB184_36:                             ;   in Loop: Header=BB184_2 Depth=1
	s_or_b32 exec_lo, exec_lo, s9
	; wave barrier
	s_waitcnt lgkmcnt(0)
	s_barrier
	buffer_gl0_inv
	ds_load_2addr_b64 v[4:7], v15 offset0:8 offset1:9
	ds_load_2addr_b64 v[0:3], v16 offset0:2 offset1:3
	s_waitcnt lgkmcnt(1)
	v_add_nc_u32_e32 v26, v5, v4
	s_delay_alu instid0(VALU_DEP_1) | instskip(SKIP_1) | instid1(VALU_DEP_1)
	v_add3_u32 v26, v26, v6, v7
	s_waitcnt lgkmcnt(0)
	v_add3_u32 v26, v26, v0, v1
	s_delay_alu instid0(VALU_DEP_1) | instskip(NEXT) | instid1(VALU_DEP_1)
	v_add3_u32 v3, v26, v2, v3
	v_mov_b32_dpp v26, v3 row_shr:1 row_mask:0xf bank_mask:0xf
	s_delay_alu instid0(VALU_DEP_1) | instskip(NEXT) | instid1(VALU_DEP_1)
	v_cndmask_b32_e64 v26, v26, 0, s0
	v_add_nc_u32_e32 v3, v26, v3
	s_delay_alu instid0(VALU_DEP_1) | instskip(NEXT) | instid1(VALU_DEP_1)
	v_mov_b32_dpp v26, v3 row_shr:2 row_mask:0xf bank_mask:0xf
	v_cndmask_b32_e64 v26, 0, v26, s1
	s_delay_alu instid0(VALU_DEP_1) | instskip(NEXT) | instid1(VALU_DEP_1)
	v_add_nc_u32_e32 v3, v3, v26
	v_mov_b32_dpp v26, v3 row_shr:4 row_mask:0xf bank_mask:0xf
	s_delay_alu instid0(VALU_DEP_1) | instskip(NEXT) | instid1(VALU_DEP_1)
	v_cndmask_b32_e64 v26, 0, v26, s2
	v_add_nc_u32_e32 v3, v3, v26
	s_delay_alu instid0(VALU_DEP_1) | instskip(NEXT) | instid1(VALU_DEP_1)
	v_mov_b32_dpp v26, v3 row_shr:8 row_mask:0xf bank_mask:0xf
	v_cndmask_b32_e64 v26, 0, v26, s3
	s_delay_alu instid0(VALU_DEP_1) | instskip(SKIP_3) | instid1(VALU_DEP_1)
	v_add_nc_u32_e32 v3, v3, v26
	ds_swizzle_b32 v26, v3 offset:swizzle(BROADCAST,32,15)
	s_waitcnt lgkmcnt(0)
	v_cndmask_b32_e64 v26, v26, 0, s4
	v_add_nc_u32_e32 v3, v3, v26
	s_and_saveexec_b32 s9, s8
	s_cbranch_execz .LBB184_38
; %bb.37:                               ;   in Loop: Header=BB184_2 Depth=1
	ds_store_b32 v17, v3
.LBB184_38:                             ;   in Loop: Header=BB184_2 Depth=1
	s_or_b32 exec_lo, exec_lo, s9
	s_waitcnt lgkmcnt(0)
	s_barrier
	buffer_gl0_inv
	s_and_saveexec_b32 s9, s5
	s_cbranch_execz .LBB184_40
; %bb.39:                               ;   in Loop: Header=BB184_2 Depth=1
	ds_load_b32 v26, v19
	s_waitcnt lgkmcnt(0)
	v_mov_b32_dpp v27, v26 row_shr:1 row_mask:0xf bank_mask:0xf
	s_delay_alu instid0(VALU_DEP_1) | instskip(NEXT) | instid1(VALU_DEP_1)
	v_cndmask_b32_e64 v27, v27, 0, s0
	v_add_nc_u32_e32 v26, v27, v26
	s_delay_alu instid0(VALU_DEP_1) | instskip(NEXT) | instid1(VALU_DEP_1)
	v_mov_b32_dpp v27, v26 row_shr:2 row_mask:0xf bank_mask:0xf
	v_cndmask_b32_e64 v27, 0, v27, s1
	s_delay_alu instid0(VALU_DEP_1) | instskip(NEXT) | instid1(VALU_DEP_1)
	v_add_nc_u32_e32 v26, v26, v27
	v_mov_b32_dpp v27, v26 row_shr:4 row_mask:0xf bank_mask:0xf
	s_delay_alu instid0(VALU_DEP_1) | instskip(NEXT) | instid1(VALU_DEP_1)
	v_cndmask_b32_e64 v27, 0, v27, s2
	v_add_nc_u32_e32 v26, v26, v27
	s_delay_alu instid0(VALU_DEP_1) | instskip(NEXT) | instid1(VALU_DEP_1)
	v_mov_b32_dpp v27, v26 row_shr:8 row_mask:0xf bank_mask:0xf
	v_cndmask_b32_e64 v27, 0, v27, s3
	s_delay_alu instid0(VALU_DEP_1)
	v_add_nc_u32_e32 v26, v26, v27
	ds_store_b32 v19, v26
.LBB184_40:                             ;   in Loop: Header=BB184_2 Depth=1
	s_or_b32 exec_lo, exec_lo, s9
	v_mov_b32_e32 v26, 0
	s_waitcnt lgkmcnt(0)
	s_barrier
	buffer_gl0_inv
	s_and_saveexec_b32 s9, s6
	s_cbranch_execz .LBB184_42
; %bb.41:                               ;   in Loop: Header=BB184_2 Depth=1
	ds_load_b32 v26, v20
.LBB184_42:                             ;   in Loop: Header=BB184_2 Depth=1
	s_or_b32 exec_lo, exec_lo, s9
	s_waitcnt lgkmcnt(0)
	v_add_nc_u32_e32 v3, v26, v3
	ds_bpermute_b32 v3, v18, v3
	s_waitcnt lgkmcnt(0)
	v_cndmask_b32_e32 v3, v3, v26, vcc_lo
	s_delay_alu instid0(VALU_DEP_1) | instskip(NEXT) | instid1(VALU_DEP_1)
	v_cndmask_b32_e64 v3, v3, 0, s7
	v_add_nc_u32_e32 v4, v3, v4
	s_delay_alu instid0(VALU_DEP_1) | instskip(NEXT) | instid1(VALU_DEP_1)
	v_add_nc_u32_e32 v5, v4, v5
	v_add_nc_u32_e32 v6, v5, v6
	s_delay_alu instid0(VALU_DEP_1) | instskip(NEXT) | instid1(VALU_DEP_1)
	v_add_nc_u32_e32 v26, v6, v7
	;; [unrolled: 3-line block ×3, first 2 shown]
	v_add_nc_u32_e32 v1, v0, v2
	ds_store_2addr_b64 v15, v[3:4], v[5:6] offset0:8 offset1:9
	ds_store_2addr_b64 v16, v[26:27], v[0:1] offset0:2 offset1:3
	s_waitcnt lgkmcnt(0)
	s_barrier
	buffer_gl0_inv
	ds_load_b32 v0, v25
	v_lshlrev_b32_e32 v1, 3, v24
	s_waitcnt lgkmcnt(0)
	s_barrier
	buffer_gl0_inv
	v_lshl_add_u32 v0, v0, 3, v1
	ds_store_b64 v0, v[13:14]
	s_waitcnt lgkmcnt(0)
	s_barrier
	buffer_gl0_inv
	ds_load_b64 v[13:14], v21
	s_waitcnt lgkmcnt(0)
	s_barrier
	buffer_gl0_inv
	v_bfe_u32 v0, v13, 8, 1
	v_lshrrev_b32_e32 v1, 8, v13
	s_delay_alu instid0(VALU_DEP_2) | instskip(NEXT) | instid1(VALU_DEP_1)
	v_add_co_u32 v0, s9, v0, -1
	v_cndmask_b32_e64 v2, 0, 1, s9
	s_delay_alu instid0(VALU_DEP_3)
	v_lshlrev_b32_e32 v3, 30, v1
	v_lshlrev_b32_e32 v4, 29, v1
	;; [unrolled: 1-line block ×4, first 2 shown]
	v_cmp_ne_u32_e64 s9, 0, v2
	v_not_b32_e32 v2, v3
	v_cmp_gt_i32_e64 s10, 0, v3
	v_not_b32_e32 v3, v4
	v_lshlrev_b32_e32 v7, 26, v1
	v_xor_b32_e32 v0, s9, v0
	v_ashrrev_i32_e32 v2, 31, v2
	v_cmp_gt_i32_e64 s9, 0, v4
	v_not_b32_e32 v4, v5
	v_ashrrev_i32_e32 v3, 31, v3
	v_and_b32_e32 v0, exec_lo, v0
	v_xor_b32_e32 v2, s10, v2
	v_cmp_gt_i32_e64 s10, 0, v5
	v_not_b32_e32 v5, v6
	v_ashrrev_i32_e32 v4, 31, v4
	v_xor_b32_e32 v3, s9, v3
	v_and_b32_e32 v0, v0, v2
	v_lshlrev_b32_e32 v24, 25, v1
	v_cmp_gt_i32_e64 s9, 0, v6
	v_not_b32_e32 v2, v7
	v_ashrrev_i32_e32 v5, 31, v5
	v_xor_b32_e32 v4, s10, v4
	v_and_b32_e32 v0, v0, v3
	v_lshlrev_b32_e32 v1, 24, v1
	v_cmp_gt_i32_e64 s10, 0, v7
	v_not_b32_e32 v3, v24
	v_ashrrev_i32_e32 v2, 31, v2
	v_xor_b32_e32 v5, s9, v5
	v_and_b32_e32 v0, v0, v4
	v_cmp_gt_i32_e64 s9, 0, v24
	v_not_b32_e32 v4, v1
	v_ashrrev_i32_e32 v3, 31, v3
	v_xor_b32_e32 v2, s10, v2
	v_and_b32_e32 v0, v0, v5
	v_cmp_gt_i32_e64 s10, 0, v1
	v_ashrrev_i32_e32 v1, 31, v4
	v_xor_b32_e32 v3, s9, v3
	v_lshrrev_b32_e32 v6, 4, v13
	v_and_b32_e32 v0, v0, v2
	s_delay_alu instid0(VALU_DEP_4) | instskip(SKIP_1) | instid1(VALU_DEP_3)
	v_xor_b32_e32 v5, s10, v1
	v_dual_mov_b32 v1, s20 :: v_dual_mov_b32 v2, s21
	v_dual_mov_b32 v3, s14 :: v_dual_and_b32 v0, v0, v3
	v_mov_b32_e32 v4, s15
	ds_store_2addr_b64 v15, v[1:2], v[3:4] offset0:8 offset1:9
	ds_store_2addr_b64 v16, v[1:2], v[3:4] offset0:2 offset1:3
	v_and_b32_e32 v0, v0, v5
	v_and_b32_e32 v5, 0xff0, v6
	s_waitcnt lgkmcnt(0)
	s_barrier
	buffer_gl0_inv
	v_mbcnt_lo_u32_b32 v24, v0, 0
	v_add_nc_u32_e32 v1, v5, v22
	v_cmp_ne_u32_e64 s10, 0, v0
	; wave barrier
	s_delay_alu instid0(VALU_DEP_3) | instskip(NEXT) | instid1(VALU_DEP_3)
	v_cmp_eq_u32_e64 s9, 0, v24
	v_lshl_add_u32 v25, v1, 2, 64
	s_delay_alu instid0(VALU_DEP_2) | instskip(NEXT) | instid1(SALU_CYCLE_1)
	s_and_b32 s10, s10, s9
	s_and_saveexec_b32 s9, s10
	s_cbranch_execz .LBB184_44
; %bb.43:                               ;   in Loop: Header=BB184_2 Depth=1
	v_bcnt_u32_b32 v0, v0, 0
	ds_store_b32 v25, v0
.LBB184_44:                             ;   in Loop: Header=BB184_2 Depth=1
	s_or_b32 exec_lo, exec_lo, s9
	; wave barrier
	s_waitcnt lgkmcnt(0)
	s_barrier
	buffer_gl0_inv
	ds_load_2addr_b64 v[4:7], v15 offset0:8 offset1:9
	ds_load_2addr_b64 v[0:3], v16 offset0:2 offset1:3
	s_waitcnt lgkmcnt(1)
	v_add_nc_u32_e32 v26, v5, v4
	s_delay_alu instid0(VALU_DEP_1) | instskip(SKIP_1) | instid1(VALU_DEP_1)
	v_add3_u32 v26, v26, v6, v7
	s_waitcnt lgkmcnt(0)
	v_add3_u32 v26, v26, v0, v1
	s_delay_alu instid0(VALU_DEP_1) | instskip(NEXT) | instid1(VALU_DEP_1)
	v_add3_u32 v3, v26, v2, v3
	v_mov_b32_dpp v26, v3 row_shr:1 row_mask:0xf bank_mask:0xf
	s_delay_alu instid0(VALU_DEP_1) | instskip(NEXT) | instid1(VALU_DEP_1)
	v_cndmask_b32_e64 v26, v26, 0, s0
	v_add_nc_u32_e32 v3, v26, v3
	s_delay_alu instid0(VALU_DEP_1) | instskip(NEXT) | instid1(VALU_DEP_1)
	v_mov_b32_dpp v26, v3 row_shr:2 row_mask:0xf bank_mask:0xf
	v_cndmask_b32_e64 v26, 0, v26, s1
	s_delay_alu instid0(VALU_DEP_1) | instskip(NEXT) | instid1(VALU_DEP_1)
	v_add_nc_u32_e32 v3, v3, v26
	v_mov_b32_dpp v26, v3 row_shr:4 row_mask:0xf bank_mask:0xf
	s_delay_alu instid0(VALU_DEP_1) | instskip(NEXT) | instid1(VALU_DEP_1)
	v_cndmask_b32_e64 v26, 0, v26, s2
	v_add_nc_u32_e32 v3, v3, v26
	s_delay_alu instid0(VALU_DEP_1) | instskip(NEXT) | instid1(VALU_DEP_1)
	v_mov_b32_dpp v26, v3 row_shr:8 row_mask:0xf bank_mask:0xf
	v_cndmask_b32_e64 v26, 0, v26, s3
	s_delay_alu instid0(VALU_DEP_1) | instskip(SKIP_3) | instid1(VALU_DEP_1)
	v_add_nc_u32_e32 v3, v3, v26
	ds_swizzle_b32 v26, v3 offset:swizzle(BROADCAST,32,15)
	s_waitcnt lgkmcnt(0)
	v_cndmask_b32_e64 v26, v26, 0, s4
	v_add_nc_u32_e32 v3, v3, v26
	s_and_saveexec_b32 s9, s8
	s_cbranch_execz .LBB184_46
; %bb.45:                               ;   in Loop: Header=BB184_2 Depth=1
	ds_store_b32 v17, v3
.LBB184_46:                             ;   in Loop: Header=BB184_2 Depth=1
	s_or_b32 exec_lo, exec_lo, s9
	s_waitcnt lgkmcnt(0)
	s_barrier
	buffer_gl0_inv
	s_and_saveexec_b32 s9, s5
	s_cbranch_execz .LBB184_48
; %bb.47:                               ;   in Loop: Header=BB184_2 Depth=1
	ds_load_b32 v26, v19
	s_waitcnt lgkmcnt(0)
	v_mov_b32_dpp v27, v26 row_shr:1 row_mask:0xf bank_mask:0xf
	s_delay_alu instid0(VALU_DEP_1) | instskip(NEXT) | instid1(VALU_DEP_1)
	v_cndmask_b32_e64 v27, v27, 0, s0
	v_add_nc_u32_e32 v26, v27, v26
	s_delay_alu instid0(VALU_DEP_1) | instskip(NEXT) | instid1(VALU_DEP_1)
	v_mov_b32_dpp v27, v26 row_shr:2 row_mask:0xf bank_mask:0xf
	v_cndmask_b32_e64 v27, 0, v27, s1
	s_delay_alu instid0(VALU_DEP_1) | instskip(NEXT) | instid1(VALU_DEP_1)
	v_add_nc_u32_e32 v26, v26, v27
	v_mov_b32_dpp v27, v26 row_shr:4 row_mask:0xf bank_mask:0xf
	s_delay_alu instid0(VALU_DEP_1) | instskip(NEXT) | instid1(VALU_DEP_1)
	v_cndmask_b32_e64 v27, 0, v27, s2
	v_add_nc_u32_e32 v26, v26, v27
	s_delay_alu instid0(VALU_DEP_1) | instskip(NEXT) | instid1(VALU_DEP_1)
	v_mov_b32_dpp v27, v26 row_shr:8 row_mask:0xf bank_mask:0xf
	v_cndmask_b32_e64 v27, 0, v27, s3
	s_delay_alu instid0(VALU_DEP_1)
	v_add_nc_u32_e32 v26, v26, v27
	ds_store_b32 v19, v26
.LBB184_48:                             ;   in Loop: Header=BB184_2 Depth=1
	s_or_b32 exec_lo, exec_lo, s9
	v_mov_b32_e32 v26, 0
	s_waitcnt lgkmcnt(0)
	s_barrier
	buffer_gl0_inv
	s_and_saveexec_b32 s9, s6
	s_cbranch_execz .LBB184_50
; %bb.49:                               ;   in Loop: Header=BB184_2 Depth=1
	ds_load_b32 v26, v20
.LBB184_50:                             ;   in Loop: Header=BB184_2 Depth=1
	s_or_b32 exec_lo, exec_lo, s9
	s_waitcnt lgkmcnt(0)
	v_add_nc_u32_e32 v3, v26, v3
	ds_bpermute_b32 v3, v18, v3
	s_waitcnt lgkmcnt(0)
	v_cndmask_b32_e32 v3, v3, v26, vcc_lo
	s_delay_alu instid0(VALU_DEP_1) | instskip(NEXT) | instid1(VALU_DEP_1)
	v_cndmask_b32_e64 v3, v3, 0, s7
	v_add_nc_u32_e32 v4, v3, v4
	s_delay_alu instid0(VALU_DEP_1) | instskip(NEXT) | instid1(VALU_DEP_1)
	v_add_nc_u32_e32 v5, v4, v5
	v_add_nc_u32_e32 v6, v5, v6
	s_delay_alu instid0(VALU_DEP_1) | instskip(NEXT) | instid1(VALU_DEP_1)
	v_add_nc_u32_e32 v26, v6, v7
	;; [unrolled: 3-line block ×3, first 2 shown]
	v_add_nc_u32_e32 v1, v0, v2
	ds_store_2addr_b64 v15, v[3:4], v[5:6] offset0:8 offset1:9
	ds_store_2addr_b64 v16, v[26:27], v[0:1] offset0:2 offset1:3
	s_waitcnt lgkmcnt(0)
	s_barrier
	buffer_gl0_inv
	ds_load_b32 v0, v25
	v_lshlrev_b32_e32 v1, 3, v24
	s_waitcnt lgkmcnt(0)
	s_barrier
	buffer_gl0_inv
	v_lshl_add_u32 v0, v0, 3, v1
	ds_store_b64 v0, v[13:14]
	s_waitcnt lgkmcnt(0)
	s_barrier
	buffer_gl0_inv
	ds_load_b64 v[13:14], v21
	s_waitcnt lgkmcnt(0)
	s_barrier
	buffer_gl0_inv
	v_bfe_u32 v0, v13, 16, 1
	v_lshrrev_b32_e32 v1, 16, v13
	s_delay_alu instid0(VALU_DEP_2) | instskip(NEXT) | instid1(VALU_DEP_1)
	v_add_co_u32 v0, s9, v0, -1
	v_cndmask_b32_e64 v2, 0, 1, s9
	s_delay_alu instid0(VALU_DEP_3)
	v_lshlrev_b32_e32 v3, 30, v1
	v_lshlrev_b32_e32 v4, 29, v1
	;; [unrolled: 1-line block ×4, first 2 shown]
	v_cmp_ne_u32_e64 s9, 0, v2
	v_not_b32_e32 v2, v3
	v_cmp_gt_i32_e64 s10, 0, v3
	v_not_b32_e32 v3, v4
	v_lshlrev_b32_e32 v7, 26, v1
	v_xor_b32_e32 v0, s9, v0
	v_ashrrev_i32_e32 v2, 31, v2
	v_cmp_gt_i32_e64 s9, 0, v4
	v_not_b32_e32 v4, v5
	v_ashrrev_i32_e32 v3, 31, v3
	v_and_b32_e32 v0, exec_lo, v0
	v_xor_b32_e32 v2, s10, v2
	v_cmp_gt_i32_e64 s10, 0, v5
	v_not_b32_e32 v5, v6
	v_ashrrev_i32_e32 v4, 31, v4
	v_xor_b32_e32 v3, s9, v3
	v_and_b32_e32 v0, v0, v2
	v_lshlrev_b32_e32 v24, 25, v1
	v_cmp_gt_i32_e64 s9, 0, v6
	v_not_b32_e32 v2, v7
	v_ashrrev_i32_e32 v5, 31, v5
	v_xor_b32_e32 v4, s10, v4
	v_and_b32_e32 v0, v0, v3
	v_lshlrev_b32_e32 v1, 24, v1
	v_cmp_gt_i32_e64 s10, 0, v7
	v_not_b32_e32 v3, v24
	v_ashrrev_i32_e32 v2, 31, v2
	v_xor_b32_e32 v5, s9, v5
	v_and_b32_e32 v0, v0, v4
	v_cmp_gt_i32_e64 s9, 0, v24
	v_not_b32_e32 v4, v1
	v_ashrrev_i32_e32 v3, 31, v3
	v_xor_b32_e32 v2, s10, v2
	v_and_b32_e32 v0, v0, v5
	v_cmp_gt_i32_e64 s10, 0, v1
	v_ashrrev_i32_e32 v1, 31, v4
	v_xor_b32_e32 v3, s9, v3
	v_lshrrev_b32_e32 v6, 12, v13
	v_and_b32_e32 v0, v0, v2
	s_delay_alu instid0(VALU_DEP_4) | instskip(SKIP_1) | instid1(VALU_DEP_3)
	v_xor_b32_e32 v5, s10, v1
	v_dual_mov_b32 v1, s20 :: v_dual_mov_b32 v2, s21
	v_dual_mov_b32 v3, s14 :: v_dual_and_b32 v0, v0, v3
	v_mov_b32_e32 v4, s15
	ds_store_2addr_b64 v15, v[1:2], v[3:4] offset0:8 offset1:9
	ds_store_2addr_b64 v16, v[1:2], v[3:4] offset0:2 offset1:3
	v_and_b32_e32 v0, v0, v5
	v_and_b32_e32 v5, 0xff0, v6
	s_waitcnt lgkmcnt(0)
	s_barrier
	buffer_gl0_inv
	v_mbcnt_lo_u32_b32 v24, v0, 0
	v_add_nc_u32_e32 v1, v5, v22
	v_cmp_ne_u32_e64 s10, 0, v0
	; wave barrier
	s_delay_alu instid0(VALU_DEP_3) | instskip(NEXT) | instid1(VALU_DEP_3)
	v_cmp_eq_u32_e64 s9, 0, v24
	v_lshl_add_u32 v25, v1, 2, 64
	s_delay_alu instid0(VALU_DEP_2) | instskip(NEXT) | instid1(SALU_CYCLE_1)
	s_and_b32 s10, s10, s9
	s_and_saveexec_b32 s9, s10
	s_cbranch_execz .LBB184_52
; %bb.51:                               ;   in Loop: Header=BB184_2 Depth=1
	v_bcnt_u32_b32 v0, v0, 0
	ds_store_b32 v25, v0
.LBB184_52:                             ;   in Loop: Header=BB184_2 Depth=1
	s_or_b32 exec_lo, exec_lo, s9
	; wave barrier
	s_waitcnt lgkmcnt(0)
	s_barrier
	buffer_gl0_inv
	ds_load_2addr_b64 v[4:7], v15 offset0:8 offset1:9
	ds_load_2addr_b64 v[0:3], v16 offset0:2 offset1:3
	s_waitcnt lgkmcnt(1)
	v_add_nc_u32_e32 v26, v5, v4
	s_delay_alu instid0(VALU_DEP_1) | instskip(SKIP_1) | instid1(VALU_DEP_1)
	v_add3_u32 v26, v26, v6, v7
	s_waitcnt lgkmcnt(0)
	v_add3_u32 v26, v26, v0, v1
	s_delay_alu instid0(VALU_DEP_1) | instskip(NEXT) | instid1(VALU_DEP_1)
	v_add3_u32 v3, v26, v2, v3
	v_mov_b32_dpp v26, v3 row_shr:1 row_mask:0xf bank_mask:0xf
	s_delay_alu instid0(VALU_DEP_1) | instskip(NEXT) | instid1(VALU_DEP_1)
	v_cndmask_b32_e64 v26, v26, 0, s0
	v_add_nc_u32_e32 v3, v26, v3
	s_delay_alu instid0(VALU_DEP_1) | instskip(NEXT) | instid1(VALU_DEP_1)
	v_mov_b32_dpp v26, v3 row_shr:2 row_mask:0xf bank_mask:0xf
	v_cndmask_b32_e64 v26, 0, v26, s1
	s_delay_alu instid0(VALU_DEP_1) | instskip(NEXT) | instid1(VALU_DEP_1)
	v_add_nc_u32_e32 v3, v3, v26
	v_mov_b32_dpp v26, v3 row_shr:4 row_mask:0xf bank_mask:0xf
	s_delay_alu instid0(VALU_DEP_1) | instskip(NEXT) | instid1(VALU_DEP_1)
	v_cndmask_b32_e64 v26, 0, v26, s2
	v_add_nc_u32_e32 v3, v3, v26
	s_delay_alu instid0(VALU_DEP_1) | instskip(NEXT) | instid1(VALU_DEP_1)
	v_mov_b32_dpp v26, v3 row_shr:8 row_mask:0xf bank_mask:0xf
	v_cndmask_b32_e64 v26, 0, v26, s3
	s_delay_alu instid0(VALU_DEP_1) | instskip(SKIP_3) | instid1(VALU_DEP_1)
	v_add_nc_u32_e32 v3, v3, v26
	ds_swizzle_b32 v26, v3 offset:swizzle(BROADCAST,32,15)
	s_waitcnt lgkmcnt(0)
	v_cndmask_b32_e64 v26, v26, 0, s4
	v_add_nc_u32_e32 v3, v3, v26
	s_and_saveexec_b32 s9, s8
	s_cbranch_execz .LBB184_54
; %bb.53:                               ;   in Loop: Header=BB184_2 Depth=1
	ds_store_b32 v17, v3
.LBB184_54:                             ;   in Loop: Header=BB184_2 Depth=1
	s_or_b32 exec_lo, exec_lo, s9
	s_waitcnt lgkmcnt(0)
	s_barrier
	buffer_gl0_inv
	s_and_saveexec_b32 s9, s5
	s_cbranch_execz .LBB184_56
; %bb.55:                               ;   in Loop: Header=BB184_2 Depth=1
	ds_load_b32 v26, v19
	s_waitcnt lgkmcnt(0)
	v_mov_b32_dpp v27, v26 row_shr:1 row_mask:0xf bank_mask:0xf
	s_delay_alu instid0(VALU_DEP_1) | instskip(NEXT) | instid1(VALU_DEP_1)
	v_cndmask_b32_e64 v27, v27, 0, s0
	v_add_nc_u32_e32 v26, v27, v26
	s_delay_alu instid0(VALU_DEP_1) | instskip(NEXT) | instid1(VALU_DEP_1)
	v_mov_b32_dpp v27, v26 row_shr:2 row_mask:0xf bank_mask:0xf
	v_cndmask_b32_e64 v27, 0, v27, s1
	s_delay_alu instid0(VALU_DEP_1) | instskip(NEXT) | instid1(VALU_DEP_1)
	v_add_nc_u32_e32 v26, v26, v27
	v_mov_b32_dpp v27, v26 row_shr:4 row_mask:0xf bank_mask:0xf
	s_delay_alu instid0(VALU_DEP_1) | instskip(NEXT) | instid1(VALU_DEP_1)
	v_cndmask_b32_e64 v27, 0, v27, s2
	v_add_nc_u32_e32 v26, v26, v27
	s_delay_alu instid0(VALU_DEP_1) | instskip(NEXT) | instid1(VALU_DEP_1)
	v_mov_b32_dpp v27, v26 row_shr:8 row_mask:0xf bank_mask:0xf
	v_cndmask_b32_e64 v27, 0, v27, s3
	s_delay_alu instid0(VALU_DEP_1)
	v_add_nc_u32_e32 v26, v26, v27
	ds_store_b32 v19, v26
.LBB184_56:                             ;   in Loop: Header=BB184_2 Depth=1
	s_or_b32 exec_lo, exec_lo, s9
	v_mov_b32_e32 v26, 0
	s_waitcnt lgkmcnt(0)
	s_barrier
	buffer_gl0_inv
	s_and_saveexec_b32 s9, s6
	s_cbranch_execz .LBB184_58
; %bb.57:                               ;   in Loop: Header=BB184_2 Depth=1
	ds_load_b32 v26, v20
.LBB184_58:                             ;   in Loop: Header=BB184_2 Depth=1
	s_or_b32 exec_lo, exec_lo, s9
	s_waitcnt lgkmcnt(0)
	v_add_nc_u32_e32 v3, v26, v3
	ds_bpermute_b32 v3, v18, v3
	s_waitcnt lgkmcnt(0)
	v_cndmask_b32_e32 v3, v3, v26, vcc_lo
	s_delay_alu instid0(VALU_DEP_1) | instskip(NEXT) | instid1(VALU_DEP_1)
	v_cndmask_b32_e64 v3, v3, 0, s7
	v_add_nc_u32_e32 v4, v3, v4
	s_delay_alu instid0(VALU_DEP_1) | instskip(NEXT) | instid1(VALU_DEP_1)
	v_add_nc_u32_e32 v5, v4, v5
	v_add_nc_u32_e32 v6, v5, v6
	s_delay_alu instid0(VALU_DEP_1) | instskip(NEXT) | instid1(VALU_DEP_1)
	v_add_nc_u32_e32 v26, v6, v7
	;; [unrolled: 3-line block ×3, first 2 shown]
	v_add_nc_u32_e32 v1, v0, v2
	ds_store_2addr_b64 v15, v[3:4], v[5:6] offset0:8 offset1:9
	ds_store_2addr_b64 v16, v[26:27], v[0:1] offset0:2 offset1:3
	s_waitcnt lgkmcnt(0)
	s_barrier
	buffer_gl0_inv
	ds_load_b32 v0, v25
	v_lshlrev_b32_e32 v1, 3, v24
	s_waitcnt lgkmcnt(0)
	s_barrier
	buffer_gl0_inv
	v_lshl_add_u32 v0, v0, 3, v1
	ds_store_b64 v0, v[13:14]
	s_waitcnt lgkmcnt(0)
	s_barrier
	buffer_gl0_inv
	ds_load_b64 v[13:14], v21
	s_waitcnt lgkmcnt(0)
	s_barrier
	buffer_gl0_inv
	v_bfe_u32 v0, v13, 24, 1
	v_lshrrev_b32_e32 v5, 24, v13
	s_delay_alu instid0(VALU_DEP_2) | instskip(NEXT) | instid1(VALU_DEP_1)
	v_add_co_u32 v0, s9, v0, -1
	v_cndmask_b32_e64 v1, 0, 1, s9
	s_delay_alu instid0(VALU_DEP_3)
	v_lshlrev_b32_e32 v2, 30, v5
	v_lshlrev_b32_e32 v3, 29, v5
	;; [unrolled: 1-line block ×4, first 2 shown]
	v_cmp_ne_u32_e64 s9, 0, v1
	v_not_b32_e32 v1, v2
	v_cmp_gt_i32_e64 s10, 0, v2
	v_not_b32_e32 v2, v3
	v_lshlrev_b32_e32 v7, 26, v5
	v_xor_b32_e32 v0, s9, v0
	v_ashrrev_i32_e32 v1, 31, v1
	v_cmp_gt_i32_e64 s9, 0, v3
	v_not_b32_e32 v3, v4
	v_ashrrev_i32_e32 v2, 31, v2
	v_and_b32_e32 v0, exec_lo, v0
	v_xor_b32_e32 v1, s10, v1
	v_cmp_gt_i32_e64 s10, 0, v4
	v_not_b32_e32 v4, v6
	v_ashrrev_i32_e32 v3, 31, v3
	v_xor_b32_e32 v2, s9, v2
	v_and_b32_e32 v0, v0, v1
	v_lshlrev_b32_e32 v24, 25, v5
	v_cmp_gt_i32_e64 s9, 0, v6
	v_not_b32_e32 v1, v7
	v_ashrrev_i32_e32 v4, 31, v4
	v_xor_b32_e32 v3, s10, v3
	v_and_b32_e32 v0, v0, v2
	v_cmp_gt_i32_e64 s10, 0, v7
	v_not_b32_e32 v2, v24
	v_ashrrev_i32_e32 v1, 31, v1
	v_xor_b32_e32 v4, s9, v4
	v_and_b32_e32 v0, v0, v3
	v_not_b32_e32 v3, v13
	v_cmp_gt_i32_e64 s9, 0, v24
	v_ashrrev_i32_e32 v2, 31, v2
	v_xor_b32_e32 v1, s10, v1
	v_and_b32_e32 v0, v0, v4
	v_cmp_gt_i32_e64 s10, 0, v13
	v_ashrrev_i32_e32 v3, 31, v3
	v_xor_b32_e32 v2, s9, v2
	s_delay_alu instid0(VALU_DEP_4) | instskip(NEXT) | instid1(VALU_DEP_3)
	v_and_b32_e32 v0, v0, v1
	v_xor_b32_e32 v3, s10, v3
	s_delay_alu instid0(VALU_DEP_2) | instskip(SKIP_1) | instid1(VALU_DEP_2)
	v_dual_mov_b32 v1, s20 :: v_dual_and_b32 v0, v0, v2
	v_mov_b32_e32 v2, s21
	v_dual_mov_b32 v3, s14 :: v_dual_and_b32 v0, v0, v3
	v_mov_b32_e32 v4, s15
	ds_store_2addr_b64 v15, v[1:2], v[3:4] offset0:8 offset1:9
	ds_store_2addr_b64 v16, v[1:2], v[3:4] offset0:2 offset1:3
	v_mbcnt_lo_u32_b32 v24, v0, 0
	v_lshl_add_u32 v1, v5, 4, v22
	v_cmp_ne_u32_e64 s10, 0, v0
	s_waitcnt lgkmcnt(0)
	s_barrier
	v_cmp_eq_u32_e64 s9, 0, v24
	v_lshl_add_u32 v25, v1, 2, 64
	buffer_gl0_inv
	; wave barrier
	s_and_b32 s10, s10, s9
	s_delay_alu instid0(SALU_CYCLE_1)
	s_and_saveexec_b32 s9, s10
	s_cbranch_execz .LBB184_60
; %bb.59:                               ;   in Loop: Header=BB184_2 Depth=1
	v_bcnt_u32_b32 v0, v0, 0
	ds_store_b32 v25, v0
.LBB184_60:                             ;   in Loop: Header=BB184_2 Depth=1
	s_or_b32 exec_lo, exec_lo, s9
	; wave barrier
	s_waitcnt lgkmcnt(0)
	s_barrier
	buffer_gl0_inv
	ds_load_2addr_b64 v[4:7], v15 offset0:8 offset1:9
	ds_load_2addr_b64 v[0:3], v16 offset0:2 offset1:3
	s_waitcnt lgkmcnt(1)
	v_add_nc_u32_e32 v26, v5, v4
	s_delay_alu instid0(VALU_DEP_1) | instskip(SKIP_1) | instid1(VALU_DEP_1)
	v_add3_u32 v26, v26, v6, v7
	s_waitcnt lgkmcnt(0)
	v_add3_u32 v26, v26, v0, v1
	s_delay_alu instid0(VALU_DEP_1) | instskip(NEXT) | instid1(VALU_DEP_1)
	v_add3_u32 v3, v26, v2, v3
	v_mov_b32_dpp v26, v3 row_shr:1 row_mask:0xf bank_mask:0xf
	s_delay_alu instid0(VALU_DEP_1) | instskip(NEXT) | instid1(VALU_DEP_1)
	v_cndmask_b32_e64 v26, v26, 0, s0
	v_add_nc_u32_e32 v3, v26, v3
	s_delay_alu instid0(VALU_DEP_1) | instskip(NEXT) | instid1(VALU_DEP_1)
	v_mov_b32_dpp v26, v3 row_shr:2 row_mask:0xf bank_mask:0xf
	v_cndmask_b32_e64 v26, 0, v26, s1
	s_delay_alu instid0(VALU_DEP_1) | instskip(NEXT) | instid1(VALU_DEP_1)
	v_add_nc_u32_e32 v3, v3, v26
	v_mov_b32_dpp v26, v3 row_shr:4 row_mask:0xf bank_mask:0xf
	s_delay_alu instid0(VALU_DEP_1) | instskip(NEXT) | instid1(VALU_DEP_1)
	v_cndmask_b32_e64 v26, 0, v26, s2
	v_add_nc_u32_e32 v3, v3, v26
	s_delay_alu instid0(VALU_DEP_1) | instskip(NEXT) | instid1(VALU_DEP_1)
	v_mov_b32_dpp v26, v3 row_shr:8 row_mask:0xf bank_mask:0xf
	v_cndmask_b32_e64 v26, 0, v26, s3
	s_delay_alu instid0(VALU_DEP_1) | instskip(SKIP_3) | instid1(VALU_DEP_1)
	v_add_nc_u32_e32 v3, v3, v26
	ds_swizzle_b32 v26, v3 offset:swizzle(BROADCAST,32,15)
	s_waitcnt lgkmcnt(0)
	v_cndmask_b32_e64 v26, v26, 0, s4
	v_add_nc_u32_e32 v3, v3, v26
	s_and_saveexec_b32 s9, s8
	s_cbranch_execz .LBB184_62
; %bb.61:                               ;   in Loop: Header=BB184_2 Depth=1
	ds_store_b32 v17, v3
.LBB184_62:                             ;   in Loop: Header=BB184_2 Depth=1
	s_or_b32 exec_lo, exec_lo, s9
	s_waitcnt lgkmcnt(0)
	s_barrier
	buffer_gl0_inv
	s_and_saveexec_b32 s9, s5
	s_cbranch_execz .LBB184_64
; %bb.63:                               ;   in Loop: Header=BB184_2 Depth=1
	ds_load_b32 v26, v19
	s_waitcnt lgkmcnt(0)
	v_mov_b32_dpp v27, v26 row_shr:1 row_mask:0xf bank_mask:0xf
	s_delay_alu instid0(VALU_DEP_1) | instskip(NEXT) | instid1(VALU_DEP_1)
	v_cndmask_b32_e64 v27, v27, 0, s0
	v_add_nc_u32_e32 v26, v27, v26
	s_delay_alu instid0(VALU_DEP_1) | instskip(NEXT) | instid1(VALU_DEP_1)
	v_mov_b32_dpp v27, v26 row_shr:2 row_mask:0xf bank_mask:0xf
	v_cndmask_b32_e64 v27, 0, v27, s1
	s_delay_alu instid0(VALU_DEP_1) | instskip(NEXT) | instid1(VALU_DEP_1)
	v_add_nc_u32_e32 v26, v26, v27
	v_mov_b32_dpp v27, v26 row_shr:4 row_mask:0xf bank_mask:0xf
	s_delay_alu instid0(VALU_DEP_1) | instskip(NEXT) | instid1(VALU_DEP_1)
	v_cndmask_b32_e64 v27, 0, v27, s2
	v_add_nc_u32_e32 v26, v26, v27
	s_delay_alu instid0(VALU_DEP_1) | instskip(NEXT) | instid1(VALU_DEP_1)
	v_mov_b32_dpp v27, v26 row_shr:8 row_mask:0xf bank_mask:0xf
	v_cndmask_b32_e64 v27, 0, v27, s3
	s_delay_alu instid0(VALU_DEP_1)
	v_add_nc_u32_e32 v26, v26, v27
	ds_store_b32 v19, v26
.LBB184_64:                             ;   in Loop: Header=BB184_2 Depth=1
	s_or_b32 exec_lo, exec_lo, s9
	v_mov_b32_e32 v26, 0
	s_waitcnt lgkmcnt(0)
	s_barrier
	buffer_gl0_inv
	s_and_saveexec_b32 s9, s6
	s_cbranch_execz .LBB184_1
; %bb.65:                               ;   in Loop: Header=BB184_2 Depth=1
	ds_load_b32 v26, v20
	s_branch .LBB184_1
.LBB184_66:
	s_waitcnt lgkmcnt(0)
	v_xor_b32_e32 v1, 0x80000000, v14
	v_xor_b32_e32 v0, 0x80000000, v13
	v_lshlrev_b32_e32 v2, 3, v8
	s_add_u32 s0, s18, s12
	s_addc_u32 s1, s19, s13
	global_store_b64 v2, v[0:1], s[0:1]
	s_nop 0
	s_sendmsg sendmsg(MSG_DEALLOC_VGPRS)
	s_endpgm
	.section	.rodata,"a",@progbits
	.p2align	6, 0x0
	.amdhsa_kernel _Z16sort_keys_kernelI22helper_blocked_blockedN15benchmark_utils11custom_typeIiiEELj512ELj1ELj10EEvPKT0_PS4_
		.amdhsa_group_segment_fixed_size 16448
		.amdhsa_private_segment_fixed_size 0
		.amdhsa_kernarg_size 272
		.amdhsa_user_sgpr_count 15
		.amdhsa_user_sgpr_dispatch_ptr 0
		.amdhsa_user_sgpr_queue_ptr 0
		.amdhsa_user_sgpr_kernarg_segment_ptr 1
		.amdhsa_user_sgpr_dispatch_id 0
		.amdhsa_user_sgpr_private_segment_size 0
		.amdhsa_wavefront_size32 1
		.amdhsa_uses_dynamic_stack 0
		.amdhsa_enable_private_segment 0
		.amdhsa_system_sgpr_workgroup_id_x 1
		.amdhsa_system_sgpr_workgroup_id_y 0
		.amdhsa_system_sgpr_workgroup_id_z 0
		.amdhsa_system_sgpr_workgroup_info 0
		.amdhsa_system_vgpr_workitem_id 2
		.amdhsa_next_free_vgpr 28
		.amdhsa_next_free_sgpr 22
		.amdhsa_reserve_vcc 1
		.amdhsa_float_round_mode_32 0
		.amdhsa_float_round_mode_16_64 0
		.amdhsa_float_denorm_mode_32 3
		.amdhsa_float_denorm_mode_16_64 3
		.amdhsa_dx10_clamp 1
		.amdhsa_ieee_mode 1
		.amdhsa_fp16_overflow 0
		.amdhsa_workgroup_processor_mode 1
		.amdhsa_memory_ordered 1
		.amdhsa_forward_progress 0
		.amdhsa_shared_vgpr_count 0
		.amdhsa_exception_fp_ieee_invalid_op 0
		.amdhsa_exception_fp_denorm_src 0
		.amdhsa_exception_fp_ieee_div_zero 0
		.amdhsa_exception_fp_ieee_overflow 0
		.amdhsa_exception_fp_ieee_underflow 0
		.amdhsa_exception_fp_ieee_inexact 0
		.amdhsa_exception_int_div_zero 0
	.end_amdhsa_kernel
	.section	.text._Z16sort_keys_kernelI22helper_blocked_blockedN15benchmark_utils11custom_typeIiiEELj512ELj1ELj10EEvPKT0_PS4_,"axG",@progbits,_Z16sort_keys_kernelI22helper_blocked_blockedN15benchmark_utils11custom_typeIiiEELj512ELj1ELj10EEvPKT0_PS4_,comdat
.Lfunc_end184:
	.size	_Z16sort_keys_kernelI22helper_blocked_blockedN15benchmark_utils11custom_typeIiiEELj512ELj1ELj10EEvPKT0_PS4_, .Lfunc_end184-_Z16sort_keys_kernelI22helper_blocked_blockedN15benchmark_utils11custom_typeIiiEELj512ELj1ELj10EEvPKT0_PS4_
                                        ; -- End function
	.section	.AMDGPU.csdata,"",@progbits
; Kernel info:
; codeLenInByte = 8320
; NumSgprs: 24
; NumVgprs: 28
; ScratchSize: 0
; MemoryBound: 0
; FloatMode: 240
; IeeeMode: 1
; LDSByteSize: 16448 bytes/workgroup (compile time only)
; SGPRBlocks: 2
; VGPRBlocks: 3
; NumSGPRsForWavesPerEU: 24
; NumVGPRsForWavesPerEU: 28
; Occupancy: 16
; WaveLimiterHint : 0
; COMPUTE_PGM_RSRC2:SCRATCH_EN: 0
; COMPUTE_PGM_RSRC2:USER_SGPR: 15
; COMPUTE_PGM_RSRC2:TRAP_HANDLER: 0
; COMPUTE_PGM_RSRC2:TGID_X_EN: 1
; COMPUTE_PGM_RSRC2:TGID_Y_EN: 0
; COMPUTE_PGM_RSRC2:TGID_Z_EN: 0
; COMPUTE_PGM_RSRC2:TIDIG_COMP_CNT: 2
	.section	.text._Z17sort_pairs_kernelI22helper_blocked_blockedN15benchmark_utils11custom_typeIiiEELj512ELj1ELj10EEvPKT0_PS4_,"axG",@progbits,_Z17sort_pairs_kernelI22helper_blocked_blockedN15benchmark_utils11custom_typeIiiEELj512ELj1ELj10EEvPKT0_PS4_,comdat
	.protected	_Z17sort_pairs_kernelI22helper_blocked_blockedN15benchmark_utils11custom_typeIiiEELj512ELj1ELj10EEvPKT0_PS4_ ; -- Begin function _Z17sort_pairs_kernelI22helper_blocked_blockedN15benchmark_utils11custom_typeIiiEELj512ELj1ELj10EEvPKT0_PS4_
	.globl	_Z17sort_pairs_kernelI22helper_blocked_blockedN15benchmark_utils11custom_typeIiiEELj512ELj1ELj10EEvPKT0_PS4_
	.p2align	8
	.type	_Z17sort_pairs_kernelI22helper_blocked_blockedN15benchmark_utils11custom_typeIiiEELj512ELj1ELj10EEvPKT0_PS4_,@function
_Z17sort_pairs_kernelI22helper_blocked_blockedN15benchmark_utils11custom_typeIiiEELj512ELj1ELj10EEvPKT0_PS4_: ; @_Z17sort_pairs_kernelI22helper_blocked_blockedN15benchmark_utils11custom_typeIiiEELj512ELj1ELj10EEvPKT0_PS4_
; %bb.0:
	s_clause 0x1
	s_load_b128 s[16:19], s[0:1], 0x0
	s_load_b32 s8, s[0:1], 0x1c
	s_mov_b32 s21, 0
	s_lshl_b32 s20, s15, 9
	s_mov_b32 s14, s21
	s_mov_b32 s15, s21
	v_dual_mov_b32 v9, s14 :: v_dual_and_b32 v8, 0x3ff, v0
	s_lshl_b64 s[12:13], s[20:21], 3
	v_mov_b32_e32 v10, s15
	v_mbcnt_lo_u32_b32 v5, -1, 0
	s_delay_alu instid0(VALU_DEP_3)
	v_lshlrev_b32_e32 v1, 3, v8
	v_bfe_u32 v3, v0, 10, 10
	v_bfe_u32 v0, v0, 20, 10
	s_mov_b32 s20, s21
	v_and_b32_e32 v6, 16, v5
	v_add_nc_u32_e32 v7, -1, v5
	v_dual_mov_b32 v11, s20 :: v_dual_and_b32 v4, 15, v5
	v_mov_b32_e32 v12, s21
	s_waitcnt lgkmcnt(0)
	s_add_u32 s0, s16, s12
	s_addc_u32 s1, s17, s13
	s_lshr_b32 s9, s8, 16
	global_load_b64 v[1:2], v1, s[0:1]
	v_mad_u32_u24 v0, v0, s9, v3
	v_lshlrev_b32_e32 v19, 5, v8
	v_cmp_eq_u32_e64 s4, 0, v6
	v_and_b32_e32 v6, 0x1e0, v8
	v_cmp_gt_i32_e64 s7, 0, v7
	v_lshrrev_b32_e32 v13, 3, v8
	s_and_b32 s8, s8, 0xffff
	v_cmp_eq_u32_e64 s0, 0, v4
	v_cmp_lt_u32_e64 s1, 1, v4
	v_cmp_lt_u32_e64 s2, 3, v4
	;; [unrolled: 1-line block ×3, first 2 shown]
	v_mad_u64_u32 v[3:4], null, v0, s8, v[8:9]
	v_cndmask_b32_e64 v7, v7, v5, s7
	v_lshlrev_b32_e32 v17, 2, v8
	v_or_b32_e32 v14, 31, v6
	v_and_b32_e32 v21, 60, v13
	v_or_b32_e32 v0, v5, v6
	v_mad_i32_i24 v23, 0xffffffe4, v8, v19
	v_cmp_eq_u32_e32 vcc_lo, 0, v5
	v_cmp_gt_u32_e64 s5, 16, v8
	v_cmp_lt_u32_e64 s6, 31, v8
	v_cmp_eq_u32_e64 s7, 0, v8
	v_add_nc_u32_e32 v20, 64, v19
	v_lshlrev_b32_e32 v22, 2, v7
	v_cmp_eq_u32_e64 s8, v14, v8
	v_add_nc_u32_e32 v24, -4, v21
	v_lshlrev_b32_e32 v25, 3, v0
	v_lshrrev_b32_e32 v26, 5, v3
	v_add_nc_u32_e32 v27, v23, v17
	s_mov_b32 s16, 10
	s_waitcnt vmcnt(0)
	v_add_nc_u32_e32 v13, 1, v1
	v_add_nc_u32_e32 v14, 1, v2
	v_xor_b32_e32 v15, 0x80000000, v1
	v_xor_b32_e32 v16, 0x80000000, v2
	s_branch .LBB185_2
.LBB185_1:                              ;   in Loop: Header=BB185_2 Depth=1
	s_or_b32 exec_lo, exec_lo, s9
	s_waitcnt lgkmcnt(0)
	v_add_nc_u32_e32 v3, v28, v3
	s_add_i32 s16, s16, -1
	s_delay_alu instid0(SALU_CYCLE_1) | instskip(SKIP_3) | instid1(VALU_DEP_1)
	s_cmp_lg_u32 s16, 0
	ds_bpermute_b32 v3, v22, v3
	s_waitcnt lgkmcnt(0)
	v_cndmask_b32_e32 v3, v3, v28, vcc_lo
	v_cndmask_b32_e64 v3, v3, 0, s7
	s_delay_alu instid0(VALU_DEP_1) | instskip(NEXT) | instid1(VALU_DEP_1)
	v_add_nc_u32_e32 v4, v3, v4
	v_add_nc_u32_e32 v5, v4, v5
	s_delay_alu instid0(VALU_DEP_1) | instskip(NEXT) | instid1(VALU_DEP_1)
	v_add_nc_u32_e32 v6, v5, v6
	v_add_nc_u32_e32 v28, v6, v7
	;; [unrolled: 3-line block ×3, first 2 shown]
	s_delay_alu instid0(VALU_DEP_1)
	v_add_nc_u32_e32 v1, v0, v2
	ds_store_2addr_b64 v19, v[3:4], v[5:6] offset0:8 offset1:9
	ds_store_2addr_b64 v20, v[28:29], v[0:1] offset0:2 offset1:3
	s_waitcnt lgkmcnt(0)
	s_barrier
	buffer_gl0_inv
	ds_load_b32 v0, v16
	v_lshlrev_b32_e32 v1, 3, v15
	s_waitcnt lgkmcnt(0)
	s_barrier
	buffer_gl0_inv
	v_lshl_add_u32 v0, v0, 3, v1
	ds_store_b64 v0, v[13:14]
	s_waitcnt lgkmcnt(0)
	s_barrier
	buffer_gl0_inv
	ds_load_b64 v[15:16], v27
	s_waitcnt lgkmcnt(0)
	s_barrier
	buffer_gl0_inv
	ds_store_b64 v0, v[17:18]
	s_waitcnt lgkmcnt(0)
	s_barrier
	buffer_gl0_inv
	ds_load_b64 v[13:14], v27
	s_cbranch_scc0 .LBB185_66
.LBB185_2:                              ; =>This Inner Loop Header: Depth=1
	s_delay_alu instid0(VALU_DEP_1)
	v_and_b32_e32 v0, 1, v16
	v_lshlrev_b32_e32 v1, 30, v16
	v_lshlrev_b32_e32 v2, 29, v16
	;; [unrolled: 1-line block ×4, first 2 shown]
	v_add_co_u32 v0, s9, v0, -1
	s_delay_alu instid0(VALU_DEP_1)
	v_cndmask_b32_e64 v3, 0, 1, s9
	v_not_b32_e32 v7, v1
	v_cmp_gt_i32_e64 s10, 0, v1
	v_not_b32_e32 v1, v2
	v_lshlrev_b32_e32 v6, 26, v16
	v_cmp_ne_u32_e64 s9, 0, v3
	v_ashrrev_i32_e32 v7, 31, v7
	v_lshlrev_b32_e32 v3, 25, v16
	v_ashrrev_i32_e32 v1, 31, v1
	v_cmp_gt_i32_e64 s11, 0, v5
	v_xor_b32_e32 v0, s9, v0
	v_cmp_gt_i32_e64 s9, 0, v2
	v_not_b32_e32 v2, v4
	v_xor_b32_e32 v7, s10, v7
	v_cmp_gt_i32_e64 s10, 0, v4
	v_and_b32_e32 v0, exec_lo, v0
	v_xor_b32_e32 v1, s9, v1
	v_ashrrev_i32_e32 v2, 31, v2
	v_not_b32_e32 v4, v5
	v_not_b32_e32 v5, v6
	v_and_b32_e32 v0, v0, v7
	v_cmp_gt_i32_e64 s9, 0, v6
	v_xor_b32_e32 v2, s10, v2
	v_not_b32_e32 v6, v3
	ds_store_2addr_b64 v19, v[11:12], v[9:10] offset0:8 offset1:9
	ds_store_2addr_b64 v20, v[11:12], v[9:10] offset0:2 offset1:3
	v_and_b32_e32 v0, v0, v1
	v_ashrrev_i32_e32 v1, 31, v4
	v_ashrrev_i32_e32 v4, 31, v5
	v_lshlrev_b32_e32 v5, 24, v16
	s_waitcnt lgkmcnt(0)
	v_and_b32_e32 v0, v0, v2
	v_xor_b32_e32 v1, s11, v1
	v_xor_b32_e32 v2, s9, v4
	v_cmp_gt_i32_e64 s9, 0, v3
	v_not_b32_e32 v3, v5
	v_ashrrev_i32_e32 v4, 31, v6
	v_and_b32_e32 v0, v0, v1
	v_cmp_gt_i32_e64 s10, 0, v5
	s_barrier
	v_ashrrev_i32_e32 v1, 31, v3
	v_xor_b32_e32 v3, s9, v4
	v_and_b32_e32 v0, v0, v2
	buffer_gl0_inv
	v_xor_b32_e32 v1, s10, v1
	; wave barrier
	v_and_b32_e32 v0, v0, v3
	s_delay_alu instid0(VALU_DEP_1) | instskip(SKIP_1) | instid1(VALU_DEP_2)
	v_and_b32_e32 v0, v0, v1
	v_and_b32_e32 v1, 0xff, v16
	v_mbcnt_lo_u32_b32 v17, v0, 0
	s_delay_alu instid0(VALU_DEP_2) | instskip(SKIP_1) | instid1(VALU_DEP_3)
	v_lshl_add_u32 v1, v1, 4, v26
	v_cmp_ne_u32_e64 s10, 0, v0
	v_cmp_eq_u32_e64 s9, 0, v17
	s_delay_alu instid0(VALU_DEP_3) | instskip(NEXT) | instid1(VALU_DEP_2)
	v_lshl_add_u32 v18, v1, 2, 64
	s_and_b32 s10, s10, s9
	s_delay_alu instid0(SALU_CYCLE_1)
	s_and_saveexec_b32 s9, s10
	s_cbranch_execz .LBB185_4
; %bb.3:                                ;   in Loop: Header=BB185_2 Depth=1
	v_bcnt_u32_b32 v0, v0, 0
	ds_store_b32 v18, v0
.LBB185_4:                              ;   in Loop: Header=BB185_2 Depth=1
	s_or_b32 exec_lo, exec_lo, s9
	; wave barrier
	s_waitcnt lgkmcnt(0)
	s_barrier
	buffer_gl0_inv
	ds_load_2addr_b64 v[4:7], v19 offset0:8 offset1:9
	ds_load_2addr_b64 v[0:3], v20 offset0:2 offset1:3
	s_waitcnt lgkmcnt(1)
	v_add_nc_u32_e32 v28, v5, v4
	s_delay_alu instid0(VALU_DEP_1) | instskip(SKIP_1) | instid1(VALU_DEP_1)
	v_add3_u32 v28, v28, v6, v7
	s_waitcnt lgkmcnt(0)
	v_add3_u32 v28, v28, v0, v1
	s_delay_alu instid0(VALU_DEP_1) | instskip(NEXT) | instid1(VALU_DEP_1)
	v_add3_u32 v3, v28, v2, v3
	v_mov_b32_dpp v28, v3 row_shr:1 row_mask:0xf bank_mask:0xf
	s_delay_alu instid0(VALU_DEP_1) | instskip(NEXT) | instid1(VALU_DEP_1)
	v_cndmask_b32_e64 v28, v28, 0, s0
	v_add_nc_u32_e32 v3, v28, v3
	s_delay_alu instid0(VALU_DEP_1) | instskip(NEXT) | instid1(VALU_DEP_1)
	v_mov_b32_dpp v28, v3 row_shr:2 row_mask:0xf bank_mask:0xf
	v_cndmask_b32_e64 v28, 0, v28, s1
	s_delay_alu instid0(VALU_DEP_1) | instskip(NEXT) | instid1(VALU_DEP_1)
	v_add_nc_u32_e32 v3, v3, v28
	v_mov_b32_dpp v28, v3 row_shr:4 row_mask:0xf bank_mask:0xf
	s_delay_alu instid0(VALU_DEP_1) | instskip(NEXT) | instid1(VALU_DEP_1)
	v_cndmask_b32_e64 v28, 0, v28, s2
	v_add_nc_u32_e32 v3, v3, v28
	s_delay_alu instid0(VALU_DEP_1) | instskip(NEXT) | instid1(VALU_DEP_1)
	v_mov_b32_dpp v28, v3 row_shr:8 row_mask:0xf bank_mask:0xf
	v_cndmask_b32_e64 v28, 0, v28, s3
	s_delay_alu instid0(VALU_DEP_1) | instskip(SKIP_3) | instid1(VALU_DEP_1)
	v_add_nc_u32_e32 v3, v3, v28
	ds_swizzle_b32 v28, v3 offset:swizzle(BROADCAST,32,15)
	s_waitcnt lgkmcnt(0)
	v_cndmask_b32_e64 v28, v28, 0, s4
	v_add_nc_u32_e32 v3, v3, v28
	s_and_saveexec_b32 s9, s8
	s_cbranch_execz .LBB185_6
; %bb.5:                                ;   in Loop: Header=BB185_2 Depth=1
	ds_store_b32 v21, v3
.LBB185_6:                              ;   in Loop: Header=BB185_2 Depth=1
	s_or_b32 exec_lo, exec_lo, s9
	s_waitcnt lgkmcnt(0)
	s_barrier
	buffer_gl0_inv
	s_and_saveexec_b32 s9, s5
	s_cbranch_execz .LBB185_8
; %bb.7:                                ;   in Loop: Header=BB185_2 Depth=1
	ds_load_b32 v28, v23
	s_waitcnt lgkmcnt(0)
	v_mov_b32_dpp v29, v28 row_shr:1 row_mask:0xf bank_mask:0xf
	s_delay_alu instid0(VALU_DEP_1) | instskip(NEXT) | instid1(VALU_DEP_1)
	v_cndmask_b32_e64 v29, v29, 0, s0
	v_add_nc_u32_e32 v28, v29, v28
	s_delay_alu instid0(VALU_DEP_1) | instskip(NEXT) | instid1(VALU_DEP_1)
	v_mov_b32_dpp v29, v28 row_shr:2 row_mask:0xf bank_mask:0xf
	v_cndmask_b32_e64 v29, 0, v29, s1
	s_delay_alu instid0(VALU_DEP_1) | instskip(NEXT) | instid1(VALU_DEP_1)
	v_add_nc_u32_e32 v28, v28, v29
	v_mov_b32_dpp v29, v28 row_shr:4 row_mask:0xf bank_mask:0xf
	s_delay_alu instid0(VALU_DEP_1) | instskip(NEXT) | instid1(VALU_DEP_1)
	v_cndmask_b32_e64 v29, 0, v29, s2
	v_add_nc_u32_e32 v28, v28, v29
	s_delay_alu instid0(VALU_DEP_1) | instskip(NEXT) | instid1(VALU_DEP_1)
	v_mov_b32_dpp v29, v28 row_shr:8 row_mask:0xf bank_mask:0xf
	v_cndmask_b32_e64 v29, 0, v29, s3
	s_delay_alu instid0(VALU_DEP_1)
	v_add_nc_u32_e32 v28, v28, v29
	ds_store_b32 v23, v28
.LBB185_8:                              ;   in Loop: Header=BB185_2 Depth=1
	s_or_b32 exec_lo, exec_lo, s9
	v_mov_b32_e32 v28, 0
	s_waitcnt lgkmcnt(0)
	s_barrier
	buffer_gl0_inv
	s_and_saveexec_b32 s9, s6
	s_cbranch_execz .LBB185_10
; %bb.9:                                ;   in Loop: Header=BB185_2 Depth=1
	ds_load_b32 v28, v24
.LBB185_10:                             ;   in Loop: Header=BB185_2 Depth=1
	s_or_b32 exec_lo, exec_lo, s9
	s_waitcnt lgkmcnt(0)
	v_add_nc_u32_e32 v3, v28, v3
	ds_bpermute_b32 v3, v22, v3
	s_waitcnt lgkmcnt(0)
	v_cndmask_b32_e32 v3, v3, v28, vcc_lo
	s_delay_alu instid0(VALU_DEP_1) | instskip(NEXT) | instid1(VALU_DEP_1)
	v_cndmask_b32_e64 v3, v3, 0, s7
	v_add_nc_u32_e32 v4, v3, v4
	s_delay_alu instid0(VALU_DEP_1) | instskip(NEXT) | instid1(VALU_DEP_1)
	v_add_nc_u32_e32 v5, v4, v5
	v_add_nc_u32_e32 v6, v5, v6
	s_delay_alu instid0(VALU_DEP_1) | instskip(NEXT) | instid1(VALU_DEP_1)
	v_add_nc_u32_e32 v28, v6, v7
	;; [unrolled: 3-line block ×3, first 2 shown]
	v_add_nc_u32_e32 v1, v0, v2
	ds_store_2addr_b64 v19, v[3:4], v[5:6] offset0:8 offset1:9
	ds_store_2addr_b64 v20, v[28:29], v[0:1] offset0:2 offset1:3
	s_waitcnt lgkmcnt(0)
	s_barrier
	buffer_gl0_inv
	ds_load_b32 v0, v18
	v_lshlrev_b32_e32 v1, 3, v17
	s_waitcnt lgkmcnt(0)
	s_barrier
	buffer_gl0_inv
	v_lshl_add_u32 v0, v0, 3, v1
	ds_store_b64 v0, v[15:16]
	s_waitcnt lgkmcnt(0)
	s_barrier
	buffer_gl0_inv
	ds_load_b64 v[17:18], v25
	s_waitcnt lgkmcnt(0)
	s_barrier
	buffer_gl0_inv
	ds_store_b64 v0, v[13:14]
	s_waitcnt lgkmcnt(0)
	s_barrier
	buffer_gl0_inv
	v_bfe_u32 v1, v18, 8, 1
	v_lshrrev_b32_e32 v2, 8, v18
	s_delay_alu instid0(VALU_DEP_2) | instskip(NEXT) | instid1(VALU_DEP_1)
	v_add_co_u32 v1, s9, v1, -1
	v_cndmask_b32_e64 v3, 0, 1, s9
	s_delay_alu instid0(VALU_DEP_3)
	v_lshlrev_b32_e32 v4, 30, v2
	v_lshlrev_b32_e32 v5, 29, v2
	;; [unrolled: 1-line block ×4, first 2 shown]
	v_cmp_ne_u32_e64 s9, 0, v3
	v_not_b32_e32 v3, v4
	v_cmp_gt_i32_e64 s10, 0, v4
	v_not_b32_e32 v4, v5
	v_lshlrev_b32_e32 v15, 26, v2
	v_xor_b32_e32 v1, s9, v1
	v_ashrrev_i32_e32 v3, 31, v3
	v_cmp_gt_i32_e64 s9, 0, v5
	v_not_b32_e32 v5, v6
	v_ashrrev_i32_e32 v4, 31, v4
	v_and_b32_e32 v1, exec_lo, v1
	v_xor_b32_e32 v3, s10, v3
	v_cmp_gt_i32_e64 s10, 0, v6
	v_not_b32_e32 v6, v7
	v_ashrrev_i32_e32 v5, 31, v5
	v_xor_b32_e32 v4, s9, v4
	v_and_b32_e32 v1, v1, v3
	v_lshlrev_b32_e32 v16, 25, v2
	v_cmp_gt_i32_e64 s9, 0, v7
	v_not_b32_e32 v3, v15
	v_ashrrev_i32_e32 v6, 31, v6
	v_xor_b32_e32 v5, s10, v5
	v_and_b32_e32 v1, v1, v4
	v_lshlrev_b32_e32 v2, 24, v2
	v_cmp_gt_i32_e64 s10, 0, v15
	v_not_b32_e32 v4, v16
	v_ashrrev_i32_e32 v3, 31, v3
	v_xor_b32_e32 v6, s9, v6
	v_and_b32_e32 v1, v1, v5
	v_cmp_gt_i32_e64 s9, 0, v16
	v_not_b32_e32 v5, v2
	v_ashrrev_i32_e32 v4, 31, v4
	v_xor_b32_e32 v3, s10, v3
	v_and_b32_e32 v1, v1, v6
	v_cmp_gt_i32_e64 s10, 0, v2
	v_ashrrev_i32_e32 v2, 31, v5
	v_xor_b32_e32 v4, s9, v4
	ds_load_b64 v[15:16], v25
	v_and_b32_e32 v1, v1, v3
	s_waitcnt lgkmcnt(0)
	v_xor_b32_e32 v0, s10, v2
	v_lshrrev_b32_e32 v2, 4, v18
	s_barrier
	v_and_b32_e32 v1, v1, v4
	buffer_gl0_inv
	ds_store_2addr_b64 v19, v[11:12], v[9:10] offset0:8 offset1:9
	ds_store_2addr_b64 v20, v[11:12], v[9:10] offset0:2 offset1:3
	s_waitcnt lgkmcnt(0)
	s_barrier
	v_and_b32_e32 v0, v1, v0
	v_and_b32_e32 v1, 0xff0, v2
	buffer_gl0_inv
	; wave barrier
	v_mbcnt_lo_u32_b32 v13, v0, 0
	v_add_nc_u32_e32 v1, v1, v26
	v_cmp_ne_u32_e64 s10, 0, v0
	s_delay_alu instid0(VALU_DEP_3) | instskip(NEXT) | instid1(VALU_DEP_3)
	v_cmp_eq_u32_e64 s9, 0, v13
	v_lshl_add_u32 v14, v1, 2, 64
	s_delay_alu instid0(VALU_DEP_2) | instskip(NEXT) | instid1(SALU_CYCLE_1)
	s_and_b32 s10, s10, s9
	s_and_saveexec_b32 s9, s10
	s_cbranch_execz .LBB185_12
; %bb.11:                               ;   in Loop: Header=BB185_2 Depth=1
	v_bcnt_u32_b32 v0, v0, 0
	ds_store_b32 v14, v0
.LBB185_12:                             ;   in Loop: Header=BB185_2 Depth=1
	s_or_b32 exec_lo, exec_lo, s9
	; wave barrier
	s_waitcnt lgkmcnt(0)
	s_barrier
	buffer_gl0_inv
	ds_load_2addr_b64 v[4:7], v19 offset0:8 offset1:9
	ds_load_2addr_b64 v[0:3], v20 offset0:2 offset1:3
	s_waitcnt lgkmcnt(1)
	v_add_nc_u32_e32 v28, v5, v4
	s_delay_alu instid0(VALU_DEP_1) | instskip(SKIP_1) | instid1(VALU_DEP_1)
	v_add3_u32 v28, v28, v6, v7
	s_waitcnt lgkmcnt(0)
	v_add3_u32 v28, v28, v0, v1
	s_delay_alu instid0(VALU_DEP_1) | instskip(NEXT) | instid1(VALU_DEP_1)
	v_add3_u32 v3, v28, v2, v3
	v_mov_b32_dpp v28, v3 row_shr:1 row_mask:0xf bank_mask:0xf
	s_delay_alu instid0(VALU_DEP_1) | instskip(NEXT) | instid1(VALU_DEP_1)
	v_cndmask_b32_e64 v28, v28, 0, s0
	v_add_nc_u32_e32 v3, v28, v3
	s_delay_alu instid0(VALU_DEP_1) | instskip(NEXT) | instid1(VALU_DEP_1)
	v_mov_b32_dpp v28, v3 row_shr:2 row_mask:0xf bank_mask:0xf
	v_cndmask_b32_e64 v28, 0, v28, s1
	s_delay_alu instid0(VALU_DEP_1) | instskip(NEXT) | instid1(VALU_DEP_1)
	v_add_nc_u32_e32 v3, v3, v28
	v_mov_b32_dpp v28, v3 row_shr:4 row_mask:0xf bank_mask:0xf
	s_delay_alu instid0(VALU_DEP_1) | instskip(NEXT) | instid1(VALU_DEP_1)
	v_cndmask_b32_e64 v28, 0, v28, s2
	v_add_nc_u32_e32 v3, v3, v28
	s_delay_alu instid0(VALU_DEP_1) | instskip(NEXT) | instid1(VALU_DEP_1)
	v_mov_b32_dpp v28, v3 row_shr:8 row_mask:0xf bank_mask:0xf
	v_cndmask_b32_e64 v28, 0, v28, s3
	s_delay_alu instid0(VALU_DEP_1) | instskip(SKIP_3) | instid1(VALU_DEP_1)
	v_add_nc_u32_e32 v3, v3, v28
	ds_swizzle_b32 v28, v3 offset:swizzle(BROADCAST,32,15)
	s_waitcnt lgkmcnt(0)
	v_cndmask_b32_e64 v28, v28, 0, s4
	v_add_nc_u32_e32 v3, v3, v28
	s_and_saveexec_b32 s9, s8
	s_cbranch_execz .LBB185_14
; %bb.13:                               ;   in Loop: Header=BB185_2 Depth=1
	ds_store_b32 v21, v3
.LBB185_14:                             ;   in Loop: Header=BB185_2 Depth=1
	s_or_b32 exec_lo, exec_lo, s9
	s_waitcnt lgkmcnt(0)
	s_barrier
	buffer_gl0_inv
	s_and_saveexec_b32 s9, s5
	s_cbranch_execz .LBB185_16
; %bb.15:                               ;   in Loop: Header=BB185_2 Depth=1
	ds_load_b32 v28, v23
	s_waitcnt lgkmcnt(0)
	v_mov_b32_dpp v29, v28 row_shr:1 row_mask:0xf bank_mask:0xf
	s_delay_alu instid0(VALU_DEP_1) | instskip(NEXT) | instid1(VALU_DEP_1)
	v_cndmask_b32_e64 v29, v29, 0, s0
	v_add_nc_u32_e32 v28, v29, v28
	s_delay_alu instid0(VALU_DEP_1) | instskip(NEXT) | instid1(VALU_DEP_1)
	v_mov_b32_dpp v29, v28 row_shr:2 row_mask:0xf bank_mask:0xf
	v_cndmask_b32_e64 v29, 0, v29, s1
	s_delay_alu instid0(VALU_DEP_1) | instskip(NEXT) | instid1(VALU_DEP_1)
	v_add_nc_u32_e32 v28, v28, v29
	v_mov_b32_dpp v29, v28 row_shr:4 row_mask:0xf bank_mask:0xf
	s_delay_alu instid0(VALU_DEP_1) | instskip(NEXT) | instid1(VALU_DEP_1)
	v_cndmask_b32_e64 v29, 0, v29, s2
	v_add_nc_u32_e32 v28, v28, v29
	s_delay_alu instid0(VALU_DEP_1) | instskip(NEXT) | instid1(VALU_DEP_1)
	v_mov_b32_dpp v29, v28 row_shr:8 row_mask:0xf bank_mask:0xf
	v_cndmask_b32_e64 v29, 0, v29, s3
	s_delay_alu instid0(VALU_DEP_1)
	v_add_nc_u32_e32 v28, v28, v29
	ds_store_b32 v23, v28
.LBB185_16:                             ;   in Loop: Header=BB185_2 Depth=1
	s_or_b32 exec_lo, exec_lo, s9
	v_mov_b32_e32 v28, 0
	s_waitcnt lgkmcnt(0)
	s_barrier
	buffer_gl0_inv
	s_and_saveexec_b32 s9, s6
	s_cbranch_execz .LBB185_18
; %bb.17:                               ;   in Loop: Header=BB185_2 Depth=1
	ds_load_b32 v28, v24
.LBB185_18:                             ;   in Loop: Header=BB185_2 Depth=1
	s_or_b32 exec_lo, exec_lo, s9
	s_waitcnt lgkmcnt(0)
	v_add_nc_u32_e32 v3, v28, v3
	ds_bpermute_b32 v3, v22, v3
	s_waitcnt lgkmcnt(0)
	v_cndmask_b32_e32 v3, v3, v28, vcc_lo
	s_delay_alu instid0(VALU_DEP_1) | instskip(NEXT) | instid1(VALU_DEP_1)
	v_cndmask_b32_e64 v3, v3, 0, s7
	v_add_nc_u32_e32 v4, v3, v4
	s_delay_alu instid0(VALU_DEP_1) | instskip(NEXT) | instid1(VALU_DEP_1)
	v_add_nc_u32_e32 v5, v4, v5
	v_add_nc_u32_e32 v6, v5, v6
	s_delay_alu instid0(VALU_DEP_1) | instskip(NEXT) | instid1(VALU_DEP_1)
	v_add_nc_u32_e32 v28, v6, v7
	v_add_nc_u32_e32 v29, v28, v0
	s_delay_alu instid0(VALU_DEP_1) | instskip(NEXT) | instid1(VALU_DEP_1)
	v_add_nc_u32_e32 v0, v29, v1
	v_add_nc_u32_e32 v1, v0, v2
	ds_store_2addr_b64 v19, v[3:4], v[5:6] offset0:8 offset1:9
	ds_store_2addr_b64 v20, v[28:29], v[0:1] offset0:2 offset1:3
	s_waitcnt lgkmcnt(0)
	s_barrier
	buffer_gl0_inv
	ds_load_b32 v0, v14
	v_lshlrev_b32_e32 v1, 3, v13
	s_waitcnt lgkmcnt(0)
	s_barrier
	buffer_gl0_inv
	v_lshl_add_u32 v0, v0, 3, v1
	v_dual_mov_b32 v1, s20 :: v_dual_mov_b32 v2, s21
	ds_store_b64 v0, v[17:18]
	s_waitcnt lgkmcnt(0)
	s_barrier
	buffer_gl0_inv
	ds_load_b64 v[13:14], v25
	s_waitcnt lgkmcnt(0)
	s_barrier
	buffer_gl0_inv
	ds_store_b64 v0, v[15:16]
	s_waitcnt lgkmcnt(0)
	s_barrier
	buffer_gl0_inv
	ds_load_b64 v[15:16], v25
	s_waitcnt lgkmcnt(0)
	s_barrier
	buffer_gl0_inv
	v_bfe_u32 v3, v14, 16, 1
	v_lshrrev_b32_e32 v4, 16, v14
	s_delay_alu instid0(VALU_DEP_2) | instskip(NEXT) | instid1(VALU_DEP_1)
	v_add_co_u32 v3, s9, v3, -1
	v_cndmask_b32_e64 v5, 0, 1, s9
	s_delay_alu instid0(VALU_DEP_3)
	v_lshlrev_b32_e32 v6, 30, v4
	v_lshlrev_b32_e32 v7, 29, v4
	;; [unrolled: 1-line block ×4, first 2 shown]
	v_cmp_ne_u32_e64 s9, 0, v5
	v_not_b32_e32 v5, v6
	v_cmp_gt_i32_e64 s10, 0, v6
	v_not_b32_e32 v6, v7
	v_lshlrev_b32_e32 v28, 26, v4
	v_xor_b32_e32 v3, s9, v3
	v_ashrrev_i32_e32 v5, 31, v5
	v_cmp_gt_i32_e64 s9, 0, v7
	v_not_b32_e32 v7, v17
	v_ashrrev_i32_e32 v6, 31, v6
	v_and_b32_e32 v3, exec_lo, v3
	v_xor_b32_e32 v5, s10, v5
	v_cmp_gt_i32_e64 s10, 0, v17
	v_not_b32_e32 v17, v18
	v_ashrrev_i32_e32 v7, 31, v7
	v_xor_b32_e32 v6, s9, v6
	v_and_b32_e32 v3, v3, v5
	v_lshlrev_b32_e32 v29, 25, v4
	v_cmp_gt_i32_e64 s9, 0, v18
	v_not_b32_e32 v5, v28
	v_ashrrev_i32_e32 v17, 31, v17
	v_xor_b32_e32 v7, s10, v7
	v_and_b32_e32 v3, v3, v6
	v_lshlrev_b32_e32 v4, 24, v4
	v_cmp_gt_i32_e64 s10, 0, v28
	v_not_b32_e32 v6, v29
	v_ashrrev_i32_e32 v5, 31, v5
	v_xor_b32_e32 v17, s9, v17
	v_and_b32_e32 v3, v3, v7
	v_cmp_gt_i32_e64 s9, 0, v29
	v_not_b32_e32 v7, v4
	v_ashrrev_i32_e32 v6, 31, v6
	v_xor_b32_e32 v5, s10, v5
	v_and_b32_e32 v3, v3, v17
	v_cmp_gt_i32_e64 s10, 0, v4
	v_ashrrev_i32_e32 v4, 31, v7
	v_xor_b32_e32 v6, s9, v6
	s_delay_alu instid0(VALU_DEP_4) | instskip(NEXT) | instid1(VALU_DEP_3)
	v_and_b32_e32 v3, v3, v5
	v_xor_b32_e32 v0, s10, v4
	s_delay_alu instid0(VALU_DEP_2)
	v_and_b32_e32 v5, v3, v6
	v_mov_b32_e32 v3, s14
	v_lshrrev_b32_e32 v6, 12, v14
	v_mov_b32_e32 v4, s15
	ds_store_2addr_b64 v19, v[1:2], v[3:4] offset0:8 offset1:9
	ds_store_2addr_b64 v20, v[1:2], v[3:4] offset0:2 offset1:3
	v_and_b32_e32 v0, v5, v0
	v_and_b32_e32 v5, 0xff0, v6
	s_waitcnt lgkmcnt(0)
	s_barrier
	buffer_gl0_inv
	v_mbcnt_lo_u32_b32 v17, v0, 0
	v_add_nc_u32_e32 v1, v5, v26
	v_cmp_ne_u32_e64 s10, 0, v0
	; wave barrier
	s_delay_alu instid0(VALU_DEP_3) | instskip(NEXT) | instid1(VALU_DEP_3)
	v_cmp_eq_u32_e64 s9, 0, v17
	v_lshl_add_u32 v18, v1, 2, 64
	s_delay_alu instid0(VALU_DEP_2) | instskip(NEXT) | instid1(SALU_CYCLE_1)
	s_and_b32 s10, s10, s9
	s_and_saveexec_b32 s9, s10
	s_cbranch_execz .LBB185_20
; %bb.19:                               ;   in Loop: Header=BB185_2 Depth=1
	v_bcnt_u32_b32 v0, v0, 0
	ds_store_b32 v18, v0
.LBB185_20:                             ;   in Loop: Header=BB185_2 Depth=1
	s_or_b32 exec_lo, exec_lo, s9
	; wave barrier
	s_waitcnt lgkmcnt(0)
	s_barrier
	buffer_gl0_inv
	ds_load_2addr_b64 v[4:7], v19 offset0:8 offset1:9
	ds_load_2addr_b64 v[0:3], v20 offset0:2 offset1:3
	s_waitcnt lgkmcnt(1)
	v_add_nc_u32_e32 v28, v5, v4
	s_delay_alu instid0(VALU_DEP_1) | instskip(SKIP_1) | instid1(VALU_DEP_1)
	v_add3_u32 v28, v28, v6, v7
	s_waitcnt lgkmcnt(0)
	v_add3_u32 v28, v28, v0, v1
	s_delay_alu instid0(VALU_DEP_1) | instskip(NEXT) | instid1(VALU_DEP_1)
	v_add3_u32 v3, v28, v2, v3
	v_mov_b32_dpp v28, v3 row_shr:1 row_mask:0xf bank_mask:0xf
	s_delay_alu instid0(VALU_DEP_1) | instskip(NEXT) | instid1(VALU_DEP_1)
	v_cndmask_b32_e64 v28, v28, 0, s0
	v_add_nc_u32_e32 v3, v28, v3
	s_delay_alu instid0(VALU_DEP_1) | instskip(NEXT) | instid1(VALU_DEP_1)
	v_mov_b32_dpp v28, v3 row_shr:2 row_mask:0xf bank_mask:0xf
	v_cndmask_b32_e64 v28, 0, v28, s1
	s_delay_alu instid0(VALU_DEP_1) | instskip(NEXT) | instid1(VALU_DEP_1)
	v_add_nc_u32_e32 v3, v3, v28
	v_mov_b32_dpp v28, v3 row_shr:4 row_mask:0xf bank_mask:0xf
	s_delay_alu instid0(VALU_DEP_1) | instskip(NEXT) | instid1(VALU_DEP_1)
	v_cndmask_b32_e64 v28, 0, v28, s2
	v_add_nc_u32_e32 v3, v3, v28
	s_delay_alu instid0(VALU_DEP_1) | instskip(NEXT) | instid1(VALU_DEP_1)
	v_mov_b32_dpp v28, v3 row_shr:8 row_mask:0xf bank_mask:0xf
	v_cndmask_b32_e64 v28, 0, v28, s3
	s_delay_alu instid0(VALU_DEP_1) | instskip(SKIP_3) | instid1(VALU_DEP_1)
	v_add_nc_u32_e32 v3, v3, v28
	ds_swizzle_b32 v28, v3 offset:swizzle(BROADCAST,32,15)
	s_waitcnt lgkmcnt(0)
	v_cndmask_b32_e64 v28, v28, 0, s4
	v_add_nc_u32_e32 v3, v3, v28
	s_and_saveexec_b32 s9, s8
	s_cbranch_execz .LBB185_22
; %bb.21:                               ;   in Loop: Header=BB185_2 Depth=1
	ds_store_b32 v21, v3
.LBB185_22:                             ;   in Loop: Header=BB185_2 Depth=1
	s_or_b32 exec_lo, exec_lo, s9
	s_waitcnt lgkmcnt(0)
	s_barrier
	buffer_gl0_inv
	s_and_saveexec_b32 s9, s5
	s_cbranch_execz .LBB185_24
; %bb.23:                               ;   in Loop: Header=BB185_2 Depth=1
	ds_load_b32 v28, v23
	s_waitcnt lgkmcnt(0)
	v_mov_b32_dpp v29, v28 row_shr:1 row_mask:0xf bank_mask:0xf
	s_delay_alu instid0(VALU_DEP_1) | instskip(NEXT) | instid1(VALU_DEP_1)
	v_cndmask_b32_e64 v29, v29, 0, s0
	v_add_nc_u32_e32 v28, v29, v28
	s_delay_alu instid0(VALU_DEP_1) | instskip(NEXT) | instid1(VALU_DEP_1)
	v_mov_b32_dpp v29, v28 row_shr:2 row_mask:0xf bank_mask:0xf
	v_cndmask_b32_e64 v29, 0, v29, s1
	s_delay_alu instid0(VALU_DEP_1) | instskip(NEXT) | instid1(VALU_DEP_1)
	v_add_nc_u32_e32 v28, v28, v29
	v_mov_b32_dpp v29, v28 row_shr:4 row_mask:0xf bank_mask:0xf
	s_delay_alu instid0(VALU_DEP_1) | instskip(NEXT) | instid1(VALU_DEP_1)
	v_cndmask_b32_e64 v29, 0, v29, s2
	v_add_nc_u32_e32 v28, v28, v29
	s_delay_alu instid0(VALU_DEP_1) | instskip(NEXT) | instid1(VALU_DEP_1)
	v_mov_b32_dpp v29, v28 row_shr:8 row_mask:0xf bank_mask:0xf
	v_cndmask_b32_e64 v29, 0, v29, s3
	s_delay_alu instid0(VALU_DEP_1)
	v_add_nc_u32_e32 v28, v28, v29
	ds_store_b32 v23, v28
.LBB185_24:                             ;   in Loop: Header=BB185_2 Depth=1
	s_or_b32 exec_lo, exec_lo, s9
	v_mov_b32_e32 v28, 0
	s_waitcnt lgkmcnt(0)
	s_barrier
	buffer_gl0_inv
	s_and_saveexec_b32 s9, s6
	s_cbranch_execz .LBB185_26
; %bb.25:                               ;   in Loop: Header=BB185_2 Depth=1
	ds_load_b32 v28, v24
.LBB185_26:                             ;   in Loop: Header=BB185_2 Depth=1
	s_or_b32 exec_lo, exec_lo, s9
	s_waitcnt lgkmcnt(0)
	v_add_nc_u32_e32 v3, v28, v3
	ds_bpermute_b32 v3, v22, v3
	s_waitcnt lgkmcnt(0)
	v_cndmask_b32_e32 v3, v3, v28, vcc_lo
	s_delay_alu instid0(VALU_DEP_1) | instskip(NEXT) | instid1(VALU_DEP_1)
	v_cndmask_b32_e64 v3, v3, 0, s7
	v_add_nc_u32_e32 v4, v3, v4
	s_delay_alu instid0(VALU_DEP_1) | instskip(NEXT) | instid1(VALU_DEP_1)
	v_add_nc_u32_e32 v5, v4, v5
	v_add_nc_u32_e32 v6, v5, v6
	s_delay_alu instid0(VALU_DEP_1) | instskip(NEXT) | instid1(VALU_DEP_1)
	v_add_nc_u32_e32 v28, v6, v7
	;; [unrolled: 3-line block ×3, first 2 shown]
	v_add_nc_u32_e32 v1, v0, v2
	ds_store_2addr_b64 v19, v[3:4], v[5:6] offset0:8 offset1:9
	ds_store_2addr_b64 v20, v[28:29], v[0:1] offset0:2 offset1:3
	s_waitcnt lgkmcnt(0)
	s_barrier
	buffer_gl0_inv
	ds_load_b32 v0, v18
	v_lshlrev_b32_e32 v1, 3, v17
	s_waitcnt lgkmcnt(0)
	s_barrier
	buffer_gl0_inv
	v_lshl_add_u32 v0, v0, 3, v1
	ds_store_b64 v0, v[13:14]
	s_waitcnt lgkmcnt(0)
	s_barrier
	buffer_gl0_inv
	ds_load_b64 v[13:14], v25
	s_waitcnt lgkmcnt(0)
	s_barrier
	buffer_gl0_inv
	ds_store_b64 v0, v[15:16]
	s_waitcnt lgkmcnt(0)
	s_barrier
	buffer_gl0_inv
	ds_load_b64 v[15:16], v25
	s_waitcnt lgkmcnt(0)
	s_barrier
	buffer_gl0_inv
	v_bfe_u32 v1, v14, 24, 1
	v_lshrrev_b32_e32 v5, 24, v14
	s_delay_alu instid0(VALU_DEP_2) | instskip(NEXT) | instid1(VALU_DEP_1)
	v_add_co_u32 v1, s9, v1, -1
	v_cndmask_b32_e64 v2, 0, 1, s9
	s_delay_alu instid0(VALU_DEP_3)
	v_lshlrev_b32_e32 v3, 30, v5
	v_lshlrev_b32_e32 v4, 29, v5
	;; [unrolled: 1-line block ×4, first 2 shown]
	v_cmp_ne_u32_e64 s9, 0, v2
	v_not_b32_e32 v2, v3
	v_cmp_gt_i32_e64 s10, 0, v3
	v_not_b32_e32 v3, v4
	v_lshlrev_b32_e32 v17, 26, v5
	v_xor_b32_e32 v1, s9, v1
	v_ashrrev_i32_e32 v2, 31, v2
	v_cmp_gt_i32_e64 s9, 0, v4
	v_not_b32_e32 v4, v6
	v_ashrrev_i32_e32 v3, 31, v3
	v_and_b32_e32 v1, exec_lo, v1
	v_xor_b32_e32 v2, s10, v2
	v_cmp_gt_i32_e64 s10, 0, v6
	v_not_b32_e32 v6, v7
	v_ashrrev_i32_e32 v4, 31, v4
	v_xor_b32_e32 v3, s9, v3
	v_and_b32_e32 v1, v1, v2
	v_lshlrev_b32_e32 v18, 25, v5
	v_cmp_gt_i32_e64 s9, 0, v7
	v_not_b32_e32 v2, v17
	v_ashrrev_i32_e32 v6, 31, v6
	v_xor_b32_e32 v4, s10, v4
	v_and_b32_e32 v1, v1, v3
	v_cmp_gt_i32_e64 s10, 0, v17
	v_not_b32_e32 v3, v18
	v_ashrrev_i32_e32 v2, 31, v2
	v_xor_b32_e32 v6, s9, v6
	v_and_b32_e32 v1, v1, v4
	v_not_b32_e32 v4, v14
	v_cmp_gt_i32_e64 s9, 0, v18
	v_ashrrev_i32_e32 v3, 31, v3
	v_xor_b32_e32 v2, s10, v2
	v_and_b32_e32 v1, v1, v6
	v_cmp_gt_i32_e64 s10, 0, v14
	v_ashrrev_i32_e32 v4, 31, v4
	v_xor_b32_e32 v3, s9, v3
	s_delay_alu instid0(VALU_DEP_4) | instskip(NEXT) | instid1(VALU_DEP_3)
	v_and_b32_e32 v1, v1, v2
	v_xor_b32_e32 v0, s10, v4
	s_delay_alu instid0(VALU_DEP_2) | instskip(SKIP_1) | instid1(VALU_DEP_2)
	v_and_b32_e32 v3, v1, v3
	v_dual_mov_b32 v1, s20 :: v_dual_mov_b32 v2, s21
	v_dual_mov_b32 v3, s14 :: v_dual_and_b32 v0, v3, v0
	v_mov_b32_e32 v4, s15
	ds_store_2addr_b64 v19, v[1:2], v[3:4] offset0:8 offset1:9
	ds_store_2addr_b64 v20, v[1:2], v[3:4] offset0:2 offset1:3
	v_mbcnt_lo_u32_b32 v17, v0, 0
	v_lshl_add_u32 v1, v5, 4, v26
	v_cmp_ne_u32_e64 s10, 0, v0
	s_waitcnt lgkmcnt(0)
	s_barrier
	v_cmp_eq_u32_e64 s9, 0, v17
	v_lshl_add_u32 v18, v1, 2, 64
	buffer_gl0_inv
	; wave barrier
	s_and_b32 s10, s10, s9
	s_delay_alu instid0(SALU_CYCLE_1)
	s_and_saveexec_b32 s9, s10
	s_cbranch_execz .LBB185_28
; %bb.27:                               ;   in Loop: Header=BB185_2 Depth=1
	v_bcnt_u32_b32 v0, v0, 0
	ds_store_b32 v18, v0
.LBB185_28:                             ;   in Loop: Header=BB185_2 Depth=1
	s_or_b32 exec_lo, exec_lo, s9
	; wave barrier
	s_waitcnt lgkmcnt(0)
	s_barrier
	buffer_gl0_inv
	ds_load_2addr_b64 v[4:7], v19 offset0:8 offset1:9
	ds_load_2addr_b64 v[0:3], v20 offset0:2 offset1:3
	s_waitcnt lgkmcnt(1)
	v_add_nc_u32_e32 v28, v5, v4
	s_delay_alu instid0(VALU_DEP_1) | instskip(SKIP_1) | instid1(VALU_DEP_1)
	v_add3_u32 v28, v28, v6, v7
	s_waitcnt lgkmcnt(0)
	v_add3_u32 v28, v28, v0, v1
	s_delay_alu instid0(VALU_DEP_1) | instskip(NEXT) | instid1(VALU_DEP_1)
	v_add3_u32 v3, v28, v2, v3
	v_mov_b32_dpp v28, v3 row_shr:1 row_mask:0xf bank_mask:0xf
	s_delay_alu instid0(VALU_DEP_1) | instskip(NEXT) | instid1(VALU_DEP_1)
	v_cndmask_b32_e64 v28, v28, 0, s0
	v_add_nc_u32_e32 v3, v28, v3
	s_delay_alu instid0(VALU_DEP_1) | instskip(NEXT) | instid1(VALU_DEP_1)
	v_mov_b32_dpp v28, v3 row_shr:2 row_mask:0xf bank_mask:0xf
	v_cndmask_b32_e64 v28, 0, v28, s1
	s_delay_alu instid0(VALU_DEP_1) | instskip(NEXT) | instid1(VALU_DEP_1)
	v_add_nc_u32_e32 v3, v3, v28
	v_mov_b32_dpp v28, v3 row_shr:4 row_mask:0xf bank_mask:0xf
	s_delay_alu instid0(VALU_DEP_1) | instskip(NEXT) | instid1(VALU_DEP_1)
	v_cndmask_b32_e64 v28, 0, v28, s2
	v_add_nc_u32_e32 v3, v3, v28
	s_delay_alu instid0(VALU_DEP_1) | instskip(NEXT) | instid1(VALU_DEP_1)
	v_mov_b32_dpp v28, v3 row_shr:8 row_mask:0xf bank_mask:0xf
	v_cndmask_b32_e64 v28, 0, v28, s3
	s_delay_alu instid0(VALU_DEP_1) | instskip(SKIP_3) | instid1(VALU_DEP_1)
	v_add_nc_u32_e32 v3, v3, v28
	ds_swizzle_b32 v28, v3 offset:swizzle(BROADCAST,32,15)
	s_waitcnt lgkmcnt(0)
	v_cndmask_b32_e64 v28, v28, 0, s4
	v_add_nc_u32_e32 v3, v3, v28
	s_and_saveexec_b32 s9, s8
	s_cbranch_execz .LBB185_30
; %bb.29:                               ;   in Loop: Header=BB185_2 Depth=1
	ds_store_b32 v21, v3
.LBB185_30:                             ;   in Loop: Header=BB185_2 Depth=1
	s_or_b32 exec_lo, exec_lo, s9
	s_waitcnt lgkmcnt(0)
	s_barrier
	buffer_gl0_inv
	s_and_saveexec_b32 s9, s5
	s_cbranch_execz .LBB185_32
; %bb.31:                               ;   in Loop: Header=BB185_2 Depth=1
	ds_load_b32 v28, v23
	s_waitcnt lgkmcnt(0)
	v_mov_b32_dpp v29, v28 row_shr:1 row_mask:0xf bank_mask:0xf
	s_delay_alu instid0(VALU_DEP_1) | instskip(NEXT) | instid1(VALU_DEP_1)
	v_cndmask_b32_e64 v29, v29, 0, s0
	v_add_nc_u32_e32 v28, v29, v28
	s_delay_alu instid0(VALU_DEP_1) | instskip(NEXT) | instid1(VALU_DEP_1)
	v_mov_b32_dpp v29, v28 row_shr:2 row_mask:0xf bank_mask:0xf
	v_cndmask_b32_e64 v29, 0, v29, s1
	s_delay_alu instid0(VALU_DEP_1) | instskip(NEXT) | instid1(VALU_DEP_1)
	v_add_nc_u32_e32 v28, v28, v29
	v_mov_b32_dpp v29, v28 row_shr:4 row_mask:0xf bank_mask:0xf
	s_delay_alu instid0(VALU_DEP_1) | instskip(NEXT) | instid1(VALU_DEP_1)
	v_cndmask_b32_e64 v29, 0, v29, s2
	v_add_nc_u32_e32 v28, v28, v29
	s_delay_alu instid0(VALU_DEP_1) | instskip(NEXT) | instid1(VALU_DEP_1)
	v_mov_b32_dpp v29, v28 row_shr:8 row_mask:0xf bank_mask:0xf
	v_cndmask_b32_e64 v29, 0, v29, s3
	s_delay_alu instid0(VALU_DEP_1)
	v_add_nc_u32_e32 v28, v28, v29
	ds_store_b32 v23, v28
.LBB185_32:                             ;   in Loop: Header=BB185_2 Depth=1
	s_or_b32 exec_lo, exec_lo, s9
	v_mov_b32_e32 v28, 0
	s_waitcnt lgkmcnt(0)
	s_barrier
	buffer_gl0_inv
	s_and_saveexec_b32 s9, s6
	s_cbranch_execz .LBB185_34
; %bb.33:                               ;   in Loop: Header=BB185_2 Depth=1
	ds_load_b32 v28, v24
.LBB185_34:                             ;   in Loop: Header=BB185_2 Depth=1
	s_or_b32 exec_lo, exec_lo, s9
	s_waitcnt lgkmcnt(0)
	v_add_nc_u32_e32 v3, v28, v3
	ds_bpermute_b32 v3, v22, v3
	s_waitcnt lgkmcnt(0)
	v_cndmask_b32_e32 v3, v3, v28, vcc_lo
	s_delay_alu instid0(VALU_DEP_1) | instskip(NEXT) | instid1(VALU_DEP_1)
	v_cndmask_b32_e64 v3, v3, 0, s7
	v_add_nc_u32_e32 v4, v3, v4
	s_delay_alu instid0(VALU_DEP_1) | instskip(NEXT) | instid1(VALU_DEP_1)
	v_add_nc_u32_e32 v5, v4, v5
	v_add_nc_u32_e32 v6, v5, v6
	s_delay_alu instid0(VALU_DEP_1) | instskip(NEXT) | instid1(VALU_DEP_1)
	v_add_nc_u32_e32 v28, v6, v7
	;; [unrolled: 3-line block ×3, first 2 shown]
	v_add_nc_u32_e32 v1, v0, v2
	ds_store_2addr_b64 v19, v[3:4], v[5:6] offset0:8 offset1:9
	ds_store_2addr_b64 v20, v[28:29], v[0:1] offset0:2 offset1:3
	s_waitcnt lgkmcnt(0)
	s_barrier
	buffer_gl0_inv
	ds_load_b32 v0, v18
	v_lshlrev_b32_e32 v1, 3, v17
	s_waitcnt lgkmcnt(0)
	s_barrier
	buffer_gl0_inv
	v_lshl_add_u32 v0, v0, 3, v1
	v_dual_mov_b32 v1, s20 :: v_dual_mov_b32 v2, s21
	ds_store_b64 v0, v[13:14]
	s_waitcnt lgkmcnt(0)
	s_barrier
	buffer_gl0_inv
	ds_load_b64 v[13:14], v25
	s_waitcnt lgkmcnt(0)
	s_barrier
	buffer_gl0_inv
	ds_store_b64 v0, v[15:16]
	s_waitcnt lgkmcnt(0)
	s_barrier
	buffer_gl0_inv
	ds_load_b64 v[15:16], v25
	s_waitcnt lgkmcnt(0)
	s_barrier
	buffer_gl0_inv
	v_and_b32_e32 v3, 1, v13
	v_lshlrev_b32_e32 v4, 30, v13
	v_lshlrev_b32_e32 v5, 29, v13
	;; [unrolled: 1-line block ×4, first 2 shown]
	v_add_co_u32 v3, s9, v3, -1
	s_delay_alu instid0(VALU_DEP_1)
	v_cndmask_b32_e64 v7, 0, 1, s9
	v_not_b32_e32 v29, v4
	v_cmp_gt_i32_e64 s10, 0, v4
	v_not_b32_e32 v4, v5
	v_lshlrev_b32_e32 v18, 26, v13
	v_cmp_ne_u32_e64 s9, 0, v7
	v_ashrrev_i32_e32 v29, 31, v29
	v_lshlrev_b32_e32 v28, 25, v13
	v_ashrrev_i32_e32 v4, 31, v4
	v_lshlrev_b32_e32 v7, 24, v13
	v_xor_b32_e32 v3, s9, v3
	v_cmp_gt_i32_e64 s9, 0, v5
	v_not_b32_e32 v5, v6
	v_xor_b32_e32 v29, s10, v29
	v_cmp_gt_i32_e64 s10, 0, v6
	v_and_b32_e32 v3, exec_lo, v3
	v_not_b32_e32 v6, v17
	v_ashrrev_i32_e32 v5, 31, v5
	v_xor_b32_e32 v4, s9, v4
	v_cmp_gt_i32_e64 s9, 0, v17
	v_and_b32_e32 v3, v3, v29
	v_not_b32_e32 v17, v18
	v_ashrrev_i32_e32 v6, 31, v6
	v_xor_b32_e32 v5, s10, v5
	v_cmp_gt_i32_e64 s10, 0, v18
	v_and_b32_e32 v3, v3, v4
	;; [unrolled: 5-line block ×4, first 2 shown]
	v_ashrrev_i32_e32 v5, 31, v5
	v_xor_b32_e32 v4, s9, v4
	s_delay_alu instid0(VALU_DEP_3) | instskip(NEXT) | instid1(VALU_DEP_3)
	v_and_b32_e32 v3, v3, v17
	v_xor_b32_e32 v0, s10, v5
	s_delay_alu instid0(VALU_DEP_2)
	v_and_b32_e32 v5, v3, v4
	v_dual_mov_b32 v3, s14 :: v_dual_mov_b32 v4, s15
	ds_store_2addr_b64 v19, v[1:2], v[3:4] offset0:8 offset1:9
	ds_store_2addr_b64 v20, v[1:2], v[3:4] offset0:2 offset1:3
	v_and_b32_e32 v0, v5, v0
	v_and_b32_e32 v5, 0xff, v13
	s_waitcnt lgkmcnt(0)
	s_barrier
	buffer_gl0_inv
	v_mbcnt_lo_u32_b32 v17, v0, 0
	v_lshl_add_u32 v1, v5, 4, v26
	v_cmp_ne_u32_e64 s10, 0, v0
	; wave barrier
	s_delay_alu instid0(VALU_DEP_3) | instskip(NEXT) | instid1(VALU_DEP_3)
	v_cmp_eq_u32_e64 s9, 0, v17
	v_lshl_add_u32 v18, v1, 2, 64
	s_delay_alu instid0(VALU_DEP_2) | instskip(NEXT) | instid1(SALU_CYCLE_1)
	s_and_b32 s10, s10, s9
	s_and_saveexec_b32 s9, s10
	s_cbranch_execz .LBB185_36
; %bb.35:                               ;   in Loop: Header=BB185_2 Depth=1
	v_bcnt_u32_b32 v0, v0, 0
	ds_store_b32 v18, v0
.LBB185_36:                             ;   in Loop: Header=BB185_2 Depth=1
	s_or_b32 exec_lo, exec_lo, s9
	; wave barrier
	s_waitcnt lgkmcnt(0)
	s_barrier
	buffer_gl0_inv
	ds_load_2addr_b64 v[4:7], v19 offset0:8 offset1:9
	ds_load_2addr_b64 v[0:3], v20 offset0:2 offset1:3
	s_waitcnt lgkmcnt(1)
	v_add_nc_u32_e32 v28, v5, v4
	s_delay_alu instid0(VALU_DEP_1) | instskip(SKIP_1) | instid1(VALU_DEP_1)
	v_add3_u32 v28, v28, v6, v7
	s_waitcnt lgkmcnt(0)
	v_add3_u32 v28, v28, v0, v1
	s_delay_alu instid0(VALU_DEP_1) | instskip(NEXT) | instid1(VALU_DEP_1)
	v_add3_u32 v3, v28, v2, v3
	v_mov_b32_dpp v28, v3 row_shr:1 row_mask:0xf bank_mask:0xf
	s_delay_alu instid0(VALU_DEP_1) | instskip(NEXT) | instid1(VALU_DEP_1)
	v_cndmask_b32_e64 v28, v28, 0, s0
	v_add_nc_u32_e32 v3, v28, v3
	s_delay_alu instid0(VALU_DEP_1) | instskip(NEXT) | instid1(VALU_DEP_1)
	v_mov_b32_dpp v28, v3 row_shr:2 row_mask:0xf bank_mask:0xf
	v_cndmask_b32_e64 v28, 0, v28, s1
	s_delay_alu instid0(VALU_DEP_1) | instskip(NEXT) | instid1(VALU_DEP_1)
	v_add_nc_u32_e32 v3, v3, v28
	v_mov_b32_dpp v28, v3 row_shr:4 row_mask:0xf bank_mask:0xf
	s_delay_alu instid0(VALU_DEP_1) | instskip(NEXT) | instid1(VALU_DEP_1)
	v_cndmask_b32_e64 v28, 0, v28, s2
	v_add_nc_u32_e32 v3, v3, v28
	s_delay_alu instid0(VALU_DEP_1) | instskip(NEXT) | instid1(VALU_DEP_1)
	v_mov_b32_dpp v28, v3 row_shr:8 row_mask:0xf bank_mask:0xf
	v_cndmask_b32_e64 v28, 0, v28, s3
	s_delay_alu instid0(VALU_DEP_1) | instskip(SKIP_3) | instid1(VALU_DEP_1)
	v_add_nc_u32_e32 v3, v3, v28
	ds_swizzle_b32 v28, v3 offset:swizzle(BROADCAST,32,15)
	s_waitcnt lgkmcnt(0)
	v_cndmask_b32_e64 v28, v28, 0, s4
	v_add_nc_u32_e32 v3, v3, v28
	s_and_saveexec_b32 s9, s8
	s_cbranch_execz .LBB185_38
; %bb.37:                               ;   in Loop: Header=BB185_2 Depth=1
	ds_store_b32 v21, v3
.LBB185_38:                             ;   in Loop: Header=BB185_2 Depth=1
	s_or_b32 exec_lo, exec_lo, s9
	s_waitcnt lgkmcnt(0)
	s_barrier
	buffer_gl0_inv
	s_and_saveexec_b32 s9, s5
	s_cbranch_execz .LBB185_40
; %bb.39:                               ;   in Loop: Header=BB185_2 Depth=1
	ds_load_b32 v28, v23
	s_waitcnt lgkmcnt(0)
	v_mov_b32_dpp v29, v28 row_shr:1 row_mask:0xf bank_mask:0xf
	s_delay_alu instid0(VALU_DEP_1) | instskip(NEXT) | instid1(VALU_DEP_1)
	v_cndmask_b32_e64 v29, v29, 0, s0
	v_add_nc_u32_e32 v28, v29, v28
	s_delay_alu instid0(VALU_DEP_1) | instskip(NEXT) | instid1(VALU_DEP_1)
	v_mov_b32_dpp v29, v28 row_shr:2 row_mask:0xf bank_mask:0xf
	v_cndmask_b32_e64 v29, 0, v29, s1
	s_delay_alu instid0(VALU_DEP_1) | instskip(NEXT) | instid1(VALU_DEP_1)
	v_add_nc_u32_e32 v28, v28, v29
	v_mov_b32_dpp v29, v28 row_shr:4 row_mask:0xf bank_mask:0xf
	s_delay_alu instid0(VALU_DEP_1) | instskip(NEXT) | instid1(VALU_DEP_1)
	v_cndmask_b32_e64 v29, 0, v29, s2
	v_add_nc_u32_e32 v28, v28, v29
	s_delay_alu instid0(VALU_DEP_1) | instskip(NEXT) | instid1(VALU_DEP_1)
	v_mov_b32_dpp v29, v28 row_shr:8 row_mask:0xf bank_mask:0xf
	v_cndmask_b32_e64 v29, 0, v29, s3
	s_delay_alu instid0(VALU_DEP_1)
	v_add_nc_u32_e32 v28, v28, v29
	ds_store_b32 v23, v28
.LBB185_40:                             ;   in Loop: Header=BB185_2 Depth=1
	s_or_b32 exec_lo, exec_lo, s9
	v_mov_b32_e32 v28, 0
	s_waitcnt lgkmcnt(0)
	s_barrier
	buffer_gl0_inv
	s_and_saveexec_b32 s9, s6
	s_cbranch_execz .LBB185_42
; %bb.41:                               ;   in Loop: Header=BB185_2 Depth=1
	ds_load_b32 v28, v24
.LBB185_42:                             ;   in Loop: Header=BB185_2 Depth=1
	s_or_b32 exec_lo, exec_lo, s9
	s_waitcnt lgkmcnt(0)
	v_add_nc_u32_e32 v3, v28, v3
	ds_bpermute_b32 v3, v22, v3
	s_waitcnt lgkmcnt(0)
	v_cndmask_b32_e32 v3, v3, v28, vcc_lo
	s_delay_alu instid0(VALU_DEP_1) | instskip(NEXT) | instid1(VALU_DEP_1)
	v_cndmask_b32_e64 v3, v3, 0, s7
	v_add_nc_u32_e32 v4, v3, v4
	s_delay_alu instid0(VALU_DEP_1) | instskip(NEXT) | instid1(VALU_DEP_1)
	v_add_nc_u32_e32 v5, v4, v5
	v_add_nc_u32_e32 v6, v5, v6
	s_delay_alu instid0(VALU_DEP_1) | instskip(NEXT) | instid1(VALU_DEP_1)
	v_add_nc_u32_e32 v28, v6, v7
	;; [unrolled: 3-line block ×3, first 2 shown]
	v_add_nc_u32_e32 v1, v0, v2
	ds_store_2addr_b64 v19, v[3:4], v[5:6] offset0:8 offset1:9
	ds_store_2addr_b64 v20, v[28:29], v[0:1] offset0:2 offset1:3
	s_waitcnt lgkmcnt(0)
	s_barrier
	buffer_gl0_inv
	ds_load_b32 v0, v18
	v_lshlrev_b32_e32 v1, 3, v17
	s_waitcnt lgkmcnt(0)
	s_barrier
	buffer_gl0_inv
	v_lshl_add_u32 v0, v0, 3, v1
	v_dual_mov_b32 v1, s20 :: v_dual_mov_b32 v2, s21
	ds_store_b64 v0, v[13:14]
	s_waitcnt lgkmcnt(0)
	s_barrier
	buffer_gl0_inv
	ds_load_b64 v[13:14], v25
	s_waitcnt lgkmcnt(0)
	s_barrier
	buffer_gl0_inv
	ds_store_b64 v0, v[15:16]
	s_waitcnt lgkmcnt(0)
	s_barrier
	buffer_gl0_inv
	ds_load_b64 v[15:16], v25
	s_waitcnt lgkmcnt(0)
	s_barrier
	buffer_gl0_inv
	v_bfe_u32 v3, v13, 8, 1
	v_lshrrev_b32_e32 v4, 8, v13
	s_delay_alu instid0(VALU_DEP_2) | instskip(NEXT) | instid1(VALU_DEP_1)
	v_add_co_u32 v3, s9, v3, -1
	v_cndmask_b32_e64 v5, 0, 1, s9
	s_delay_alu instid0(VALU_DEP_3)
	v_lshlrev_b32_e32 v6, 30, v4
	v_lshlrev_b32_e32 v7, 29, v4
	;; [unrolled: 1-line block ×4, first 2 shown]
	v_cmp_ne_u32_e64 s9, 0, v5
	v_not_b32_e32 v5, v6
	v_cmp_gt_i32_e64 s10, 0, v6
	v_not_b32_e32 v6, v7
	v_lshlrev_b32_e32 v28, 26, v4
	v_xor_b32_e32 v3, s9, v3
	v_ashrrev_i32_e32 v5, 31, v5
	v_cmp_gt_i32_e64 s9, 0, v7
	v_not_b32_e32 v7, v17
	v_ashrrev_i32_e32 v6, 31, v6
	v_and_b32_e32 v3, exec_lo, v3
	v_xor_b32_e32 v5, s10, v5
	v_cmp_gt_i32_e64 s10, 0, v17
	v_not_b32_e32 v17, v18
	v_ashrrev_i32_e32 v7, 31, v7
	v_xor_b32_e32 v6, s9, v6
	v_and_b32_e32 v3, v3, v5
	v_lshlrev_b32_e32 v29, 25, v4
	v_cmp_gt_i32_e64 s9, 0, v18
	v_not_b32_e32 v5, v28
	v_ashrrev_i32_e32 v17, 31, v17
	v_xor_b32_e32 v7, s10, v7
	v_and_b32_e32 v3, v3, v6
	v_lshlrev_b32_e32 v4, 24, v4
	v_cmp_gt_i32_e64 s10, 0, v28
	v_not_b32_e32 v6, v29
	v_ashrrev_i32_e32 v5, 31, v5
	v_xor_b32_e32 v17, s9, v17
	v_and_b32_e32 v3, v3, v7
	v_cmp_gt_i32_e64 s9, 0, v29
	v_not_b32_e32 v7, v4
	v_ashrrev_i32_e32 v6, 31, v6
	v_xor_b32_e32 v5, s10, v5
	v_and_b32_e32 v3, v3, v17
	v_cmp_gt_i32_e64 s10, 0, v4
	v_ashrrev_i32_e32 v4, 31, v7
	v_xor_b32_e32 v6, s9, v6
	s_delay_alu instid0(VALU_DEP_4) | instskip(NEXT) | instid1(VALU_DEP_3)
	v_and_b32_e32 v3, v3, v5
	v_xor_b32_e32 v0, s10, v4
	s_delay_alu instid0(VALU_DEP_2)
	v_and_b32_e32 v5, v3, v6
	v_mov_b32_e32 v3, s14
	v_lshrrev_b32_e32 v6, 4, v13
	v_mov_b32_e32 v4, s15
	ds_store_2addr_b64 v19, v[1:2], v[3:4] offset0:8 offset1:9
	ds_store_2addr_b64 v20, v[1:2], v[3:4] offset0:2 offset1:3
	v_and_b32_e32 v0, v5, v0
	v_and_b32_e32 v5, 0xff0, v6
	s_waitcnt lgkmcnt(0)
	s_barrier
	buffer_gl0_inv
	v_mbcnt_lo_u32_b32 v17, v0, 0
	v_add_nc_u32_e32 v1, v5, v26
	v_cmp_ne_u32_e64 s10, 0, v0
	; wave barrier
	s_delay_alu instid0(VALU_DEP_3) | instskip(NEXT) | instid1(VALU_DEP_3)
	v_cmp_eq_u32_e64 s9, 0, v17
	v_lshl_add_u32 v18, v1, 2, 64
	s_delay_alu instid0(VALU_DEP_2) | instskip(NEXT) | instid1(SALU_CYCLE_1)
	s_and_b32 s10, s10, s9
	s_and_saveexec_b32 s9, s10
	s_cbranch_execz .LBB185_44
; %bb.43:                               ;   in Loop: Header=BB185_2 Depth=1
	v_bcnt_u32_b32 v0, v0, 0
	ds_store_b32 v18, v0
.LBB185_44:                             ;   in Loop: Header=BB185_2 Depth=1
	s_or_b32 exec_lo, exec_lo, s9
	; wave barrier
	s_waitcnt lgkmcnt(0)
	s_barrier
	buffer_gl0_inv
	ds_load_2addr_b64 v[4:7], v19 offset0:8 offset1:9
	ds_load_2addr_b64 v[0:3], v20 offset0:2 offset1:3
	s_waitcnt lgkmcnt(1)
	v_add_nc_u32_e32 v28, v5, v4
	s_delay_alu instid0(VALU_DEP_1) | instskip(SKIP_1) | instid1(VALU_DEP_1)
	v_add3_u32 v28, v28, v6, v7
	s_waitcnt lgkmcnt(0)
	v_add3_u32 v28, v28, v0, v1
	s_delay_alu instid0(VALU_DEP_1) | instskip(NEXT) | instid1(VALU_DEP_1)
	v_add3_u32 v3, v28, v2, v3
	v_mov_b32_dpp v28, v3 row_shr:1 row_mask:0xf bank_mask:0xf
	s_delay_alu instid0(VALU_DEP_1) | instskip(NEXT) | instid1(VALU_DEP_1)
	v_cndmask_b32_e64 v28, v28, 0, s0
	v_add_nc_u32_e32 v3, v28, v3
	s_delay_alu instid0(VALU_DEP_1) | instskip(NEXT) | instid1(VALU_DEP_1)
	v_mov_b32_dpp v28, v3 row_shr:2 row_mask:0xf bank_mask:0xf
	v_cndmask_b32_e64 v28, 0, v28, s1
	s_delay_alu instid0(VALU_DEP_1) | instskip(NEXT) | instid1(VALU_DEP_1)
	v_add_nc_u32_e32 v3, v3, v28
	v_mov_b32_dpp v28, v3 row_shr:4 row_mask:0xf bank_mask:0xf
	s_delay_alu instid0(VALU_DEP_1) | instskip(NEXT) | instid1(VALU_DEP_1)
	v_cndmask_b32_e64 v28, 0, v28, s2
	v_add_nc_u32_e32 v3, v3, v28
	s_delay_alu instid0(VALU_DEP_1) | instskip(NEXT) | instid1(VALU_DEP_1)
	v_mov_b32_dpp v28, v3 row_shr:8 row_mask:0xf bank_mask:0xf
	v_cndmask_b32_e64 v28, 0, v28, s3
	s_delay_alu instid0(VALU_DEP_1) | instskip(SKIP_3) | instid1(VALU_DEP_1)
	v_add_nc_u32_e32 v3, v3, v28
	ds_swizzle_b32 v28, v3 offset:swizzle(BROADCAST,32,15)
	s_waitcnt lgkmcnt(0)
	v_cndmask_b32_e64 v28, v28, 0, s4
	v_add_nc_u32_e32 v3, v3, v28
	s_and_saveexec_b32 s9, s8
	s_cbranch_execz .LBB185_46
; %bb.45:                               ;   in Loop: Header=BB185_2 Depth=1
	ds_store_b32 v21, v3
.LBB185_46:                             ;   in Loop: Header=BB185_2 Depth=1
	s_or_b32 exec_lo, exec_lo, s9
	s_waitcnt lgkmcnt(0)
	s_barrier
	buffer_gl0_inv
	s_and_saveexec_b32 s9, s5
	s_cbranch_execz .LBB185_48
; %bb.47:                               ;   in Loop: Header=BB185_2 Depth=1
	ds_load_b32 v28, v23
	s_waitcnt lgkmcnt(0)
	v_mov_b32_dpp v29, v28 row_shr:1 row_mask:0xf bank_mask:0xf
	s_delay_alu instid0(VALU_DEP_1) | instskip(NEXT) | instid1(VALU_DEP_1)
	v_cndmask_b32_e64 v29, v29, 0, s0
	v_add_nc_u32_e32 v28, v29, v28
	s_delay_alu instid0(VALU_DEP_1) | instskip(NEXT) | instid1(VALU_DEP_1)
	v_mov_b32_dpp v29, v28 row_shr:2 row_mask:0xf bank_mask:0xf
	v_cndmask_b32_e64 v29, 0, v29, s1
	s_delay_alu instid0(VALU_DEP_1) | instskip(NEXT) | instid1(VALU_DEP_1)
	v_add_nc_u32_e32 v28, v28, v29
	v_mov_b32_dpp v29, v28 row_shr:4 row_mask:0xf bank_mask:0xf
	s_delay_alu instid0(VALU_DEP_1) | instskip(NEXT) | instid1(VALU_DEP_1)
	v_cndmask_b32_e64 v29, 0, v29, s2
	v_add_nc_u32_e32 v28, v28, v29
	s_delay_alu instid0(VALU_DEP_1) | instskip(NEXT) | instid1(VALU_DEP_1)
	v_mov_b32_dpp v29, v28 row_shr:8 row_mask:0xf bank_mask:0xf
	v_cndmask_b32_e64 v29, 0, v29, s3
	s_delay_alu instid0(VALU_DEP_1)
	v_add_nc_u32_e32 v28, v28, v29
	ds_store_b32 v23, v28
.LBB185_48:                             ;   in Loop: Header=BB185_2 Depth=1
	s_or_b32 exec_lo, exec_lo, s9
	v_mov_b32_e32 v28, 0
	s_waitcnt lgkmcnt(0)
	s_barrier
	buffer_gl0_inv
	s_and_saveexec_b32 s9, s6
	s_cbranch_execz .LBB185_50
; %bb.49:                               ;   in Loop: Header=BB185_2 Depth=1
	ds_load_b32 v28, v24
.LBB185_50:                             ;   in Loop: Header=BB185_2 Depth=1
	s_or_b32 exec_lo, exec_lo, s9
	s_waitcnt lgkmcnt(0)
	v_add_nc_u32_e32 v3, v28, v3
	ds_bpermute_b32 v3, v22, v3
	s_waitcnt lgkmcnt(0)
	v_cndmask_b32_e32 v3, v3, v28, vcc_lo
	s_delay_alu instid0(VALU_DEP_1) | instskip(NEXT) | instid1(VALU_DEP_1)
	v_cndmask_b32_e64 v3, v3, 0, s7
	v_add_nc_u32_e32 v4, v3, v4
	s_delay_alu instid0(VALU_DEP_1) | instskip(NEXT) | instid1(VALU_DEP_1)
	v_add_nc_u32_e32 v5, v4, v5
	v_add_nc_u32_e32 v6, v5, v6
	s_delay_alu instid0(VALU_DEP_1) | instskip(NEXT) | instid1(VALU_DEP_1)
	v_add_nc_u32_e32 v28, v6, v7
	;; [unrolled: 3-line block ×3, first 2 shown]
	v_add_nc_u32_e32 v1, v0, v2
	ds_store_2addr_b64 v19, v[3:4], v[5:6] offset0:8 offset1:9
	ds_store_2addr_b64 v20, v[28:29], v[0:1] offset0:2 offset1:3
	s_waitcnt lgkmcnt(0)
	s_barrier
	buffer_gl0_inv
	ds_load_b32 v0, v18
	v_lshlrev_b32_e32 v1, 3, v17
	s_waitcnt lgkmcnt(0)
	s_barrier
	buffer_gl0_inv
	v_lshl_add_u32 v0, v0, 3, v1
	v_dual_mov_b32 v1, s20 :: v_dual_mov_b32 v2, s21
	ds_store_b64 v0, v[13:14]
	s_waitcnt lgkmcnt(0)
	s_barrier
	buffer_gl0_inv
	ds_load_b64 v[13:14], v25
	s_waitcnt lgkmcnt(0)
	s_barrier
	buffer_gl0_inv
	ds_store_b64 v0, v[15:16]
	s_waitcnt lgkmcnt(0)
	s_barrier
	buffer_gl0_inv
	ds_load_b64 v[15:16], v25
	s_waitcnt lgkmcnt(0)
	s_barrier
	buffer_gl0_inv
	v_bfe_u32 v3, v13, 16, 1
	v_lshrrev_b32_e32 v4, 16, v13
	s_delay_alu instid0(VALU_DEP_2) | instskip(NEXT) | instid1(VALU_DEP_1)
	v_add_co_u32 v3, s9, v3, -1
	v_cndmask_b32_e64 v5, 0, 1, s9
	s_delay_alu instid0(VALU_DEP_3)
	v_lshlrev_b32_e32 v6, 30, v4
	v_lshlrev_b32_e32 v7, 29, v4
	;; [unrolled: 1-line block ×4, first 2 shown]
	v_cmp_ne_u32_e64 s9, 0, v5
	v_not_b32_e32 v5, v6
	v_cmp_gt_i32_e64 s10, 0, v6
	v_not_b32_e32 v6, v7
	v_lshlrev_b32_e32 v28, 26, v4
	v_xor_b32_e32 v3, s9, v3
	v_ashrrev_i32_e32 v5, 31, v5
	v_cmp_gt_i32_e64 s9, 0, v7
	v_not_b32_e32 v7, v17
	v_ashrrev_i32_e32 v6, 31, v6
	v_and_b32_e32 v3, exec_lo, v3
	v_xor_b32_e32 v5, s10, v5
	v_cmp_gt_i32_e64 s10, 0, v17
	v_not_b32_e32 v17, v18
	v_ashrrev_i32_e32 v7, 31, v7
	v_xor_b32_e32 v6, s9, v6
	v_and_b32_e32 v3, v3, v5
	v_lshlrev_b32_e32 v29, 25, v4
	v_cmp_gt_i32_e64 s9, 0, v18
	v_not_b32_e32 v5, v28
	v_ashrrev_i32_e32 v17, 31, v17
	v_xor_b32_e32 v7, s10, v7
	v_and_b32_e32 v3, v3, v6
	v_lshlrev_b32_e32 v4, 24, v4
	v_cmp_gt_i32_e64 s10, 0, v28
	v_not_b32_e32 v6, v29
	v_ashrrev_i32_e32 v5, 31, v5
	v_xor_b32_e32 v17, s9, v17
	v_and_b32_e32 v3, v3, v7
	v_cmp_gt_i32_e64 s9, 0, v29
	v_not_b32_e32 v7, v4
	v_ashrrev_i32_e32 v6, 31, v6
	v_xor_b32_e32 v5, s10, v5
	v_and_b32_e32 v3, v3, v17
	v_cmp_gt_i32_e64 s10, 0, v4
	v_ashrrev_i32_e32 v4, 31, v7
	v_xor_b32_e32 v6, s9, v6
	s_delay_alu instid0(VALU_DEP_4) | instskip(NEXT) | instid1(VALU_DEP_3)
	v_and_b32_e32 v3, v3, v5
	v_xor_b32_e32 v0, s10, v4
	s_delay_alu instid0(VALU_DEP_2)
	v_and_b32_e32 v5, v3, v6
	v_mov_b32_e32 v3, s14
	v_lshrrev_b32_e32 v6, 12, v13
	v_mov_b32_e32 v4, s15
	ds_store_2addr_b64 v19, v[1:2], v[3:4] offset0:8 offset1:9
	ds_store_2addr_b64 v20, v[1:2], v[3:4] offset0:2 offset1:3
	v_and_b32_e32 v0, v5, v0
	v_and_b32_e32 v5, 0xff0, v6
	s_waitcnt lgkmcnt(0)
	s_barrier
	buffer_gl0_inv
	v_mbcnt_lo_u32_b32 v17, v0, 0
	v_add_nc_u32_e32 v1, v5, v26
	v_cmp_ne_u32_e64 s10, 0, v0
	; wave barrier
	s_delay_alu instid0(VALU_DEP_3) | instskip(NEXT) | instid1(VALU_DEP_3)
	v_cmp_eq_u32_e64 s9, 0, v17
	v_lshl_add_u32 v18, v1, 2, 64
	s_delay_alu instid0(VALU_DEP_2) | instskip(NEXT) | instid1(SALU_CYCLE_1)
	s_and_b32 s10, s10, s9
	s_and_saveexec_b32 s9, s10
	s_cbranch_execz .LBB185_52
; %bb.51:                               ;   in Loop: Header=BB185_2 Depth=1
	v_bcnt_u32_b32 v0, v0, 0
	ds_store_b32 v18, v0
.LBB185_52:                             ;   in Loop: Header=BB185_2 Depth=1
	s_or_b32 exec_lo, exec_lo, s9
	; wave barrier
	s_waitcnt lgkmcnt(0)
	s_barrier
	buffer_gl0_inv
	ds_load_2addr_b64 v[4:7], v19 offset0:8 offset1:9
	ds_load_2addr_b64 v[0:3], v20 offset0:2 offset1:3
	s_waitcnt lgkmcnt(1)
	v_add_nc_u32_e32 v28, v5, v4
	s_delay_alu instid0(VALU_DEP_1) | instskip(SKIP_1) | instid1(VALU_DEP_1)
	v_add3_u32 v28, v28, v6, v7
	s_waitcnt lgkmcnt(0)
	v_add3_u32 v28, v28, v0, v1
	s_delay_alu instid0(VALU_DEP_1) | instskip(NEXT) | instid1(VALU_DEP_1)
	v_add3_u32 v3, v28, v2, v3
	v_mov_b32_dpp v28, v3 row_shr:1 row_mask:0xf bank_mask:0xf
	s_delay_alu instid0(VALU_DEP_1) | instskip(NEXT) | instid1(VALU_DEP_1)
	v_cndmask_b32_e64 v28, v28, 0, s0
	v_add_nc_u32_e32 v3, v28, v3
	s_delay_alu instid0(VALU_DEP_1) | instskip(NEXT) | instid1(VALU_DEP_1)
	v_mov_b32_dpp v28, v3 row_shr:2 row_mask:0xf bank_mask:0xf
	v_cndmask_b32_e64 v28, 0, v28, s1
	s_delay_alu instid0(VALU_DEP_1) | instskip(NEXT) | instid1(VALU_DEP_1)
	v_add_nc_u32_e32 v3, v3, v28
	v_mov_b32_dpp v28, v3 row_shr:4 row_mask:0xf bank_mask:0xf
	s_delay_alu instid0(VALU_DEP_1) | instskip(NEXT) | instid1(VALU_DEP_1)
	v_cndmask_b32_e64 v28, 0, v28, s2
	v_add_nc_u32_e32 v3, v3, v28
	s_delay_alu instid0(VALU_DEP_1) | instskip(NEXT) | instid1(VALU_DEP_1)
	v_mov_b32_dpp v28, v3 row_shr:8 row_mask:0xf bank_mask:0xf
	v_cndmask_b32_e64 v28, 0, v28, s3
	s_delay_alu instid0(VALU_DEP_1) | instskip(SKIP_3) | instid1(VALU_DEP_1)
	v_add_nc_u32_e32 v3, v3, v28
	ds_swizzle_b32 v28, v3 offset:swizzle(BROADCAST,32,15)
	s_waitcnt lgkmcnt(0)
	v_cndmask_b32_e64 v28, v28, 0, s4
	v_add_nc_u32_e32 v3, v3, v28
	s_and_saveexec_b32 s9, s8
	s_cbranch_execz .LBB185_54
; %bb.53:                               ;   in Loop: Header=BB185_2 Depth=1
	ds_store_b32 v21, v3
.LBB185_54:                             ;   in Loop: Header=BB185_2 Depth=1
	s_or_b32 exec_lo, exec_lo, s9
	s_waitcnt lgkmcnt(0)
	s_barrier
	buffer_gl0_inv
	s_and_saveexec_b32 s9, s5
	s_cbranch_execz .LBB185_56
; %bb.55:                               ;   in Loop: Header=BB185_2 Depth=1
	ds_load_b32 v28, v23
	s_waitcnt lgkmcnt(0)
	v_mov_b32_dpp v29, v28 row_shr:1 row_mask:0xf bank_mask:0xf
	s_delay_alu instid0(VALU_DEP_1) | instskip(NEXT) | instid1(VALU_DEP_1)
	v_cndmask_b32_e64 v29, v29, 0, s0
	v_add_nc_u32_e32 v28, v29, v28
	s_delay_alu instid0(VALU_DEP_1) | instskip(NEXT) | instid1(VALU_DEP_1)
	v_mov_b32_dpp v29, v28 row_shr:2 row_mask:0xf bank_mask:0xf
	v_cndmask_b32_e64 v29, 0, v29, s1
	s_delay_alu instid0(VALU_DEP_1) | instskip(NEXT) | instid1(VALU_DEP_1)
	v_add_nc_u32_e32 v28, v28, v29
	v_mov_b32_dpp v29, v28 row_shr:4 row_mask:0xf bank_mask:0xf
	s_delay_alu instid0(VALU_DEP_1) | instskip(NEXT) | instid1(VALU_DEP_1)
	v_cndmask_b32_e64 v29, 0, v29, s2
	v_add_nc_u32_e32 v28, v28, v29
	s_delay_alu instid0(VALU_DEP_1) | instskip(NEXT) | instid1(VALU_DEP_1)
	v_mov_b32_dpp v29, v28 row_shr:8 row_mask:0xf bank_mask:0xf
	v_cndmask_b32_e64 v29, 0, v29, s3
	s_delay_alu instid0(VALU_DEP_1)
	v_add_nc_u32_e32 v28, v28, v29
	ds_store_b32 v23, v28
.LBB185_56:                             ;   in Loop: Header=BB185_2 Depth=1
	s_or_b32 exec_lo, exec_lo, s9
	v_mov_b32_e32 v28, 0
	s_waitcnt lgkmcnt(0)
	s_barrier
	buffer_gl0_inv
	s_and_saveexec_b32 s9, s6
	s_cbranch_execz .LBB185_58
; %bb.57:                               ;   in Loop: Header=BB185_2 Depth=1
	ds_load_b32 v28, v24
.LBB185_58:                             ;   in Loop: Header=BB185_2 Depth=1
	s_or_b32 exec_lo, exec_lo, s9
	s_waitcnt lgkmcnt(0)
	v_add_nc_u32_e32 v3, v28, v3
	ds_bpermute_b32 v3, v22, v3
	s_waitcnt lgkmcnt(0)
	v_cndmask_b32_e32 v3, v3, v28, vcc_lo
	s_delay_alu instid0(VALU_DEP_1) | instskip(NEXT) | instid1(VALU_DEP_1)
	v_cndmask_b32_e64 v3, v3, 0, s7
	v_add_nc_u32_e32 v4, v3, v4
	s_delay_alu instid0(VALU_DEP_1) | instskip(NEXT) | instid1(VALU_DEP_1)
	v_add_nc_u32_e32 v5, v4, v5
	v_add_nc_u32_e32 v6, v5, v6
	s_delay_alu instid0(VALU_DEP_1) | instskip(NEXT) | instid1(VALU_DEP_1)
	v_add_nc_u32_e32 v28, v6, v7
	;; [unrolled: 3-line block ×3, first 2 shown]
	v_add_nc_u32_e32 v1, v0, v2
	ds_store_2addr_b64 v19, v[3:4], v[5:6] offset0:8 offset1:9
	ds_store_2addr_b64 v20, v[28:29], v[0:1] offset0:2 offset1:3
	s_waitcnt lgkmcnt(0)
	s_barrier
	buffer_gl0_inv
	ds_load_b32 v0, v18
	v_lshlrev_b32_e32 v1, 3, v17
	s_waitcnt lgkmcnt(0)
	s_barrier
	buffer_gl0_inv
	v_lshl_add_u32 v0, v0, 3, v1
	ds_store_b64 v0, v[13:14]
	s_waitcnt lgkmcnt(0)
	s_barrier
	buffer_gl0_inv
	ds_load_b64 v[13:14], v25
	s_waitcnt lgkmcnt(0)
	s_barrier
	buffer_gl0_inv
	ds_store_b64 v0, v[15:16]
	s_waitcnt lgkmcnt(0)
	s_barrier
	buffer_gl0_inv
	v_bfe_u32 v1, v13, 24, 1
	v_lshrrev_b32_e32 v5, 24, v13
	s_delay_alu instid0(VALU_DEP_2) | instskip(NEXT) | instid1(VALU_DEP_1)
	v_add_co_u32 v1, s9, v1, -1
	v_cndmask_b32_e64 v2, 0, 1, s9
	s_delay_alu instid0(VALU_DEP_3)
	v_lshlrev_b32_e32 v3, 30, v5
	v_lshlrev_b32_e32 v4, 29, v5
	;; [unrolled: 1-line block ×4, first 2 shown]
	v_cmp_ne_u32_e64 s9, 0, v2
	v_not_b32_e32 v2, v3
	v_cmp_gt_i32_e64 s10, 0, v3
	v_not_b32_e32 v3, v4
	v_lshlrev_b32_e32 v17, 26, v5
	v_xor_b32_e32 v1, s9, v1
	v_ashrrev_i32_e32 v2, 31, v2
	v_cmp_gt_i32_e64 s9, 0, v4
	v_not_b32_e32 v4, v6
	v_ashrrev_i32_e32 v3, 31, v3
	v_and_b32_e32 v1, exec_lo, v1
	v_xor_b32_e32 v2, s10, v2
	v_cmp_gt_i32_e64 s10, 0, v6
	v_not_b32_e32 v6, v7
	v_ashrrev_i32_e32 v4, 31, v4
	v_xor_b32_e32 v3, s9, v3
	v_and_b32_e32 v1, v1, v2
	v_lshlrev_b32_e32 v18, 25, v5
	v_cmp_gt_i32_e64 s9, 0, v7
	v_not_b32_e32 v2, v17
	v_ashrrev_i32_e32 v6, 31, v6
	v_xor_b32_e32 v4, s10, v4
	v_and_b32_e32 v1, v1, v3
	v_cmp_gt_i32_e64 s10, 0, v17
	v_not_b32_e32 v3, v18
	v_ashrrev_i32_e32 v2, 31, v2
	v_xor_b32_e32 v6, s9, v6
	v_and_b32_e32 v1, v1, v4
	v_not_b32_e32 v4, v13
	v_cmp_gt_i32_e64 s9, 0, v18
	v_ashrrev_i32_e32 v3, 31, v3
	v_xor_b32_e32 v2, s10, v2
	v_and_b32_e32 v1, v1, v6
	v_cmp_gt_i32_e64 s10, 0, v13
	v_ashrrev_i32_e32 v4, 31, v4
	v_xor_b32_e32 v3, s9, v3
	ds_load_b64 v[17:18], v25
	v_and_b32_e32 v1, v1, v2
	s_waitcnt lgkmcnt(0)
	v_xor_b32_e32 v0, s10, v4
	s_barrier
	buffer_gl0_inv
	v_and_b32_e32 v3, v1, v3
	v_dual_mov_b32 v1, s20 :: v_dual_mov_b32 v2, s21
	s_delay_alu instid0(VALU_DEP_2)
	v_dual_mov_b32 v3, s14 :: v_dual_and_b32 v0, v3, v0
	v_mov_b32_e32 v4, s15
	ds_store_2addr_b64 v19, v[1:2], v[3:4] offset0:8 offset1:9
	ds_store_2addr_b64 v20, v[1:2], v[3:4] offset0:2 offset1:3
	v_mbcnt_lo_u32_b32 v15, v0, 0
	v_lshl_add_u32 v1, v5, 4, v26
	v_cmp_ne_u32_e64 s10, 0, v0
	s_waitcnt lgkmcnt(0)
	s_barrier
	v_cmp_eq_u32_e64 s9, 0, v15
	v_lshl_add_u32 v16, v1, 2, 64
	buffer_gl0_inv
	; wave barrier
	s_and_b32 s10, s10, s9
	s_delay_alu instid0(SALU_CYCLE_1)
	s_and_saveexec_b32 s9, s10
	s_cbranch_execz .LBB185_60
; %bb.59:                               ;   in Loop: Header=BB185_2 Depth=1
	v_bcnt_u32_b32 v0, v0, 0
	ds_store_b32 v16, v0
.LBB185_60:                             ;   in Loop: Header=BB185_2 Depth=1
	s_or_b32 exec_lo, exec_lo, s9
	; wave barrier
	s_waitcnt lgkmcnt(0)
	s_barrier
	buffer_gl0_inv
	ds_load_2addr_b64 v[4:7], v19 offset0:8 offset1:9
	ds_load_2addr_b64 v[0:3], v20 offset0:2 offset1:3
	s_waitcnt lgkmcnt(1)
	v_add_nc_u32_e32 v28, v5, v4
	s_delay_alu instid0(VALU_DEP_1) | instskip(SKIP_1) | instid1(VALU_DEP_1)
	v_add3_u32 v28, v28, v6, v7
	s_waitcnt lgkmcnt(0)
	v_add3_u32 v28, v28, v0, v1
	s_delay_alu instid0(VALU_DEP_1) | instskip(NEXT) | instid1(VALU_DEP_1)
	v_add3_u32 v3, v28, v2, v3
	v_mov_b32_dpp v28, v3 row_shr:1 row_mask:0xf bank_mask:0xf
	s_delay_alu instid0(VALU_DEP_1) | instskip(NEXT) | instid1(VALU_DEP_1)
	v_cndmask_b32_e64 v28, v28, 0, s0
	v_add_nc_u32_e32 v3, v28, v3
	s_delay_alu instid0(VALU_DEP_1) | instskip(NEXT) | instid1(VALU_DEP_1)
	v_mov_b32_dpp v28, v3 row_shr:2 row_mask:0xf bank_mask:0xf
	v_cndmask_b32_e64 v28, 0, v28, s1
	s_delay_alu instid0(VALU_DEP_1) | instskip(NEXT) | instid1(VALU_DEP_1)
	v_add_nc_u32_e32 v3, v3, v28
	v_mov_b32_dpp v28, v3 row_shr:4 row_mask:0xf bank_mask:0xf
	s_delay_alu instid0(VALU_DEP_1) | instskip(NEXT) | instid1(VALU_DEP_1)
	v_cndmask_b32_e64 v28, 0, v28, s2
	v_add_nc_u32_e32 v3, v3, v28
	s_delay_alu instid0(VALU_DEP_1) | instskip(NEXT) | instid1(VALU_DEP_1)
	v_mov_b32_dpp v28, v3 row_shr:8 row_mask:0xf bank_mask:0xf
	v_cndmask_b32_e64 v28, 0, v28, s3
	s_delay_alu instid0(VALU_DEP_1) | instskip(SKIP_3) | instid1(VALU_DEP_1)
	v_add_nc_u32_e32 v3, v3, v28
	ds_swizzle_b32 v28, v3 offset:swizzle(BROADCAST,32,15)
	s_waitcnt lgkmcnt(0)
	v_cndmask_b32_e64 v28, v28, 0, s4
	v_add_nc_u32_e32 v3, v3, v28
	s_and_saveexec_b32 s9, s8
	s_cbranch_execz .LBB185_62
; %bb.61:                               ;   in Loop: Header=BB185_2 Depth=1
	ds_store_b32 v21, v3
.LBB185_62:                             ;   in Loop: Header=BB185_2 Depth=1
	s_or_b32 exec_lo, exec_lo, s9
	s_waitcnt lgkmcnt(0)
	s_barrier
	buffer_gl0_inv
	s_and_saveexec_b32 s9, s5
	s_cbranch_execz .LBB185_64
; %bb.63:                               ;   in Loop: Header=BB185_2 Depth=1
	ds_load_b32 v28, v23
	s_waitcnt lgkmcnt(0)
	v_mov_b32_dpp v29, v28 row_shr:1 row_mask:0xf bank_mask:0xf
	s_delay_alu instid0(VALU_DEP_1) | instskip(NEXT) | instid1(VALU_DEP_1)
	v_cndmask_b32_e64 v29, v29, 0, s0
	v_add_nc_u32_e32 v28, v29, v28
	s_delay_alu instid0(VALU_DEP_1) | instskip(NEXT) | instid1(VALU_DEP_1)
	v_mov_b32_dpp v29, v28 row_shr:2 row_mask:0xf bank_mask:0xf
	v_cndmask_b32_e64 v29, 0, v29, s1
	s_delay_alu instid0(VALU_DEP_1) | instskip(NEXT) | instid1(VALU_DEP_1)
	v_add_nc_u32_e32 v28, v28, v29
	v_mov_b32_dpp v29, v28 row_shr:4 row_mask:0xf bank_mask:0xf
	s_delay_alu instid0(VALU_DEP_1) | instskip(NEXT) | instid1(VALU_DEP_1)
	v_cndmask_b32_e64 v29, 0, v29, s2
	v_add_nc_u32_e32 v28, v28, v29
	s_delay_alu instid0(VALU_DEP_1) | instskip(NEXT) | instid1(VALU_DEP_1)
	v_mov_b32_dpp v29, v28 row_shr:8 row_mask:0xf bank_mask:0xf
	v_cndmask_b32_e64 v29, 0, v29, s3
	s_delay_alu instid0(VALU_DEP_1)
	v_add_nc_u32_e32 v28, v28, v29
	ds_store_b32 v23, v28
.LBB185_64:                             ;   in Loop: Header=BB185_2 Depth=1
	s_or_b32 exec_lo, exec_lo, s9
	v_mov_b32_e32 v28, 0
	s_waitcnt lgkmcnt(0)
	s_barrier
	buffer_gl0_inv
	s_and_saveexec_b32 s9, s6
	s_cbranch_execz .LBB185_1
; %bb.65:                               ;   in Loop: Header=BB185_2 Depth=1
	ds_load_b32 v28, v24
	s_branch .LBB185_1
.LBB185_66:
	s_waitcnt lgkmcnt(0)
	v_add3_u32 v0, v13, v15, 0x80000000
	v_add3_u32 v1, v14, v16, 0x80000000
	v_lshlrev_b32_e32 v2, 3, v8
	s_add_u32 s0, s18, s12
	s_addc_u32 s1, s19, s13
	global_store_b64 v2, v[0:1], s[0:1]
	s_nop 0
	s_sendmsg sendmsg(MSG_DEALLOC_VGPRS)
	s_endpgm
	.section	.rodata,"a",@progbits
	.p2align	6, 0x0
	.amdhsa_kernel _Z17sort_pairs_kernelI22helper_blocked_blockedN15benchmark_utils11custom_typeIiiEELj512ELj1ELj10EEvPKT0_PS4_
		.amdhsa_group_segment_fixed_size 16448
		.amdhsa_private_segment_fixed_size 0
		.amdhsa_kernarg_size 272
		.amdhsa_user_sgpr_count 15
		.amdhsa_user_sgpr_dispatch_ptr 0
		.amdhsa_user_sgpr_queue_ptr 0
		.amdhsa_user_sgpr_kernarg_segment_ptr 1
		.amdhsa_user_sgpr_dispatch_id 0
		.amdhsa_user_sgpr_private_segment_size 0
		.amdhsa_wavefront_size32 1
		.amdhsa_uses_dynamic_stack 0
		.amdhsa_enable_private_segment 0
		.amdhsa_system_sgpr_workgroup_id_x 1
		.amdhsa_system_sgpr_workgroup_id_y 0
		.amdhsa_system_sgpr_workgroup_id_z 0
		.amdhsa_system_sgpr_workgroup_info 0
		.amdhsa_system_vgpr_workitem_id 2
		.amdhsa_next_free_vgpr 30
		.amdhsa_next_free_sgpr 22
		.amdhsa_reserve_vcc 1
		.amdhsa_float_round_mode_32 0
		.amdhsa_float_round_mode_16_64 0
		.amdhsa_float_denorm_mode_32 3
		.amdhsa_float_denorm_mode_16_64 3
		.amdhsa_dx10_clamp 1
		.amdhsa_ieee_mode 1
		.amdhsa_fp16_overflow 0
		.amdhsa_workgroup_processor_mode 1
		.amdhsa_memory_ordered 1
		.amdhsa_forward_progress 0
		.amdhsa_shared_vgpr_count 0
		.amdhsa_exception_fp_ieee_invalid_op 0
		.amdhsa_exception_fp_denorm_src 0
		.amdhsa_exception_fp_ieee_div_zero 0
		.amdhsa_exception_fp_ieee_overflow 0
		.amdhsa_exception_fp_ieee_underflow 0
		.amdhsa_exception_fp_ieee_inexact 0
		.amdhsa_exception_int_div_zero 0
	.end_amdhsa_kernel
	.section	.text._Z17sort_pairs_kernelI22helper_blocked_blockedN15benchmark_utils11custom_typeIiiEELj512ELj1ELj10EEvPKT0_PS4_,"axG",@progbits,_Z17sort_pairs_kernelI22helper_blocked_blockedN15benchmark_utils11custom_typeIiiEELj512ELj1ELj10EEvPKT0_PS4_,comdat
.Lfunc_end185:
	.size	_Z17sort_pairs_kernelI22helper_blocked_blockedN15benchmark_utils11custom_typeIiiEELj512ELj1ELj10EEvPKT0_PS4_, .Lfunc_end185-_Z17sort_pairs_kernelI22helper_blocked_blockedN15benchmark_utils11custom_typeIiiEELj512ELj1ELj10EEvPKT0_PS4_
                                        ; -- End function
	.section	.AMDGPU.csdata,"",@progbits
; Kernel info:
; codeLenInByte = 8708
; NumSgprs: 24
; NumVgprs: 30
; ScratchSize: 0
; MemoryBound: 0
; FloatMode: 240
; IeeeMode: 1
; LDSByteSize: 16448 bytes/workgroup (compile time only)
; SGPRBlocks: 2
; VGPRBlocks: 3
; NumSGPRsForWavesPerEU: 24
; NumVGPRsForWavesPerEU: 30
; Occupancy: 16
; WaveLimiterHint : 0
; COMPUTE_PGM_RSRC2:SCRATCH_EN: 0
; COMPUTE_PGM_RSRC2:USER_SGPR: 15
; COMPUTE_PGM_RSRC2:TRAP_HANDLER: 0
; COMPUTE_PGM_RSRC2:TGID_X_EN: 1
; COMPUTE_PGM_RSRC2:TGID_Y_EN: 0
; COMPUTE_PGM_RSRC2:TGID_Z_EN: 0
; COMPUTE_PGM_RSRC2:TIDIG_COMP_CNT: 2
	.section	.text._Z16sort_keys_kernelI22helper_blocked_blockedN15benchmark_utils11custom_typeIiiEELj512ELj3ELj10EEvPKT0_PS4_,"axG",@progbits,_Z16sort_keys_kernelI22helper_blocked_blockedN15benchmark_utils11custom_typeIiiEELj512ELj3ELj10EEvPKT0_PS4_,comdat
	.protected	_Z16sort_keys_kernelI22helper_blocked_blockedN15benchmark_utils11custom_typeIiiEELj512ELj3ELj10EEvPKT0_PS4_ ; -- Begin function _Z16sort_keys_kernelI22helper_blocked_blockedN15benchmark_utils11custom_typeIiiEELj512ELj3ELj10EEvPKT0_PS4_
	.globl	_Z16sort_keys_kernelI22helper_blocked_blockedN15benchmark_utils11custom_typeIiiEELj512ELj3ELj10EEvPKT0_PS4_
	.p2align	8
	.type	_Z16sort_keys_kernelI22helper_blocked_blockedN15benchmark_utils11custom_typeIiiEELj512ELj3ELj10EEvPKT0_PS4_,@function
_Z16sort_keys_kernelI22helper_blocked_blockedN15benchmark_utils11custom_typeIiiEELj512ELj3ELj10EEvPKT0_PS4_: ; @_Z16sort_keys_kernelI22helper_blocked_blockedN15benchmark_utils11custom_typeIiiEELj512ELj3ELj10EEvPKT0_PS4_
; %bb.0:
	s_clause 0x1
	s_load_b128 s[16:19], s[0:1], 0x0
	s_load_b32 s2, s[0:1], 0x1c
	s_mov_b32 s13, 0
	s_mul_i32 s12, s15, 0x600
	v_bfe_u32 v9, v0, 10, 10
	s_lshl_b64 s[14:15], s[12:13], 3
	s_mov_b32 s12, s13
	v_and_b32_e32 v8, 0x3ff, v0
	v_bfe_u32 v0, v0, 20, 10
	v_mbcnt_lo_u32_b32 v12, -1, 0
	s_mov_b32 s10, s13
	s_mov_b32 s11, s13
	v_lshlrev_b32_e32 v1, 3, v8
	v_lshrrev_b32_e32 v7, 5, v8
	v_cmp_eq_u32_e64 s8, 0, v12
	s_delay_alu instid0(VALU_DEP_2)
	v_mul_u32_u24_e32 v11, 0x60, v7
	v_lshlrev_b32_e32 v25, 2, v7
	s_waitcnt lgkmcnt(0)
	s_add_u32 s0, s16, s14
	s_addc_u32 s1, s17, s15
	v_add_co_u32 v2, s3, s0, v1
	s_delay_alu instid0(VALU_DEP_1) | instskip(SKIP_1) | instid1(VALU_DEP_3)
	v_add_co_ci_u32_e64 v3, null, s1, 0, s3
	v_lshlrev_b32_e32 v13, 3, v11
	v_add_co_u32 v5, vcc_lo, v2, 0x2000
	s_delay_alu instid0(VALU_DEP_3) | instskip(NEXT) | instid1(VALU_DEP_3)
	v_add_co_ci_u32_e32 v6, vcc_lo, 0, v3, vcc_lo
	v_mad_u32_u24 v20, v12, 24, v13
	v_add_nc_u32_e32 v27, -4, v25
	s_clause 0x2
	global_load_b64 v[1:2], v1, s[0:1]
	global_load_b64 v[3:4], v[5:6], off offset:-4096
	global_load_b64 v[5:6], v[5:6], off
	s_lshr_b32 s0, s2, 16
	s_delay_alu instid0(SALU_CYCLE_1)
	v_mad_u32_u24 v0, v0, s0, v9
	s_and_b32 s0, s2, 0xffff
	s_delay_alu instid0(VALU_DEP_1) | instid1(SALU_CYCLE_1)
	v_mad_u64_u32 v[9:10], null, v0, s0, v[8:9]
	v_or_b32_e32 v0, v12, v11
	v_add_nc_u32_e32 v11, -1, v12
	v_and_b32_e32 v10, 15, v12
	s_delay_alu instid0(VALU_DEP_3)
	v_lshlrev_b32_e32 v21, 3, v0
	v_lshrrev_b32_e32 v23, 5, v9
	v_and_b32_e32 v9, 16, v12
	v_cmp_gt_i32_e32 vcc_lo, 0, v11
	v_cmp_eq_u32_e64 s0, 0, v10
	v_cmp_lt_u32_e64 s1, 1, v10
	v_cmp_lt_u32_e64 s2, 3, v10
	v_cmp_eq_u32_e64 s4, 0, v9
	v_cndmask_b32_e32 v9, v11, v12, vcc_lo
	v_cmp_lt_u32_e64 s3, 7, v10
	s_delay_alu instid0(VALU_DEP_2)
	v_dual_mov_b32 v9, s12 :: v_dual_lshlrev_b32 v24, 2, v9
	v_and_b32_e32 v0, 0x1e0, v8
	v_lshlrev_b32_e32 v19, 5, v8
	v_cmp_gt_u32_e64 s6, 16, v8
	v_cmp_lt_u32_e64 s7, 31, v8
	v_cmp_eq_u32_e64 s9, 0, v8
	v_or_b32_e32 v13, 31, v0
	v_mul_u32_u24_e32 v0, 3, v0
	v_mad_i32_i24 v26, 0xffffffe4, v8, v19
	v_add_nc_u32_e32 v22, 64, v19
	v_mov_b32_e32 v10, s13
	v_cmp_eq_u32_e64 s5, v13, v8
	v_or_b32_e32 v0, v12, v0
	v_dual_mov_b32 v12, s11 :: v_dual_mov_b32 v11, s10
	s_delay_alu instid0(VALU_DEP_2) | instskip(SKIP_1) | instid1(VALU_DEP_1)
	v_lshlrev_b32_e32 v28, 3, v0
	v_mul_u32_u24_e32 v0, 20, v8
	v_add_nc_u32_e32 v29, v26, v0
	s_branch .LBB186_2
.LBB186_1:                              ;   in Loop: Header=BB186_2 Depth=1
	s_barrier
	buffer_gl0_inv
	ds_store_b64 v6, v[13:14]
	ds_store_b64 v7, v[17:18]
	;; [unrolled: 1-line block ×3, first 2 shown]
	s_waitcnt lgkmcnt(0)
	s_barrier
	buffer_gl0_inv
	ds_load_2addr_b64 v[1:4], v29 offset1:1
	ds_load_b64 v[5:6], v29 offset:16
	s_add_i32 s13, s13, 1
	s_delay_alu instid0(SALU_CYCLE_1)
	s_cmp_eq_u32 s13, 10
	s_waitcnt lgkmcnt(1)
	v_xor_b32_e32 v1, 0x80000000, v1
	v_xor_b32_e32 v2, 0x80000000, v2
	;; [unrolled: 1-line block ×4, first 2 shown]
	s_waitcnt lgkmcnt(0)
	v_xor_b32_e32 v5, 0x80000000, v5
	v_xor_b32_e32 v6, 0x80000000, v6
	s_cbranch_scc1 .LBB186_18
.LBB186_2:                              ; =>This Loop Header: Depth=1
                                        ;     Child Loop BB186_4 Depth 2
	s_waitcnt vmcnt(2)
	v_xor_b32_e32 v2, 0x80000000, v2
	v_xor_b32_e32 v1, 0x80000000, v1
	s_waitcnt vmcnt(1)
	v_xor_b32_e32 v4, 0x80000000, v4
	v_xor_b32_e32 v3, 0x80000000, v3
	;; [unrolled: 3-line block ×3, first 2 shown]
	ds_store_2addr_b64 v20, v[1:2], v[3:4] offset1:1
	ds_store_b64 v20, v[5:6] offset:16
	; wave barrier
	ds_load_2addr_b64 v[0:3], v21 offset1:32
	ds_load_b64 v[4:5], v21 offset:512
	s_mov_b32 s16, 8
	s_mov_b32 s17, 32
	;; [unrolled: 1-line block ×3, first 2 shown]
	s_waitcnt lgkmcnt(0)
	s_barrier
	buffer_gl0_inv
	; wave barrier
	s_barrier
	s_branch .LBB186_4
.LBB186_3:                              ;   in Loop: Header=BB186_4 Depth=2
	s_barrier
	buffer_gl0_inv
	ds_store_b64 v6, v[13:14]
	ds_store_b64 v7, v[17:18]
	;; [unrolled: 1-line block ×3, first 2 shown]
	s_waitcnt lgkmcnt(0)
	s_barrier
	buffer_gl0_inv
	ds_load_2addr_b64 v[0:3], v28 offset1:32
	ds_load_b64 v[4:5], v28 offset:512
	s_add_i32 s17, s17, -8
	s_add_i32 s16, s16, 8
	s_add_i32 s20, s20, 8
	s_waitcnt lgkmcnt(0)
	s_barrier
	s_cbranch_execz .LBB186_1
.LBB186_4:                              ;   Parent Loop BB186_2 Depth=1
                                        ; =>  This Inner Loop Header: Depth=2
	s_min_i32 s11, s16, 32
	s_cmp_lt_u32 s20, 32
	v_dual_mov_b32 v14, v1 :: v_dual_mov_b32 v13, v0
	s_cselect_b32 vcc_lo, -1, 0
	s_cmp_gt_u32 s20, 24
	buffer_gl0_inv
	s_cselect_b32 s10, -1, 0
	s_sub_i32 s11, s11, 32
	v_lshrrev_b32_e32 v1, s20, v14
	s_add_i32 s12, s11, s17
	ds_store_2addr_b64 v19, v[9:10], v[11:12] offset0:8 offset1:9
	ds_store_2addr_b64 v22, v[9:10], v[11:12] offset0:2 offset1:3
	s_lshl_b32 s12, -1, s12
	s_waitcnt lgkmcnt(0)
	s_not_b32 s12, s12
	s_cmp_lg_u32 s11, s20
	s_barrier
	s_cselect_b32 s21, s12, -1
	s_max_i32 s22, s17, 0
	s_max_i32 s11, s20, 32
	v_and_b32_e32 v1, s21, v1
	s_sub_i32 s12, s11, s22
	s_sub_i32 s23, s11, 32
	;; [unrolled: 1-line block ×3, first 2 shown]
	v_lshrrev_b32_e32 v0, s23, v13
	s_min_i32 s11, s12, 32
	buffer_gl0_inv
	s_sub_i32 s11, s11, s23
	s_delay_alu instid0(SALU_CYCLE_1) | instskip(NEXT) | instid1(SALU_CYCLE_1)
	s_lshl_b32 s12, -1, s11
	; wave barrier
	s_not_b32 s12, s12
	s_cmp_lg_u32 s11, 32
	v_cndmask_b32_e32 v1, 0, v1, vcc_lo
	s_cselect_b32 s24, s12, -1
	s_delay_alu instid0(SALU_CYCLE_1) | instskip(NEXT) | instid1(VALU_DEP_1)
	v_and_b32_e32 v0, s24, v0
	v_lshlrev_b32_e32 v0, s22, v0
	s_delay_alu instid0(VALU_DEP_1) | instskip(NEXT) | instid1(VALU_DEP_1)
	v_cndmask_b32_e64 v0, 0, v0, s10
	v_or_b32_e32 v1, v1, v0
	s_delay_alu instid0(VALU_DEP_1)
	v_and_b32_e32 v0, 1, v1
	v_lshlrev_b32_e32 v6, 30, v1
	v_lshlrev_b32_e32 v7, 29, v1
	;; [unrolled: 1-line block ×4, first 2 shown]
	v_add_co_u32 v0, s11, v0, -1
	s_delay_alu instid0(VALU_DEP_1)
	v_cndmask_b32_e64 v16, 0, 1, s11
	v_not_b32_e32 v31, v6
	v_cmp_gt_i32_e64 s12, 0, v6
	v_not_b32_e32 v6, v7
	v_lshlrev_b32_e32 v18, 26, v1
	v_cmp_ne_u32_e64 s11, 0, v16
	v_ashrrev_i32_e32 v31, 31, v31
	v_lshlrev_b32_e32 v30, 25, v1
	v_ashrrev_i32_e32 v6, 31, v6
	v_lshlrev_b32_e32 v16, 24, v1
	v_xor_b32_e32 v0, s11, v0
	v_cmp_gt_i32_e64 s11, 0, v7
	v_not_b32_e32 v7, v15
	v_xor_b32_e32 v31, s12, v31
	v_cmp_gt_i32_e64 s12, 0, v15
	v_and_b32_e32 v0, exec_lo, v0
	v_not_b32_e32 v15, v17
	v_ashrrev_i32_e32 v7, 31, v7
	v_xor_b32_e32 v6, s11, v6
	v_cmp_gt_i32_e64 s11, 0, v17
	v_and_b32_e32 v0, v0, v31
	v_not_b32_e32 v17, v18
	v_ashrrev_i32_e32 v15, 31, v15
	v_xor_b32_e32 v7, s12, v7
	v_cmp_gt_i32_e64 s12, 0, v18
	v_and_b32_e32 v0, v0, v6
	;; [unrolled: 5-line block ×4, first 2 shown]
	v_mov_b32_e32 v16, v5
	v_ashrrev_i32_e32 v7, 31, v7
	v_xor_b32_e32 v6, s11, v6
	v_lshl_add_u32 v1, v1, 4, v23
	v_and_b32_e32 v0, v0, v17
	v_mov_b32_e32 v18, v3
	v_xor_b32_e32 v7, s12, v7
	v_mov_b32_e32 v17, v2
	v_mov_b32_e32 v15, v4
	v_and_b32_e32 v0, v0, v6
	v_lshl_add_u32 v31, v1, 2, 64
	s_delay_alu instid0(VALU_DEP_2) | instskip(NEXT) | instid1(VALU_DEP_1)
	v_and_b32_e32 v0, v0, v7
	v_mbcnt_lo_u32_b32 v30, v0, 0
	v_cmp_ne_u32_e64 s12, 0, v0
	s_delay_alu instid0(VALU_DEP_2) | instskip(NEXT) | instid1(VALU_DEP_1)
	v_cmp_eq_u32_e64 s11, 0, v30
	s_and_b32 s12, s11, s12
	s_delay_alu instid0(SALU_CYCLE_1)
	s_and_saveexec_b32 s11, s12
	s_cbranch_execz .LBB186_6
; %bb.5:                                ;   in Loop: Header=BB186_4 Depth=2
	v_bcnt_u32_b32 v0, v0, 0
	ds_store_b32 v31, v0
.LBB186_6:                              ;   in Loop: Header=BB186_4 Depth=2
	s_or_b32 exec_lo, exec_lo, s11
	v_lshrrev_b32_e32 v0, s23, v17
	v_lshrrev_b32_e32 v1, s20, v18
	; wave barrier
	s_delay_alu instid0(VALU_DEP_1) | instskip(NEXT) | instid1(VALU_DEP_1)
	v_and_b32_e32 v1, s21, v1
	v_dual_cndmask_b32 v1, 0, v1 :: v_dual_and_b32 v0, s24, v0
	s_delay_alu instid0(VALU_DEP_1) | instskip(NEXT) | instid1(VALU_DEP_1)
	v_lshlrev_b32_e32 v0, s22, v0
	v_cndmask_b32_e64 v0, 0, v0, s10
	s_delay_alu instid0(VALU_DEP_1) | instskip(NEXT) | instid1(VALU_DEP_1)
	v_or_b32_e32 v0, v1, v0
	v_and_b32_e32 v1, 1, v0
	v_lshlrev_b32_e32 v2, 30, v0
	v_lshlrev_b32_e32 v3, 29, v0
	;; [unrolled: 1-line block ×4, first 2 shown]
	v_add_co_u32 v1, s11, v1, -1
	s_delay_alu instid0(VALU_DEP_1)
	v_cndmask_b32_e64 v5, 0, 1, s11
	v_not_b32_e32 v33, v2
	v_cmp_gt_i32_e64 s12, 0, v2
	v_not_b32_e32 v2, v3
	v_lshlrev_b32_e32 v7, 26, v0
	v_cmp_ne_u32_e64 s11, 0, v5
	v_ashrrev_i32_e32 v33, 31, v33
	v_lshlrev_b32_e32 v32, 25, v0
	v_ashrrev_i32_e32 v2, 31, v2
	v_lshlrev_b32_e32 v5, 24, v0
	v_xor_b32_e32 v1, s11, v1
	v_cmp_gt_i32_e64 s11, 0, v3
	v_not_b32_e32 v3, v4
	v_xor_b32_e32 v33, s12, v33
	v_cmp_gt_i32_e64 s12, 0, v4
	v_and_b32_e32 v1, exec_lo, v1
	v_not_b32_e32 v4, v6
	v_ashrrev_i32_e32 v3, 31, v3
	v_xor_b32_e32 v2, s11, v2
	v_cmp_gt_i32_e64 s11, 0, v6
	v_and_b32_e32 v1, v1, v33
	v_not_b32_e32 v6, v7
	v_ashrrev_i32_e32 v4, 31, v4
	v_xor_b32_e32 v3, s12, v3
	v_cmp_gt_i32_e64 s12, 0, v7
	v_and_b32_e32 v1, v1, v2
	;; [unrolled: 5-line block ×3, first 2 shown]
	v_not_b32_e32 v3, v5
	v_ashrrev_i32_e32 v2, 31, v2
	v_xor_b32_e32 v6, s12, v6
	v_lshlrev_b32_e32 v0, 4, v0
	v_and_b32_e32 v1, v1, v4
	v_cmp_gt_i32_e64 s12, 0, v5
	v_ashrrev_i32_e32 v3, 31, v3
	v_xor_b32_e32 v2, s11, v2
	v_add_lshl_u32 v4, v0, v23, 2
	v_and_b32_e32 v1, v1, v6
	s_delay_alu instid0(VALU_DEP_4) | instskip(SKIP_3) | instid1(VALU_DEP_2)
	v_xor_b32_e32 v0, s12, v3
	ds_load_b32 v32, v4 offset:64
	v_and_b32_e32 v1, v1, v2
	v_add_nc_u32_e32 v34, 64, v4
	; wave barrier
	v_and_b32_e32 v0, v1, v0
	s_delay_alu instid0(VALU_DEP_1) | instskip(SKIP_1) | instid1(VALU_DEP_2)
	v_mbcnt_lo_u32_b32 v33, v0, 0
	v_cmp_ne_u32_e64 s12, 0, v0
	v_cmp_eq_u32_e64 s11, 0, v33
	s_delay_alu instid0(VALU_DEP_1) | instskip(NEXT) | instid1(SALU_CYCLE_1)
	s_and_b32 s12, s11, s12
	s_and_saveexec_b32 s11, s12
	s_cbranch_execz .LBB186_8
; %bb.7:                                ;   in Loop: Header=BB186_4 Depth=2
	s_waitcnt lgkmcnt(0)
	v_bcnt_u32_b32 v0, v0, v32
	ds_store_b32 v34, v0
.LBB186_8:                              ;   in Loop: Header=BB186_4 Depth=2
	s_or_b32 exec_lo, exec_lo, s11
	v_lshrrev_b32_e32 v0, s23, v15
	v_lshrrev_b32_e32 v1, s20, v16
	; wave barrier
	s_delay_alu instid0(VALU_DEP_1) | instskip(NEXT) | instid1(VALU_DEP_1)
	v_and_b32_e32 v1, s21, v1
	v_dual_cndmask_b32 v1, 0, v1 :: v_dual_and_b32 v0, s24, v0
	s_delay_alu instid0(VALU_DEP_1) | instskip(NEXT) | instid1(VALU_DEP_1)
	v_lshlrev_b32_e32 v0, s22, v0
	v_cndmask_b32_e64 v0, 0, v0, s10
	s_delay_alu instid0(VALU_DEP_1) | instskip(NEXT) | instid1(VALU_DEP_1)
	v_or_b32_e32 v0, v1, v0
	v_and_b32_e32 v1, 1, v0
	v_lshlrev_b32_e32 v2, 30, v0
	v_lshlrev_b32_e32 v3, 29, v0
	;; [unrolled: 1-line block ×4, first 2 shown]
	v_add_co_u32 v1, s10, v1, -1
	s_delay_alu instid0(VALU_DEP_1)
	v_cndmask_b32_e64 v5, 0, 1, s10
	v_not_b32_e32 v36, v2
	v_cmp_gt_i32_e64 s10, 0, v2
	v_not_b32_e32 v2, v3
	v_lshlrev_b32_e32 v7, 26, v0
	v_cmp_ne_u32_e32 vcc_lo, 0, v5
	v_ashrrev_i32_e32 v36, 31, v36
	v_lshlrev_b32_e32 v35, 25, v0
	v_ashrrev_i32_e32 v2, 31, v2
	v_lshlrev_b32_e32 v5, 24, v0
	v_xor_b32_e32 v1, vcc_lo, v1
	v_cmp_gt_i32_e32 vcc_lo, 0, v3
	v_not_b32_e32 v3, v4
	v_xor_b32_e32 v36, s10, v36
	v_cmp_gt_i32_e64 s10, 0, v4
	v_and_b32_e32 v1, exec_lo, v1
	v_not_b32_e32 v4, v6
	v_ashrrev_i32_e32 v3, 31, v3
	v_xor_b32_e32 v2, vcc_lo, v2
	v_cmp_gt_i32_e32 vcc_lo, 0, v6
	v_and_b32_e32 v1, v1, v36
	v_not_b32_e32 v6, v7
	v_ashrrev_i32_e32 v4, 31, v4
	v_xor_b32_e32 v3, s10, v3
	v_cmp_gt_i32_e64 s10, 0, v7
	v_and_b32_e32 v1, v1, v2
	v_not_b32_e32 v2, v35
	v_ashrrev_i32_e32 v6, 31, v6
	v_xor_b32_e32 v4, vcc_lo, v4
	v_cmp_gt_i32_e32 vcc_lo, 0, v35
	v_and_b32_e32 v1, v1, v3
	v_not_b32_e32 v3, v5
	v_ashrrev_i32_e32 v2, 31, v2
	v_xor_b32_e32 v6, s10, v6
	v_lshlrev_b32_e32 v0, 4, v0
	v_and_b32_e32 v1, v1, v4
	v_cmp_gt_i32_e64 s10, 0, v5
	v_ashrrev_i32_e32 v3, 31, v3
	v_xor_b32_e32 v2, vcc_lo, v2
	v_add_lshl_u32 v4, v0, v23, 2
	v_and_b32_e32 v1, v1, v6
	s_delay_alu instid0(VALU_DEP_4) | instskip(SKIP_3) | instid1(VALU_DEP_2)
	v_xor_b32_e32 v0, s10, v3
	ds_load_b32 v35, v4 offset:64
	v_and_b32_e32 v1, v1, v2
	v_add_nc_u32_e32 v37, 64, v4
	; wave barrier
	v_and_b32_e32 v0, v1, v0
	s_delay_alu instid0(VALU_DEP_1) | instskip(SKIP_1) | instid1(VALU_DEP_2)
	v_mbcnt_lo_u32_b32 v36, v0, 0
	v_cmp_ne_u32_e64 s10, 0, v0
	v_cmp_eq_u32_e32 vcc_lo, 0, v36
	s_delay_alu instid0(VALU_DEP_2) | instskip(NEXT) | instid1(SALU_CYCLE_1)
	s_and_b32 s11, vcc_lo, s10
	s_and_saveexec_b32 s10, s11
	s_cbranch_execz .LBB186_10
; %bb.9:                                ;   in Loop: Header=BB186_4 Depth=2
	s_waitcnt lgkmcnt(0)
	v_bcnt_u32_b32 v0, v0, v35
	ds_store_b32 v37, v0
.LBB186_10:                             ;   in Loop: Header=BB186_4 Depth=2
	s_or_b32 exec_lo, exec_lo, s10
	; wave barrier
	s_waitcnt lgkmcnt(0)
	s_barrier
	buffer_gl0_inv
	ds_load_2addr_b64 v[4:7], v19 offset0:8 offset1:9
	ds_load_2addr_b64 v[0:3], v22 offset0:2 offset1:3
	s_waitcnt lgkmcnt(1)
	v_add_nc_u32_e32 v38, v5, v4
	s_delay_alu instid0(VALU_DEP_1) | instskip(SKIP_1) | instid1(VALU_DEP_1)
	v_add3_u32 v38, v38, v6, v7
	s_waitcnt lgkmcnt(0)
	v_add3_u32 v38, v38, v0, v1
	s_delay_alu instid0(VALU_DEP_1) | instskip(NEXT) | instid1(VALU_DEP_1)
	v_add3_u32 v3, v38, v2, v3
	v_mov_b32_dpp v38, v3 row_shr:1 row_mask:0xf bank_mask:0xf
	s_delay_alu instid0(VALU_DEP_1) | instskip(NEXT) | instid1(VALU_DEP_1)
	v_cndmask_b32_e64 v38, v38, 0, s0
	v_add_nc_u32_e32 v3, v38, v3
	s_delay_alu instid0(VALU_DEP_1) | instskip(NEXT) | instid1(VALU_DEP_1)
	v_mov_b32_dpp v38, v3 row_shr:2 row_mask:0xf bank_mask:0xf
	v_cndmask_b32_e64 v38, 0, v38, s1
	s_delay_alu instid0(VALU_DEP_1) | instskip(NEXT) | instid1(VALU_DEP_1)
	v_add_nc_u32_e32 v3, v3, v38
	v_mov_b32_dpp v38, v3 row_shr:4 row_mask:0xf bank_mask:0xf
	s_delay_alu instid0(VALU_DEP_1) | instskip(NEXT) | instid1(VALU_DEP_1)
	v_cndmask_b32_e64 v38, 0, v38, s2
	v_add_nc_u32_e32 v3, v3, v38
	s_delay_alu instid0(VALU_DEP_1) | instskip(NEXT) | instid1(VALU_DEP_1)
	v_mov_b32_dpp v38, v3 row_shr:8 row_mask:0xf bank_mask:0xf
	v_cndmask_b32_e64 v38, 0, v38, s3
	s_delay_alu instid0(VALU_DEP_1) | instskip(SKIP_3) | instid1(VALU_DEP_1)
	v_add_nc_u32_e32 v3, v3, v38
	ds_swizzle_b32 v38, v3 offset:swizzle(BROADCAST,32,15)
	s_waitcnt lgkmcnt(0)
	v_cndmask_b32_e64 v38, v38, 0, s4
	v_add_nc_u32_e32 v3, v3, v38
	s_and_saveexec_b32 s10, s5
	s_cbranch_execz .LBB186_12
; %bb.11:                               ;   in Loop: Header=BB186_4 Depth=2
	ds_store_b32 v25, v3
.LBB186_12:                             ;   in Loop: Header=BB186_4 Depth=2
	s_or_b32 exec_lo, exec_lo, s10
	s_waitcnt lgkmcnt(0)
	s_barrier
	buffer_gl0_inv
	s_and_saveexec_b32 s10, s6
	s_cbranch_execz .LBB186_14
; %bb.13:                               ;   in Loop: Header=BB186_4 Depth=2
	ds_load_b32 v38, v26
	s_waitcnt lgkmcnt(0)
	v_mov_b32_dpp v39, v38 row_shr:1 row_mask:0xf bank_mask:0xf
	s_delay_alu instid0(VALU_DEP_1) | instskip(NEXT) | instid1(VALU_DEP_1)
	v_cndmask_b32_e64 v39, v39, 0, s0
	v_add_nc_u32_e32 v38, v39, v38
	s_delay_alu instid0(VALU_DEP_1) | instskip(NEXT) | instid1(VALU_DEP_1)
	v_mov_b32_dpp v39, v38 row_shr:2 row_mask:0xf bank_mask:0xf
	v_cndmask_b32_e64 v39, 0, v39, s1
	s_delay_alu instid0(VALU_DEP_1) | instskip(NEXT) | instid1(VALU_DEP_1)
	v_add_nc_u32_e32 v38, v38, v39
	v_mov_b32_dpp v39, v38 row_shr:4 row_mask:0xf bank_mask:0xf
	s_delay_alu instid0(VALU_DEP_1) | instskip(NEXT) | instid1(VALU_DEP_1)
	v_cndmask_b32_e64 v39, 0, v39, s2
	v_add_nc_u32_e32 v38, v38, v39
	s_delay_alu instid0(VALU_DEP_1) | instskip(NEXT) | instid1(VALU_DEP_1)
	v_mov_b32_dpp v39, v38 row_shr:8 row_mask:0xf bank_mask:0xf
	v_cndmask_b32_e64 v39, 0, v39, s3
	s_delay_alu instid0(VALU_DEP_1)
	v_add_nc_u32_e32 v38, v38, v39
	ds_store_b32 v26, v38
.LBB186_14:                             ;   in Loop: Header=BB186_4 Depth=2
	s_or_b32 exec_lo, exec_lo, s10
	v_mov_b32_e32 v38, 0
	s_waitcnt lgkmcnt(0)
	s_barrier
	buffer_gl0_inv
	s_and_saveexec_b32 s10, s7
	s_cbranch_execz .LBB186_16
; %bb.15:                               ;   in Loop: Header=BB186_4 Depth=2
	ds_load_b32 v38, v27
.LBB186_16:                             ;   in Loop: Header=BB186_4 Depth=2
	s_or_b32 exec_lo, exec_lo, s10
	s_waitcnt lgkmcnt(0)
	v_add_nc_u32_e32 v3, v38, v3
	s_cmp_gt_u32 s20, 55
	ds_bpermute_b32 v3, v24, v3
	s_waitcnt lgkmcnt(0)
	v_cndmask_b32_e64 v3, v3, v38, s8
	s_delay_alu instid0(VALU_DEP_1) | instskip(NEXT) | instid1(VALU_DEP_1)
	v_cndmask_b32_e64 v3, v3, 0, s9
	v_add_nc_u32_e32 v4, v3, v4
	s_delay_alu instid0(VALU_DEP_1) | instskip(NEXT) | instid1(VALU_DEP_1)
	v_add_nc_u32_e32 v5, v4, v5
	v_add_nc_u32_e32 v6, v5, v6
	s_delay_alu instid0(VALU_DEP_1) | instskip(NEXT) | instid1(VALU_DEP_1)
	v_add_nc_u32_e32 v38, v6, v7
	;; [unrolled: 3-line block ×3, first 2 shown]
	v_add_nc_u32_e32 v1, v0, v2
	ds_store_2addr_b64 v19, v[3:4], v[5:6] offset0:8 offset1:9
	ds_store_2addr_b64 v22, v[38:39], v[0:1] offset0:2 offset1:3
	s_waitcnt lgkmcnt(0)
	s_barrier
	buffer_gl0_inv
	ds_load_b32 v0, v34
	ds_load_b32 v1, v37
	;; [unrolled: 1-line block ×3, first 2 shown]
	v_lshlrev_b32_e32 v3, 3, v30
	v_lshlrev_b32_e32 v4, 3, v33
	v_lshlrev_b32_e32 v5, 3, v32
	v_lshlrev_b32_e32 v30, 3, v36
	v_lshlrev_b32_e32 v31, 3, v35
	s_waitcnt lgkmcnt(0)
	v_lshlrev_b32_e32 v0, 3, v0
	v_lshlrev_b32_e32 v1, 3, v1
	v_lshl_add_u32 v6, v2, 3, v3
	s_delay_alu instid0(VALU_DEP_3) | instskip(NEXT) | instid1(VALU_DEP_3)
	v_add3_u32 v7, v4, v5, v0
	v_add3_u32 v30, v30, v31, v1
	s_cbranch_scc0 .LBB186_3
; %bb.17:                               ;   in Loop: Header=BB186_2 Depth=1
                                        ; implicit-def: $sgpr20
                                        ; implicit-def: $vgpr0_vgpr1
                                        ; implicit-def: $vgpr4_vgpr5
                                        ; implicit-def: $sgpr17
                                        ; implicit-def: $sgpr16
	s_branch .LBB186_1
.LBB186_18:
	v_lshlrev_b32_e32 v0, 3, v8
	s_add_u32 s0, s18, s14
	s_addc_u32 s1, s19, s15
	s_delay_alu instid0(VALU_DEP_1) | instskip(NEXT) | instid1(VALU_DEP_1)
	v_add_co_u32 v7, s2, s0, v0
	v_add_co_ci_u32_e64 v8, null, s1, 0, s2
	s_delay_alu instid0(VALU_DEP_2) | instskip(NEXT) | instid1(VALU_DEP_2)
	v_add_co_u32 v7, vcc_lo, v7, 0x2000
	v_add_co_ci_u32_e32 v8, vcc_lo, 0, v8, vcc_lo
	s_clause 0x2
	global_store_b64 v0, v[1:2], s[0:1]
	global_store_b64 v[7:8], v[3:4], off offset:-4096
	global_store_b64 v[7:8], v[5:6], off
	s_nop 0
	s_sendmsg sendmsg(MSG_DEALLOC_VGPRS)
	s_endpgm
	.section	.rodata,"a",@progbits
	.p2align	6, 0x0
	.amdhsa_kernel _Z16sort_keys_kernelI22helper_blocked_blockedN15benchmark_utils11custom_typeIiiEELj512ELj3ELj10EEvPKT0_PS4_
		.amdhsa_group_segment_fixed_size 16448
		.amdhsa_private_segment_fixed_size 0
		.amdhsa_kernarg_size 272
		.amdhsa_user_sgpr_count 15
		.amdhsa_user_sgpr_dispatch_ptr 0
		.amdhsa_user_sgpr_queue_ptr 0
		.amdhsa_user_sgpr_kernarg_segment_ptr 1
		.amdhsa_user_sgpr_dispatch_id 0
		.amdhsa_user_sgpr_private_segment_size 0
		.amdhsa_wavefront_size32 1
		.amdhsa_uses_dynamic_stack 0
		.amdhsa_enable_private_segment 0
		.amdhsa_system_sgpr_workgroup_id_x 1
		.amdhsa_system_sgpr_workgroup_id_y 0
		.amdhsa_system_sgpr_workgroup_id_z 0
		.amdhsa_system_sgpr_workgroup_info 0
		.amdhsa_system_vgpr_workitem_id 2
		.amdhsa_next_free_vgpr 40
		.amdhsa_next_free_sgpr 25
		.amdhsa_reserve_vcc 1
		.amdhsa_float_round_mode_32 0
		.amdhsa_float_round_mode_16_64 0
		.amdhsa_float_denorm_mode_32 3
		.amdhsa_float_denorm_mode_16_64 3
		.amdhsa_dx10_clamp 1
		.amdhsa_ieee_mode 1
		.amdhsa_fp16_overflow 0
		.amdhsa_workgroup_processor_mode 1
		.amdhsa_memory_ordered 1
		.amdhsa_forward_progress 0
		.amdhsa_shared_vgpr_count 0
		.amdhsa_exception_fp_ieee_invalid_op 0
		.amdhsa_exception_fp_denorm_src 0
		.amdhsa_exception_fp_ieee_div_zero 0
		.amdhsa_exception_fp_ieee_overflow 0
		.amdhsa_exception_fp_ieee_underflow 0
		.amdhsa_exception_fp_ieee_inexact 0
		.amdhsa_exception_int_div_zero 0
	.end_amdhsa_kernel
	.section	.text._Z16sort_keys_kernelI22helper_blocked_blockedN15benchmark_utils11custom_typeIiiEELj512ELj3ELj10EEvPKT0_PS4_,"axG",@progbits,_Z16sort_keys_kernelI22helper_blocked_blockedN15benchmark_utils11custom_typeIiiEELj512ELj3ELj10EEvPKT0_PS4_,comdat
.Lfunc_end186:
	.size	_Z16sort_keys_kernelI22helper_blocked_blockedN15benchmark_utils11custom_typeIiiEELj512ELj3ELj10EEvPKT0_PS4_, .Lfunc_end186-_Z16sort_keys_kernelI22helper_blocked_blockedN15benchmark_utils11custom_typeIiiEELj512ELj3ELj10EEvPKT0_PS4_
                                        ; -- End function
	.section	.AMDGPU.csdata,"",@progbits
; Kernel info:
; codeLenInByte = 2776
; NumSgprs: 27
; NumVgprs: 40
; ScratchSize: 0
; MemoryBound: 0
; FloatMode: 240
; IeeeMode: 1
; LDSByteSize: 16448 bytes/workgroup (compile time only)
; SGPRBlocks: 3
; VGPRBlocks: 4
; NumSGPRsForWavesPerEU: 27
; NumVGPRsForWavesPerEU: 40
; Occupancy: 16
; WaveLimiterHint : 1
; COMPUTE_PGM_RSRC2:SCRATCH_EN: 0
; COMPUTE_PGM_RSRC2:USER_SGPR: 15
; COMPUTE_PGM_RSRC2:TRAP_HANDLER: 0
; COMPUTE_PGM_RSRC2:TGID_X_EN: 1
; COMPUTE_PGM_RSRC2:TGID_Y_EN: 0
; COMPUTE_PGM_RSRC2:TGID_Z_EN: 0
; COMPUTE_PGM_RSRC2:TIDIG_COMP_CNT: 2
	.section	.text._Z17sort_pairs_kernelI22helper_blocked_blockedN15benchmark_utils11custom_typeIiiEELj512ELj3ELj10EEvPKT0_PS4_,"axG",@progbits,_Z17sort_pairs_kernelI22helper_blocked_blockedN15benchmark_utils11custom_typeIiiEELj512ELj3ELj10EEvPKT0_PS4_,comdat
	.protected	_Z17sort_pairs_kernelI22helper_blocked_blockedN15benchmark_utils11custom_typeIiiEELj512ELj3ELj10EEvPKT0_PS4_ ; -- Begin function _Z17sort_pairs_kernelI22helper_blocked_blockedN15benchmark_utils11custom_typeIiiEELj512ELj3ELj10EEvPKT0_PS4_
	.globl	_Z17sort_pairs_kernelI22helper_blocked_blockedN15benchmark_utils11custom_typeIiiEELj512ELj3ELj10EEvPKT0_PS4_
	.p2align	8
	.type	_Z17sort_pairs_kernelI22helper_blocked_blockedN15benchmark_utils11custom_typeIiiEELj512ELj3ELj10EEvPKT0_PS4_,@function
_Z17sort_pairs_kernelI22helper_blocked_blockedN15benchmark_utils11custom_typeIiiEELj512ELj3ELj10EEvPKT0_PS4_: ; @_Z17sort_pairs_kernelI22helper_blocked_blockedN15benchmark_utils11custom_typeIiiEELj512ELj3ELj10EEvPKT0_PS4_
; %bb.0:
	s_clause 0x1
	s_load_b128 s[16:19], s[0:1], 0x0
	s_load_b32 s9, s[0:1], 0x1c
	s_mov_b32 s13, 0
	s_mul_i32 s12, s15, 0x600
	v_mbcnt_lo_u32_b32 v5, -1, 0
	s_lshl_b64 s[14:15], s[12:13], 3
	s_mov_b32 s12, s13
	v_and_b32_e32 v8, 0x3ff, v0
	s_delay_alu instid0(VALU_DEP_2) | instskip(SKIP_2) | instid1(VALU_DEP_4)
	v_add_nc_u32_e32 v7, -1, v5
	v_and_b32_e32 v6, 16, v5
	v_and_b32_e32 v4, 15, v5
	v_lshlrev_b32_e32 v3, 3, v8
	v_lshrrev_b32_e32 v9, 5, v8
	s_delay_alu instid0(VALU_DEP_4) | instskip(NEXT) | instid1(VALU_DEP_4)
	v_cmp_eq_u32_e64 s5, 0, v6
	v_cmp_lt_u32_e64 s3, 3, v4
	v_cmp_lt_u32_e64 s4, 7, v4
	s_delay_alu instid0(VALU_DEP_4)
	v_mul_u32_u24_e32 v10, 0x60, v9
	v_lshlrev_b32_e32 v30, 2, v9
	s_waitcnt lgkmcnt(0)
	s_add_u32 s0, s16, s14
	s_addc_u32 s1, s17, s15
	v_add_co_u32 v1, s2, s0, v3
	s_delay_alu instid0(VALU_DEP_1) | instskip(SKIP_1) | instid1(VALU_DEP_2)
	v_add_co_ci_u32_e64 v2, null, s1, 0, s2
	s_lshr_b32 s10, s9, 16
	v_add_co_u32 v1, vcc_lo, v1, 0x2000
	s_delay_alu instid0(VALU_DEP_2)
	v_add_co_ci_u32_e32 v2, vcc_lo, 0, v2, vcc_lo
	v_cmp_gt_i32_e32 vcc_lo, 0, v7
	v_cmp_lt_u32_e64 s2, 1, v4
	v_lshlrev_b32_e32 v9, 3, v10
	v_or_b32_e32 v10, v5, v10
	s_and_b32 s9, s9, 0xffff
	v_cndmask_b32_e32 v6, v7, v5, vcc_lo
	s_clause 0x2
	global_load_b64 v[13:14], v3, s[0:1]
	global_load_b64 v[11:12], v[1:2], off offset:-4096
	global_load_b64 v[1:2], v[1:2], off
	v_bfe_u32 v3, v0, 10, 10
	v_bfe_u32 v0, v0, 20, 10
	v_cmp_eq_u32_e64 s1, 0, v4
	v_and_b32_e32 v4, 0x1e0, v8
	v_lshlrev_b32_e32 v29, 2, v6
	v_mad_u32_u24 v34, v5, 24, v9
	v_mad_u32_u24 v0, v0, s10, v3
	v_lshlrev_b32_e32 v35, 3, v10
	v_or_b32_e32 v15, 31, v4
	v_mul_u32_u24_e32 v6, 3, v4
	v_cmp_eq_u32_e64 s0, 0, v5
	v_mad_u64_u32 v[3:4], null, v0, s9, v[8:9]
	v_mov_b32_e32 v9, s12
	v_lshlrev_b32_e32 v27, 5, v8
	v_mul_u32_u24_e32 v7, 20, v8
	v_or_b32_e32 v0, v5, v6
	v_cmp_gt_u32_e64 s6, 16, v8
	v_cmp_lt_u32_e64 s7, 31, v8
	v_mad_i32_i24 v31, 0xffffffe4, v8, v27
	v_cmp_eq_u32_e64 s8, 0, v8
	v_add_nc_u32_e32 v28, 64, v27
	v_cmp_eq_u32_e64 s9, v15, v8
	v_add_nc_u32_e32 v32, -4, v30
	v_add_nc_u32_e32 v33, v31, v7
	v_lshlrev_b32_e32 v36, 3, v0
	v_lshrrev_b32_e32 v37, 5, v3
	v_mov_b32_e32 v10, s13
	s_mov_b32 s16, s13
	s_mov_b32 s17, s13
	s_waitcnt vmcnt(2)
	v_add_nc_u32_e32 v5, 1, v14
	v_add_nc_u32_e32 v4, 1, v13
	s_waitcnt vmcnt(1)
	v_add_nc_u32_e32 v7, 1, v12
	v_add_nc_u32_e32 v6, 1, v11
	;; [unrolled: 3-line block ×3, first 2 shown]
	s_branch .LBB187_2
.LBB187_1:                              ;   in Loop: Header=BB187_2 Depth=1
	s_barrier
	buffer_gl0_inv
	ds_store_b64 v38, v[11:12]
	ds_store_b64 v39, v[21:22]
	ds_store_b64 v40, v[19:20]
	s_waitcnt lgkmcnt(0)
	s_barrier
	buffer_gl0_inv
	ds_load_2addr_b64 v[0:3], v33 offset1:1
	ds_load_b64 v[19:20], v33 offset:16
	s_waitcnt lgkmcnt(0)
	s_barrier
	buffer_gl0_inv
	ds_store_b64 v38, v[17:18]
	ds_store_b64 v39, v[15:16]
	;; [unrolled: 1-line block ×3, first 2 shown]
	s_waitcnt lgkmcnt(0)
	s_barrier
	buffer_gl0_inv
	ds_load_2addr_b64 v[4:7], v33 offset1:1
	ds_load_b64 v[15:16], v33 offset:16
	s_add_i32 s13, s13, 1
	s_delay_alu instid0(SALU_CYCLE_1)
	s_cmp_lg_u32 s13, 10
	v_xor_b32_e32 v13, 0x80000000, v0
	v_xor_b32_e32 v14, 0x80000000, v1
	;; [unrolled: 1-line block ×6, first 2 shown]
	s_cbranch_scc0 .LBB187_18
.LBB187_2:                              ; =>This Loop Header: Depth=1
                                        ;     Child Loop BB187_4 Depth 2
	v_xor_b32_e32 v14, 0x80000000, v14
	v_xor_b32_e32 v13, 0x80000000, v13
	;; [unrolled: 1-line block ×6, first 2 shown]
	ds_store_2addr_b64 v34, v[13:14], v[11:12] offset1:1
	ds_store_b64 v34, v[1:2] offset:16
	; wave barrier
	ds_load_2addr_b64 v[0:3], v35 offset1:32
	ds_load_b64 v[23:24], v35 offset:512
	; wave barrier
	s_waitcnt lgkmcnt(5)
	ds_store_2addr_b64 v34, v[4:5], v[6:7] offset1:1
	s_waitcnt lgkmcnt(5)
	ds_store_b64 v34, v[15:16] offset:16
	; wave barrier
	ds_load_2addr_b64 v[4:7], v35 offset1:32
	ds_load_b64 v[25:26], v35 offset:512
	s_mov_b32 s20, 8
	s_mov_b32 s21, 32
	s_mov_b32 s22, 0
	s_waitcnt lgkmcnt(0)
	s_barrier
	s_branch .LBB187_4
.LBB187_3:                              ;   in Loop: Header=BB187_4 Depth=2
	s_barrier
	buffer_gl0_inv
	ds_store_b64 v38, v[11:12]
	ds_store_b64 v39, v[21:22]
	;; [unrolled: 1-line block ×3, first 2 shown]
	s_waitcnt lgkmcnt(0)
	s_barrier
	buffer_gl0_inv
	ds_load_2addr_b64 v[0:3], v36 offset1:32
	ds_load_b64 v[23:24], v36 offset:512
	s_waitcnt lgkmcnt(0)
	s_barrier
	buffer_gl0_inv
	ds_store_b64 v38, v[17:18]
	ds_store_b64 v39, v[15:16]
	ds_store_b64 v40, v[13:14]
	s_waitcnt lgkmcnt(0)
	s_barrier
	buffer_gl0_inv
	ds_load_2addr_b64 v[4:7], v36 offset1:32
	ds_load_b64 v[25:26], v36 offset:512
	s_add_i32 s21, s21, -8
	s_add_i32 s20, s20, 8
	s_add_i32 s22, s22, 8
	s_waitcnt lgkmcnt(0)
	s_barrier
	s_cbranch_execz .LBB187_1
.LBB187_4:                              ;   Parent Loop BB187_2 Depth=1
                                        ; =>  This Inner Loop Header: Depth=2
	s_min_i32 s11, s20, 32
	s_cmp_lt_u32 s22, 32
	v_dual_mov_b32 v12, v1 :: v_dual_mov_b32 v11, v0
	s_cselect_b32 vcc_lo, -1, 0
	s_cmp_gt_u32 s22, 24
	buffer_gl0_inv
	s_cselect_b32 s10, -1, 0
	s_sub_i32 s11, s11, 32
	v_lshrrev_b32_e32 v1, s22, v12
	s_add_i32 s12, s11, s21
	v_mov_b32_e32 v22, v3
	s_lshl_b32 s12, -1, s12
	v_mov_b32_e32 v21, v2
	s_not_b32 s12, s12
	s_cmp_lg_u32 s11, s22
	s_cselect_b32 s23, s12, -1
	s_max_i32 s24, s21, 0
	s_max_i32 s11, s22, 32
	v_and_b32_e32 v1, s23, v1
	s_sub_i32 s12, s11, s24
	s_sub_i32 s25, s11, 32
	;; [unrolled: 1-line block ×3, first 2 shown]
	v_lshrrev_b32_e32 v0, s25, v11
	s_min_i32 s11, s12, 32
	v_cndmask_b32_e32 v1, 0, v1, vcc_lo
	s_sub_i32 s11, s11, s25
	s_delay_alu instid0(SALU_CYCLE_1) | instskip(NEXT) | instid1(SALU_CYCLE_1)
	s_lshl_b32 s12, -1, s11
	s_not_b32 s12, s12
	s_cmp_lg_u32 s11, 32
	s_cselect_b32 s26, s12, -1
	s_delay_alu instid0(SALU_CYCLE_1) | instskip(NEXT) | instid1(VALU_DEP_1)
	v_and_b32_e32 v0, s26, v0
	v_lshlrev_b32_e32 v0, s24, v0
	s_delay_alu instid0(VALU_DEP_1) | instskip(NEXT) | instid1(VALU_DEP_1)
	v_cndmask_b32_e64 v0, 0, v0, s10
	v_or_b32_e32 v1, v1, v0
	s_delay_alu instid0(VALU_DEP_1)
	v_and_b32_e32 v0, 1, v1
	v_lshlrev_b32_e32 v13, 30, v1
	v_lshlrev_b32_e32 v14, 29, v1
	;; [unrolled: 1-line block ×4, first 2 shown]
	v_add_co_u32 v0, s11, v0, -1
	s_delay_alu instid0(VALU_DEP_1)
	v_cndmask_b32_e64 v16, 0, 1, s11
	v_not_b32_e32 v20, v13
	v_cmp_gt_i32_e64 s12, 0, v13
	v_not_b32_e32 v13, v14
	v_lshlrev_b32_e32 v18, 26, v1
	v_cmp_ne_u32_e64 s11, 0, v16
	v_ashrrev_i32_e32 v20, 31, v20
	v_lshlrev_b32_e32 v19, 25, v1
	v_ashrrev_i32_e32 v13, 31, v13
	v_lshlrev_b32_e32 v16, 24, v1
	v_xor_b32_e32 v0, s11, v0
	v_cmp_gt_i32_e64 s11, 0, v14
	v_not_b32_e32 v14, v15
	v_xor_b32_e32 v20, s12, v20
	v_cmp_gt_i32_e64 s12, 0, v15
	v_and_b32_e32 v0, exec_lo, v0
	v_not_b32_e32 v15, v17
	v_ashrrev_i32_e32 v14, 31, v14
	v_xor_b32_e32 v13, s11, v13
	v_cmp_gt_i32_e64 s11, 0, v17
	v_and_b32_e32 v0, v0, v20
	v_not_b32_e32 v17, v18
	v_ashrrev_i32_e32 v15, 31, v15
	v_xor_b32_e32 v14, s12, v14
	v_cmp_gt_i32_e64 s12, 0, v18
	v_and_b32_e32 v0, v0, v13
	;; [unrolled: 5-line block ×4, first 2 shown]
	v_ashrrev_i32_e32 v14, 31, v14
	v_xor_b32_e32 v13, s11, v13
	v_lshl_add_u32 v1, v1, 4, v37
	v_mov_b32_e32 v16, v7
	v_and_b32_e32 v0, v0, v17
	v_xor_b32_e32 v19, s12, v14
	v_dual_mov_b32 v18, v5 :: v_dual_mov_b32 v17, v4
	v_mov_b32_e32 v4, s16
	s_delay_alu instid0(VALU_DEP_4) | instskip(SKIP_2) | instid1(VALU_DEP_3)
	v_dual_mov_b32 v13, v25 :: v_dual_and_b32 v0, v0, v13
	v_mov_b32_e32 v15, v6
	v_dual_mov_b32 v14, v26 :: v_dual_mov_b32 v5, s17
	v_dual_mov_b32 v19, v23 :: v_dual_and_b32 v0, v0, v19
	v_mov_b32_e32 v20, v24
	v_lshl_add_u32 v24, v1, 2, 64
	ds_store_2addr_b64 v27, v[9:10], v[4:5] offset0:8 offset1:9
	ds_store_2addr_b64 v28, v[9:10], v[4:5] offset0:2 offset1:3
	v_mbcnt_lo_u32_b32 v23, v0, 0
	v_cmp_ne_u32_e64 s12, 0, v0
	s_waitcnt lgkmcnt(0)
	s_barrier
	buffer_gl0_inv
	v_cmp_eq_u32_e64 s11, 0, v23
	; wave barrier
	s_delay_alu instid0(VALU_DEP_1) | instskip(NEXT) | instid1(SALU_CYCLE_1)
	s_and_b32 s12, s11, s12
	s_and_saveexec_b32 s11, s12
	s_cbranch_execz .LBB187_6
; %bb.5:                                ;   in Loop: Header=BB187_4 Depth=2
	v_bcnt_u32_b32 v0, v0, 0
	ds_store_b32 v24, v0
.LBB187_6:                              ;   in Loop: Header=BB187_4 Depth=2
	s_or_b32 exec_lo, exec_lo, s11
	v_lshrrev_b32_e32 v0, s25, v21
	v_lshrrev_b32_e32 v1, s22, v22
	; wave barrier
	s_delay_alu instid0(VALU_DEP_1) | instskip(NEXT) | instid1(VALU_DEP_1)
	v_and_b32_e32 v1, s23, v1
	v_dual_cndmask_b32 v1, 0, v1 :: v_dual_and_b32 v0, s26, v0
	s_delay_alu instid0(VALU_DEP_1) | instskip(NEXT) | instid1(VALU_DEP_1)
	v_lshlrev_b32_e32 v0, s24, v0
	v_cndmask_b32_e64 v0, 0, v0, s10
	s_delay_alu instid0(VALU_DEP_1) | instskip(NEXT) | instid1(VALU_DEP_1)
	v_or_b32_e32 v0, v1, v0
	v_and_b32_e32 v1, 1, v0
	v_lshlrev_b32_e32 v2, 30, v0
	v_lshlrev_b32_e32 v3, 29, v0
	;; [unrolled: 1-line block ×4, first 2 shown]
	v_add_co_u32 v1, s11, v1, -1
	s_delay_alu instid0(VALU_DEP_1)
	v_cndmask_b32_e64 v5, 0, 1, s11
	v_not_b32_e32 v26, v2
	v_cmp_gt_i32_e64 s12, 0, v2
	v_not_b32_e32 v2, v3
	v_lshlrev_b32_e32 v7, 26, v0
	v_cmp_ne_u32_e64 s11, 0, v5
	v_ashrrev_i32_e32 v26, 31, v26
	v_lshlrev_b32_e32 v25, 25, v0
	v_ashrrev_i32_e32 v2, 31, v2
	v_lshlrev_b32_e32 v5, 24, v0
	v_xor_b32_e32 v1, s11, v1
	v_cmp_gt_i32_e64 s11, 0, v3
	v_not_b32_e32 v3, v4
	v_xor_b32_e32 v26, s12, v26
	v_cmp_gt_i32_e64 s12, 0, v4
	v_and_b32_e32 v1, exec_lo, v1
	v_not_b32_e32 v4, v6
	v_ashrrev_i32_e32 v3, 31, v3
	v_xor_b32_e32 v2, s11, v2
	v_cmp_gt_i32_e64 s11, 0, v6
	v_and_b32_e32 v1, v1, v26
	v_not_b32_e32 v6, v7
	v_ashrrev_i32_e32 v4, 31, v4
	v_xor_b32_e32 v3, s12, v3
	v_cmp_gt_i32_e64 s12, 0, v7
	v_and_b32_e32 v1, v1, v2
	;; [unrolled: 5-line block ×3, first 2 shown]
	v_not_b32_e32 v3, v5
	v_ashrrev_i32_e32 v2, 31, v2
	v_xor_b32_e32 v6, s12, v6
	v_lshlrev_b32_e32 v0, 4, v0
	v_and_b32_e32 v1, v1, v4
	v_cmp_gt_i32_e64 s12, 0, v5
	v_ashrrev_i32_e32 v3, 31, v3
	v_xor_b32_e32 v2, s11, v2
	v_add_lshl_u32 v4, v0, v37, 2
	v_and_b32_e32 v1, v1, v6
	s_delay_alu instid0(VALU_DEP_4) | instskip(SKIP_3) | instid1(VALU_DEP_2)
	v_xor_b32_e32 v0, s12, v3
	ds_load_b32 v25, v4 offset:64
	v_and_b32_e32 v1, v1, v2
	v_add_nc_u32_e32 v38, 64, v4
	; wave barrier
	v_and_b32_e32 v0, v1, v0
	s_delay_alu instid0(VALU_DEP_1) | instskip(SKIP_1) | instid1(VALU_DEP_2)
	v_mbcnt_lo_u32_b32 v26, v0, 0
	v_cmp_ne_u32_e64 s12, 0, v0
	v_cmp_eq_u32_e64 s11, 0, v26
	s_delay_alu instid0(VALU_DEP_1) | instskip(NEXT) | instid1(SALU_CYCLE_1)
	s_and_b32 s12, s11, s12
	s_and_saveexec_b32 s11, s12
	s_cbranch_execz .LBB187_8
; %bb.7:                                ;   in Loop: Header=BB187_4 Depth=2
	s_waitcnt lgkmcnt(0)
	v_bcnt_u32_b32 v0, v0, v25
	ds_store_b32 v38, v0
.LBB187_8:                              ;   in Loop: Header=BB187_4 Depth=2
	s_or_b32 exec_lo, exec_lo, s11
	v_lshrrev_b32_e32 v0, s25, v19
	v_lshrrev_b32_e32 v1, s22, v20
	; wave barrier
	s_delay_alu instid0(VALU_DEP_1) | instskip(NEXT) | instid1(VALU_DEP_1)
	v_and_b32_e32 v1, s23, v1
	v_dual_cndmask_b32 v1, 0, v1 :: v_dual_and_b32 v0, s26, v0
	s_delay_alu instid0(VALU_DEP_1) | instskip(NEXT) | instid1(VALU_DEP_1)
	v_lshlrev_b32_e32 v0, s24, v0
	v_cndmask_b32_e64 v0, 0, v0, s10
	s_delay_alu instid0(VALU_DEP_1) | instskip(NEXT) | instid1(VALU_DEP_1)
	v_or_b32_e32 v0, v1, v0
	v_and_b32_e32 v1, 1, v0
	v_lshlrev_b32_e32 v2, 30, v0
	v_lshlrev_b32_e32 v3, 29, v0
	;; [unrolled: 1-line block ×4, first 2 shown]
	v_add_co_u32 v1, s10, v1, -1
	s_delay_alu instid0(VALU_DEP_1)
	v_cndmask_b32_e64 v5, 0, 1, s10
	v_not_b32_e32 v40, v2
	v_cmp_gt_i32_e64 s10, 0, v2
	v_not_b32_e32 v2, v3
	v_lshlrev_b32_e32 v7, 26, v0
	v_cmp_ne_u32_e32 vcc_lo, 0, v5
	v_ashrrev_i32_e32 v40, 31, v40
	v_lshlrev_b32_e32 v39, 25, v0
	v_ashrrev_i32_e32 v2, 31, v2
	v_lshlrev_b32_e32 v5, 24, v0
	v_xor_b32_e32 v1, vcc_lo, v1
	v_cmp_gt_i32_e32 vcc_lo, 0, v3
	v_not_b32_e32 v3, v4
	v_xor_b32_e32 v40, s10, v40
	v_cmp_gt_i32_e64 s10, 0, v4
	v_and_b32_e32 v1, exec_lo, v1
	v_not_b32_e32 v4, v6
	v_ashrrev_i32_e32 v3, 31, v3
	v_xor_b32_e32 v2, vcc_lo, v2
	v_cmp_gt_i32_e32 vcc_lo, 0, v6
	v_and_b32_e32 v1, v1, v40
	v_not_b32_e32 v6, v7
	v_ashrrev_i32_e32 v4, 31, v4
	v_xor_b32_e32 v3, s10, v3
	v_cmp_gt_i32_e64 s10, 0, v7
	v_and_b32_e32 v1, v1, v2
	v_not_b32_e32 v2, v39
	v_ashrrev_i32_e32 v6, 31, v6
	v_xor_b32_e32 v4, vcc_lo, v4
	v_cmp_gt_i32_e32 vcc_lo, 0, v39
	v_and_b32_e32 v1, v1, v3
	v_not_b32_e32 v3, v5
	v_ashrrev_i32_e32 v2, 31, v2
	v_xor_b32_e32 v6, s10, v6
	v_lshlrev_b32_e32 v0, 4, v0
	v_and_b32_e32 v1, v1, v4
	v_cmp_gt_i32_e64 s10, 0, v5
	v_ashrrev_i32_e32 v3, 31, v3
	v_xor_b32_e32 v2, vcc_lo, v2
	v_add_lshl_u32 v4, v0, v37, 2
	v_and_b32_e32 v1, v1, v6
	s_delay_alu instid0(VALU_DEP_4) | instskip(SKIP_3) | instid1(VALU_DEP_2)
	v_xor_b32_e32 v0, s10, v3
	ds_load_b32 v39, v4 offset:64
	v_and_b32_e32 v1, v1, v2
	v_add_nc_u32_e32 v41, 64, v4
	; wave barrier
	v_and_b32_e32 v0, v1, v0
	s_delay_alu instid0(VALU_DEP_1) | instskip(SKIP_1) | instid1(VALU_DEP_2)
	v_mbcnt_lo_u32_b32 v40, v0, 0
	v_cmp_ne_u32_e64 s10, 0, v0
	v_cmp_eq_u32_e32 vcc_lo, 0, v40
	s_delay_alu instid0(VALU_DEP_2) | instskip(NEXT) | instid1(SALU_CYCLE_1)
	s_and_b32 s11, vcc_lo, s10
	s_and_saveexec_b32 s10, s11
	s_cbranch_execz .LBB187_10
; %bb.9:                                ;   in Loop: Header=BB187_4 Depth=2
	s_waitcnt lgkmcnt(0)
	v_bcnt_u32_b32 v0, v0, v39
	ds_store_b32 v41, v0
.LBB187_10:                             ;   in Loop: Header=BB187_4 Depth=2
	s_or_b32 exec_lo, exec_lo, s10
	; wave barrier
	s_waitcnt lgkmcnt(0)
	s_barrier
	buffer_gl0_inv
	ds_load_2addr_b64 v[4:7], v27 offset0:8 offset1:9
	ds_load_2addr_b64 v[0:3], v28 offset0:2 offset1:3
	s_waitcnt lgkmcnt(1)
	v_add_nc_u32_e32 v42, v5, v4
	s_delay_alu instid0(VALU_DEP_1) | instskip(SKIP_1) | instid1(VALU_DEP_1)
	v_add3_u32 v42, v42, v6, v7
	s_waitcnt lgkmcnt(0)
	v_add3_u32 v42, v42, v0, v1
	s_delay_alu instid0(VALU_DEP_1) | instskip(NEXT) | instid1(VALU_DEP_1)
	v_add3_u32 v3, v42, v2, v3
	v_mov_b32_dpp v42, v3 row_shr:1 row_mask:0xf bank_mask:0xf
	s_delay_alu instid0(VALU_DEP_1) | instskip(NEXT) | instid1(VALU_DEP_1)
	v_cndmask_b32_e64 v42, v42, 0, s1
	v_add_nc_u32_e32 v3, v42, v3
	s_delay_alu instid0(VALU_DEP_1) | instskip(NEXT) | instid1(VALU_DEP_1)
	v_mov_b32_dpp v42, v3 row_shr:2 row_mask:0xf bank_mask:0xf
	v_cndmask_b32_e64 v42, 0, v42, s2
	s_delay_alu instid0(VALU_DEP_1) | instskip(NEXT) | instid1(VALU_DEP_1)
	v_add_nc_u32_e32 v3, v3, v42
	v_mov_b32_dpp v42, v3 row_shr:4 row_mask:0xf bank_mask:0xf
	s_delay_alu instid0(VALU_DEP_1) | instskip(NEXT) | instid1(VALU_DEP_1)
	v_cndmask_b32_e64 v42, 0, v42, s3
	v_add_nc_u32_e32 v3, v3, v42
	s_delay_alu instid0(VALU_DEP_1) | instskip(NEXT) | instid1(VALU_DEP_1)
	v_mov_b32_dpp v42, v3 row_shr:8 row_mask:0xf bank_mask:0xf
	v_cndmask_b32_e64 v42, 0, v42, s4
	s_delay_alu instid0(VALU_DEP_1) | instskip(SKIP_3) | instid1(VALU_DEP_1)
	v_add_nc_u32_e32 v3, v3, v42
	ds_swizzle_b32 v42, v3 offset:swizzle(BROADCAST,32,15)
	s_waitcnt lgkmcnt(0)
	v_cndmask_b32_e64 v42, v42, 0, s5
	v_add_nc_u32_e32 v3, v3, v42
	s_and_saveexec_b32 s10, s9
	s_cbranch_execz .LBB187_12
; %bb.11:                               ;   in Loop: Header=BB187_4 Depth=2
	ds_store_b32 v30, v3
.LBB187_12:                             ;   in Loop: Header=BB187_4 Depth=2
	s_or_b32 exec_lo, exec_lo, s10
	s_waitcnt lgkmcnt(0)
	s_barrier
	buffer_gl0_inv
	s_and_saveexec_b32 s10, s6
	s_cbranch_execz .LBB187_14
; %bb.13:                               ;   in Loop: Header=BB187_4 Depth=2
	ds_load_b32 v42, v31
	s_waitcnt lgkmcnt(0)
	v_mov_b32_dpp v43, v42 row_shr:1 row_mask:0xf bank_mask:0xf
	s_delay_alu instid0(VALU_DEP_1) | instskip(NEXT) | instid1(VALU_DEP_1)
	v_cndmask_b32_e64 v43, v43, 0, s1
	v_add_nc_u32_e32 v42, v43, v42
	s_delay_alu instid0(VALU_DEP_1) | instskip(NEXT) | instid1(VALU_DEP_1)
	v_mov_b32_dpp v43, v42 row_shr:2 row_mask:0xf bank_mask:0xf
	v_cndmask_b32_e64 v43, 0, v43, s2
	s_delay_alu instid0(VALU_DEP_1) | instskip(NEXT) | instid1(VALU_DEP_1)
	v_add_nc_u32_e32 v42, v42, v43
	v_mov_b32_dpp v43, v42 row_shr:4 row_mask:0xf bank_mask:0xf
	s_delay_alu instid0(VALU_DEP_1) | instskip(NEXT) | instid1(VALU_DEP_1)
	v_cndmask_b32_e64 v43, 0, v43, s3
	v_add_nc_u32_e32 v42, v42, v43
	s_delay_alu instid0(VALU_DEP_1) | instskip(NEXT) | instid1(VALU_DEP_1)
	v_mov_b32_dpp v43, v42 row_shr:8 row_mask:0xf bank_mask:0xf
	v_cndmask_b32_e64 v43, 0, v43, s4
	s_delay_alu instid0(VALU_DEP_1)
	v_add_nc_u32_e32 v42, v42, v43
	ds_store_b32 v31, v42
.LBB187_14:                             ;   in Loop: Header=BB187_4 Depth=2
	s_or_b32 exec_lo, exec_lo, s10
	v_mov_b32_e32 v42, 0
	s_waitcnt lgkmcnt(0)
	s_barrier
	buffer_gl0_inv
	s_and_saveexec_b32 s10, s7
	s_cbranch_execz .LBB187_16
; %bb.15:                               ;   in Loop: Header=BB187_4 Depth=2
	ds_load_b32 v42, v32
.LBB187_16:                             ;   in Loop: Header=BB187_4 Depth=2
	s_or_b32 exec_lo, exec_lo, s10
	s_waitcnt lgkmcnt(0)
	v_add_nc_u32_e32 v3, v42, v3
	s_cmp_gt_u32 s22, 55
	ds_bpermute_b32 v3, v29, v3
	s_waitcnt lgkmcnt(0)
	v_cndmask_b32_e64 v3, v3, v42, s0
	s_delay_alu instid0(VALU_DEP_1) | instskip(NEXT) | instid1(VALU_DEP_1)
	v_cndmask_b32_e64 v3, v3, 0, s8
	v_add_nc_u32_e32 v4, v3, v4
	s_delay_alu instid0(VALU_DEP_1) | instskip(NEXT) | instid1(VALU_DEP_1)
	v_add_nc_u32_e32 v5, v4, v5
	v_add_nc_u32_e32 v6, v5, v6
	s_delay_alu instid0(VALU_DEP_1) | instskip(SKIP_1) | instid1(VALU_DEP_2)
	v_add_nc_u32_e32 v42, v6, v7
	v_lshlrev_b32_e32 v7, 3, v39
	v_add_nc_u32_e32 v43, v42, v0
	s_delay_alu instid0(VALU_DEP_1) | instskip(NEXT) | instid1(VALU_DEP_1)
	v_add_nc_u32_e32 v0, v43, v1
	v_add_nc_u32_e32 v1, v0, v2
	ds_store_2addr_b64 v27, v[3:4], v[5:6] offset0:8 offset1:9
	ds_store_2addr_b64 v28, v[42:43], v[0:1] offset0:2 offset1:3
	s_waitcnt lgkmcnt(0)
	s_barrier
	buffer_gl0_inv
	ds_load_b32 v0, v38
	ds_load_b32 v1, v41
	;; [unrolled: 1-line block ×3, first 2 shown]
	v_lshlrev_b32_e32 v3, 3, v23
	v_lshlrev_b32_e32 v4, 3, v26
	;; [unrolled: 1-line block ×4, first 2 shown]
	s_waitcnt lgkmcnt(0)
	v_lshlrev_b32_e32 v0, 3, v0
	v_lshlrev_b32_e32 v1, 3, v1
	v_lshl_add_u32 v38, v2, 3, v3
	s_delay_alu instid0(VALU_DEP_3) | instskip(NEXT) | instid1(VALU_DEP_3)
	v_add3_u32 v39, v4, v5, v0
	v_add3_u32 v40, v6, v7, v1
	s_cbranch_scc0 .LBB187_3
; %bb.17:                               ;   in Loop: Header=BB187_2 Depth=1
                                        ; implicit-def: $sgpr22
                                        ; implicit-def: $vgpr4_vgpr5
                                        ; implicit-def: $vgpr25_vgpr26
                                        ; implicit-def: $vgpr0_vgpr1
                                        ; implicit-def: $vgpr23_vgpr24
                                        ; implicit-def: $sgpr21
                                        ; implicit-def: $sgpr20
	s_branch .LBB187_1
.LBB187_18:
	v_lshlrev_b32_e32 v9, 3, v8
	s_add_u32 s0, s18, s14
	s_waitcnt lgkmcnt(1)
	v_add_nc_u32_e32 v3, v13, v4
	v_add_nc_u32_e32 v4, v14, v5
	;; [unrolled: 1-line block ×4, first 2 shown]
	s_addc_u32 s1, s19, s15
	v_add_co_u32 v7, s2, s0, v9
	s_delay_alu instid0(VALU_DEP_1) | instskip(SKIP_2) | instid1(VALU_DEP_3)
	v_add_co_ci_u32_e64 v8, null, s1, 0, s2
	s_waitcnt lgkmcnt(0)
	v_add_nc_u32_e32 v0, v1, v15
	v_add_co_u32 v7, vcc_lo, v7, 0x2000
	s_delay_alu instid0(VALU_DEP_3)
	v_add_co_ci_u32_e32 v8, vcc_lo, 0, v8, vcc_lo
	v_add_nc_u32_e32 v1, v2, v16
	s_clause 0x2
	global_store_b64 v9, v[3:4], s[0:1]
	global_store_b64 v[7:8], v[5:6], off offset:-4096
	global_store_b64 v[7:8], v[0:1], off
	s_nop 0
	s_sendmsg sendmsg(MSG_DEALLOC_VGPRS)
	s_endpgm
	.section	.rodata,"a",@progbits
	.p2align	6, 0x0
	.amdhsa_kernel _Z17sort_pairs_kernelI22helper_blocked_blockedN15benchmark_utils11custom_typeIiiEELj512ELj3ELj10EEvPKT0_PS4_
		.amdhsa_group_segment_fixed_size 16448
		.amdhsa_private_segment_fixed_size 0
		.amdhsa_kernarg_size 272
		.amdhsa_user_sgpr_count 15
		.amdhsa_user_sgpr_dispatch_ptr 0
		.amdhsa_user_sgpr_queue_ptr 0
		.amdhsa_user_sgpr_kernarg_segment_ptr 1
		.amdhsa_user_sgpr_dispatch_id 0
		.amdhsa_user_sgpr_private_segment_size 0
		.amdhsa_wavefront_size32 1
		.amdhsa_uses_dynamic_stack 0
		.amdhsa_enable_private_segment 0
		.amdhsa_system_sgpr_workgroup_id_x 1
		.amdhsa_system_sgpr_workgroup_id_y 0
		.amdhsa_system_sgpr_workgroup_id_z 0
		.amdhsa_system_sgpr_workgroup_info 0
		.amdhsa_system_vgpr_workitem_id 2
		.amdhsa_next_free_vgpr 44
		.amdhsa_next_free_sgpr 27
		.amdhsa_reserve_vcc 1
		.amdhsa_float_round_mode_32 0
		.amdhsa_float_round_mode_16_64 0
		.amdhsa_float_denorm_mode_32 3
		.amdhsa_float_denorm_mode_16_64 3
		.amdhsa_dx10_clamp 1
		.amdhsa_ieee_mode 1
		.amdhsa_fp16_overflow 0
		.amdhsa_workgroup_processor_mode 1
		.amdhsa_memory_ordered 1
		.amdhsa_forward_progress 0
		.amdhsa_shared_vgpr_count 0
		.amdhsa_exception_fp_ieee_invalid_op 0
		.amdhsa_exception_fp_denorm_src 0
		.amdhsa_exception_fp_ieee_div_zero 0
		.amdhsa_exception_fp_ieee_overflow 0
		.amdhsa_exception_fp_ieee_underflow 0
		.amdhsa_exception_fp_ieee_inexact 0
		.amdhsa_exception_int_div_zero 0
	.end_amdhsa_kernel
	.section	.text._Z17sort_pairs_kernelI22helper_blocked_blockedN15benchmark_utils11custom_typeIiiEELj512ELj3ELj10EEvPKT0_PS4_,"axG",@progbits,_Z17sort_pairs_kernelI22helper_blocked_blockedN15benchmark_utils11custom_typeIiiEELj512ELj3ELj10EEvPKT0_PS4_,comdat
.Lfunc_end187:
	.size	_Z17sort_pairs_kernelI22helper_blocked_blockedN15benchmark_utils11custom_typeIiiEELj512ELj3ELj10EEvPKT0_PS4_, .Lfunc_end187-_Z17sort_pairs_kernelI22helper_blocked_blockedN15benchmark_utils11custom_typeIiiEELj512ELj3ELj10EEvPKT0_PS4_
                                        ; -- End function
	.section	.AMDGPU.csdata,"",@progbits
; Kernel info:
; codeLenInByte = 3004
; NumSgprs: 29
; NumVgprs: 44
; ScratchSize: 0
; MemoryBound: 0
; FloatMode: 240
; IeeeMode: 1
; LDSByteSize: 16448 bytes/workgroup (compile time only)
; SGPRBlocks: 3
; VGPRBlocks: 5
; NumSGPRsForWavesPerEU: 29
; NumVGPRsForWavesPerEU: 44
; Occupancy: 16
; WaveLimiterHint : 1
; COMPUTE_PGM_RSRC2:SCRATCH_EN: 0
; COMPUTE_PGM_RSRC2:USER_SGPR: 15
; COMPUTE_PGM_RSRC2:TRAP_HANDLER: 0
; COMPUTE_PGM_RSRC2:TGID_X_EN: 1
; COMPUTE_PGM_RSRC2:TGID_Y_EN: 0
; COMPUTE_PGM_RSRC2:TGID_Z_EN: 0
; COMPUTE_PGM_RSRC2:TIDIG_COMP_CNT: 2
	.section	.text._Z16sort_keys_kernelI22helper_blocked_blockedN15benchmark_utils11custom_typeIiiEELj512ELj4ELj10EEvPKT0_PS4_,"axG",@progbits,_Z16sort_keys_kernelI22helper_blocked_blockedN15benchmark_utils11custom_typeIiiEELj512ELj4ELj10EEvPKT0_PS4_,comdat
	.protected	_Z16sort_keys_kernelI22helper_blocked_blockedN15benchmark_utils11custom_typeIiiEELj512ELj4ELj10EEvPKT0_PS4_ ; -- Begin function _Z16sort_keys_kernelI22helper_blocked_blockedN15benchmark_utils11custom_typeIiiEELj512ELj4ELj10EEvPKT0_PS4_
	.globl	_Z16sort_keys_kernelI22helper_blocked_blockedN15benchmark_utils11custom_typeIiiEELj512ELj4ELj10EEvPKT0_PS4_
	.p2align	8
	.type	_Z16sort_keys_kernelI22helper_blocked_blockedN15benchmark_utils11custom_typeIiiEELj512ELj4ELj10EEvPKT0_PS4_,@function
_Z16sort_keys_kernelI22helper_blocked_blockedN15benchmark_utils11custom_typeIiiEELj512ELj4ELj10EEvPKT0_PS4_: ; @_Z16sort_keys_kernelI22helper_blocked_blockedN15benchmark_utils11custom_typeIiiEELj512ELj4ELj10EEvPKT0_PS4_
; %bb.0:
	s_clause 0x1
	s_load_b128 s[16:19], s[0:1], 0x0
	s_load_b32 s3, s[0:1], 0x1c
	s_mov_b32 s23, 0
	s_lshl_b32 s22, s15, 11
	v_mbcnt_lo_u32_b32 v7, -1, 0
	s_lshl_b64 s[20:21], s[22:23], 3
	s_mov_b32 s22, s23
	v_and_b32_e32 v8, 0x3ff, v0
	s_mov_b32 s14, s23
	v_and_b32_e32 v11, 3, v7
	;; [unrolled: 2-line block ×3, first 2 shown]
	v_lshlrev_b32_e32 v3, 3, v8
	v_cmp_eq_u32_e64 s12, 0, v7
	s_waitcnt lgkmcnt(0)
	s_add_u32 s0, s16, s20
	s_addc_u32 s1, s17, s21
	v_add_co_u32 v4, s2, s0, v3
	s_delay_alu instid0(VALU_DEP_1) | instskip(SKIP_1) | instid1(VALU_DEP_3)
	v_add_co_ci_u32_e64 v5, null, s1, 0, s2
	v_cmp_eq_u32_e64 s2, 2, v11
	v_add_co_u32 v1, vcc_lo, v4, 0x2000
	s_delay_alu instid0(VALU_DEP_3)
	v_add_co_ci_u32_e32 v2, vcc_lo, 0, v5, vcc_lo
	v_add_co_u32 v9, vcc_lo, 0x3000, v4
	v_add_co_ci_u32_e32 v10, vcc_lo, 0, v5, vcc_lo
	s_clause 0x3
	global_load_b64 v[5:6], v3, s[0:1]
	global_load_b64 v[3:4], v[1:2], off
	global_load_b64 v[13:14], v[1:2], off offset:-4096
	global_load_b64 v[1:2], v[9:10], off
	v_bfe_u32 v9, v0, 10, 10
	v_bfe_u32 v0, v0, 20, 10
	s_lshr_b32 s1, s3, 16
	s_and_b32 s3, s3, 0xffff
	v_cmp_eq_u32_e64 s0, 0, v11
	s_delay_alu instid0(VALU_DEP_2) | instskip(SKIP_1) | instid1(VALU_DEP_2)
	v_mad_u32_u24 v0, v0, s1, v9
	v_cmp_eq_u32_e64 s1, 1, v11
	v_mad_u64_u32 v[9:10], null, v0, s3, v[8:9]
	v_cmp_eq_u32_e64 s3, 3, v11
	v_add_nc_u32_e32 v11, -1, v7
	v_and_b32_e32 v0, 15, v7
	v_or_b32_e32 v10, 31, v8
	v_lshrrev_b32_e32 v27, 5, v9
	v_and_b32_e32 v9, 16, v7
	v_cmp_gt_i32_e32 vcc_lo, 0, v11
	v_cmp_eq_u32_e64 s4, 0, v0
	v_cmp_lt_u32_e64 s5, 1, v0
	v_cmp_lt_u32_e64 s6, 3, v0
	;; [unrolled: 1-line block ×3, first 2 shown]
	v_cndmask_b32_e32 v0, v11, v7, vcc_lo
	v_cmp_eq_u32_e64 s8, 0, v9
	v_cmp_eq_u32_e64 s9, v10, v8
	v_lshrrev_b32_e32 v9, 3, v8
	v_lshlrev_b32_e32 v10, 2, v8
	v_dual_mov_b32 v11, s14 :: v_dual_lshlrev_b32 v28, 2, v0
	s_delay_alu instid0(VALU_DEP_3) | instskip(NEXT) | instid1(VALU_DEP_3)
	v_dual_mov_b32 v12, s15 :: v_dual_and_b32 v29, 60, v9
	v_and_or_b32 v0, 0x780, v10, v7
	v_dual_mov_b32 v9, s22 :: v_dual_lshlrev_b32 v22, 5, v8
	v_or_b32_e32 v23, 32, v21
	v_or_b32_e32 v24, 64, v21
	s_delay_alu instid0(VALU_DEP_4)
	v_lshlrev_b32_e32 v32, 3, v0
	v_mul_u32_u24_e32 v0, 28, v8
	v_mad_i32_i24 v30, 0xffffffe4, v8, v22
	v_or_b32_e32 v25, 0x60, v21
	v_add_nc_u32_e32 v26, 64, v22
	v_cmp_gt_u32_e64 s10, 16, v8
	v_cmp_lt_u32_e64 s11, 31, v8
	v_cmp_eq_u32_e64 s13, 0, v8
	v_dual_mov_b32 v10, s23 :: v_dual_add_nc_u32 v31, -4, v29
	v_add_nc_u32_e32 v33, v30, v0
	s_branch .LBB188_2
.LBB188_1:                              ;   in Loop: Header=BB188_2 Depth=1
	s_barrier
	buffer_gl0_inv
	ds_store_b64 v34, v[13:14]
	ds_store_b64 v35, v[19:20]
	;; [unrolled: 1-line block ×4, first 2 shown]
	s_waitcnt lgkmcnt(0)
	s_barrier
	buffer_gl0_inv
	ds_load_2addr_b64 v[0:3], v33 offset1:1
	ds_load_2addr_b64 v[15:18], v33 offset0:2 offset1:3
	s_add_i32 s23, s23, 1
	s_delay_alu instid0(SALU_CYCLE_1)
	s_cmp_eq_u32 s23, 10
	s_waitcnt lgkmcnt(1)
	v_xor_b32_e32 v5, 0x80000000, v0
	v_xor_b32_e32 v6, 0x80000000, v1
	;; [unrolled: 1-line block ×4, first 2 shown]
	s_waitcnt lgkmcnt(0)
	v_xor_b32_e32 v3, 0x80000000, v15
	v_xor_b32_e32 v4, 0x80000000, v16
	;; [unrolled: 1-line block ×4, first 2 shown]
	s_cbranch_scc1 .LBB188_20
.LBB188_2:                              ; =>This Loop Header: Depth=1
                                        ;     Child Loop BB188_4 Depth 2
	s_waitcnt vmcnt(3)
	v_xor_b32_e32 v0, 0x80000000, v6
	v_xor_b32_e32 v5, 0x80000000, v5
	s_waitcnt vmcnt(1)
	v_xor_b32_e32 v6, 0x80000000, v13
	v_xor_b32_e32 v7, 0x80000000, v14
	;; [unrolled: 1-line block ×3, first 2 shown]
	ds_bpermute_b32 v13, v21, v0
	ds_bpermute_b32 v14, v21, v5
	s_waitcnt vmcnt(0)
	v_xor_b32_e32 v15, 0x80000000, v1
	ds_bpermute_b32 v1, v21, v7
	ds_bpermute_b32 v16, v21, v6
	v_xor_b32_e32 v4, 0x80000000, v4
	ds_bpermute_b32 v17, v23, v0
	ds_bpermute_b32 v20, v21, v3
	;; [unrolled: 3-line block ×3, first 2 shown]
	ds_bpermute_b32 v34, v21, v15
	ds_bpermute_b32 v35, v23, v7
	;; [unrolled: 1-line block ×9, first 2 shown]
	s_waitcnt lgkmcnt(16)
	v_cndmask_b32_e64 v13, 0, v13, s0
	s_waitcnt lgkmcnt(15)
	v_cndmask_b32_e64 v14, 0, v14, s0
	ds_bpermute_b32 v42, v24, v6
	ds_bpermute_b32 v43, v24, v7
	;; [unrolled: 1-line block ×3, first 2 shown]
	s_waitcnt lgkmcnt(17)
	v_cndmask_b32_e64 v1, v13, v1, s1
	s_waitcnt lgkmcnt(16)
	v_cndmask_b32_e64 v13, v14, v16, s1
	ds_bpermute_b32 v14, v25, v0
	s_waitcnt lgkmcnt(16)
	v_cndmask_b32_e64 v0, 0, v17, s0
	ds_bpermute_b32 v6, v25, v6
	s_waitcnt lgkmcnt(15)
	v_cndmask_b32_e64 v16, 0, v18, s0
	v_cndmask_b32_e64 v13, v13, v20, s2
	s_waitcnt lgkmcnt(14)
	v_cndmask_b32_e64 v1, v1, v19, s2
	s_waitcnt lgkmcnt(12)
	v_cndmask_b32_e64 v17, v0, v35, s1
	ds_bpermute_b32 v18, v24, v4
	ds_bpermute_b32 v19, v24, v3
	v_cndmask_b32_e64 v0, v13, v34, s3
	ds_bpermute_b32 v13, v23, v2
	ds_bpermute_b32 v4, v25, v4
	;; [unrolled: 1-line block ×3, first 2 shown]
	s_waitcnt lgkmcnt(16)
	v_cndmask_b32_e64 v16, v16, v36, s1
	s_waitcnt lgkmcnt(15)
	v_cndmask_b32_e64 v1, v1, v37, s3
	ds_bpermute_b32 v34, v23, v15
	ds_bpermute_b32 v35, v24, v2
	;; [unrolled: 1-line block ×5, first 2 shown]
	s_waitcnt lgkmcnt(19)
	v_cndmask_b32_e64 v2, v17, v39, s2
	s_waitcnt lgkmcnt(17)
	v_cndmask_b32_e64 v3, 0, v41, s0
	v_cndmask_b32_e64 v17, 0, v40, s0
	s_waitcnt lgkmcnt(11)
	v_cndmask_b32_e64 v14, 0, v14, s0
	v_cndmask_b32_e64 v5, 0, v5, s0
	v_cndmask_b32_e64 v16, v16, v38, s2
	v_cndmask_b32_e64 v38, v3, v43, s1
	v_cndmask_b32_e64 v17, v17, v42, s1
	v_cndmask_b32_e64 v7, v14, v7, s1
	s_waitcnt lgkmcnt(10)
	v_cndmask_b32_e64 v5, v5, v6, s1
	s_waitcnt lgkmcnt(7)
	v_cndmask_b32_e64 v3, v2, v13, s3
	v_cndmask_b32_e64 v6, v38, v18, s2
	v_cndmask_b32_e64 v13, v17, v19, s2
	s_waitcnt lgkmcnt(6)
	v_cndmask_b32_e64 v7, v7, v4, s2
	s_waitcnt lgkmcnt(5)
	v_cndmask_b32_e64 v14, v5, v20, s2
	;; [unrolled: 2-line block ×7, first 2 shown]
	s_mov_b32 s17, 8
	s_mov_b32 s22, 32
	;; [unrolled: 1-line block ×3, first 2 shown]
	s_barrier
	s_branch .LBB188_4
.LBB188_3:                              ;   in Loop: Header=BB188_4 Depth=2
	s_barrier
	buffer_gl0_inv
	ds_store_b64 v34, v[13:14]
	ds_store_b64 v35, v[19:20]
	;; [unrolled: 1-line block ×4, first 2 shown]
	s_waitcnt lgkmcnt(0)
	s_barrier
	buffer_gl0_inv
	ds_load_2addr_b64 v[0:3], v32 offset1:32
	ds_load_2addr_b64 v[4:7], v32 offset0:64 offset1:96
	s_add_i32 s22, s22, -8
	s_add_i32 s17, s17, 8
	s_add_i32 s24, s24, 8
	s_waitcnt lgkmcnt(0)
	s_barrier
	s_cbranch_execz .LBB188_1
.LBB188_4:                              ;   Parent Loop BB188_2 Depth=1
                                        ; =>  This Inner Loop Header: Depth=2
	s_min_i32 s15, s17, 32
	s_cmp_lt_u32 s24, 32
	v_dual_mov_b32 v14, v1 :: v_dual_mov_b32 v13, v0
	s_cselect_b32 vcc_lo, -1, 0
	s_cmp_gt_u32 s24, 24
	buffer_gl0_inv
	s_cselect_b32 s14, -1, 0
	s_sub_i32 s15, s15, 32
	v_lshrrev_b32_e32 v1, s24, v14
	s_add_i32 s16, s15, s22
	ds_store_2addr_b64 v22, v[9:10], v[11:12] offset0:8 offset1:9
	ds_store_2addr_b64 v26, v[9:10], v[11:12] offset0:2 offset1:3
	s_lshl_b32 s16, -1, s16
	s_waitcnt lgkmcnt(0)
	s_not_b32 s16, s16
	s_cmp_lg_u32 s15, s24
	s_barrier
	s_cselect_b32 s25, s16, -1
	s_max_i32 s26, s22, 0
	s_max_i32 s15, s24, 32
	v_and_b32_e32 v1, s25, v1
	s_sub_i32 s16, s15, s26
	s_sub_i32 s27, s15, 32
	;; [unrolled: 1-line block ×3, first 2 shown]
	v_lshrrev_b32_e32 v0, s27, v13
	s_min_i32 s15, s16, 32
	buffer_gl0_inv
	s_sub_i32 s15, s15, s27
	s_delay_alu instid0(SALU_CYCLE_1) | instskip(NEXT) | instid1(SALU_CYCLE_1)
	s_lshl_b32 s16, -1, s15
	; wave barrier
	s_not_b32 s16, s16
	s_cmp_lg_u32 s15, 32
	v_cndmask_b32_e32 v1, 0, v1, vcc_lo
	s_cselect_b32 s28, s16, -1
	s_delay_alu instid0(SALU_CYCLE_1) | instskip(NEXT) | instid1(VALU_DEP_1)
	v_and_b32_e32 v0, s28, v0
	v_lshlrev_b32_e32 v0, s26, v0
	s_delay_alu instid0(VALU_DEP_1) | instskip(NEXT) | instid1(VALU_DEP_1)
	v_cndmask_b32_e64 v0, 0, v0, s14
	v_or_b32_e32 v1, v1, v0
	s_delay_alu instid0(VALU_DEP_1)
	v_and_b32_e32 v0, 1, v1
	v_lshlrev_b32_e32 v15, 30, v1
	v_lshlrev_b32_e32 v16, 29, v1
	;; [unrolled: 1-line block ×4, first 2 shown]
	v_add_co_u32 v0, s15, v0, -1
	s_delay_alu instid0(VALU_DEP_1)
	v_cndmask_b32_e64 v18, 0, 1, s15
	v_not_b32_e32 v35, v15
	v_cmp_gt_i32_e64 s16, 0, v15
	v_not_b32_e32 v15, v16
	v_lshlrev_b32_e32 v20, 26, v1
	v_cmp_ne_u32_e64 s15, 0, v18
	v_ashrrev_i32_e32 v35, 31, v35
	v_lshlrev_b32_e32 v34, 25, v1
	v_ashrrev_i32_e32 v15, 31, v15
	v_lshlrev_b32_e32 v18, 24, v1
	v_xor_b32_e32 v0, s15, v0
	v_cmp_gt_i32_e64 s15, 0, v16
	v_not_b32_e32 v16, v17
	v_xor_b32_e32 v35, s16, v35
	v_cmp_gt_i32_e64 s16, 0, v17
	v_and_b32_e32 v0, exec_lo, v0
	v_not_b32_e32 v17, v19
	v_ashrrev_i32_e32 v16, 31, v16
	v_xor_b32_e32 v15, s15, v15
	v_cmp_gt_i32_e64 s15, 0, v19
	v_and_b32_e32 v0, v0, v35
	v_not_b32_e32 v19, v20
	v_ashrrev_i32_e32 v17, 31, v17
	v_xor_b32_e32 v16, s16, v16
	v_cmp_gt_i32_e64 s16, 0, v20
	v_and_b32_e32 v0, v0, v15
	;; [unrolled: 5-line block ×4, first 2 shown]
	v_ashrrev_i32_e32 v16, 31, v16
	v_xor_b32_e32 v15, s15, v15
	v_lshl_add_u32 v1, v1, 4, v27
	v_mov_b32_e32 v18, v5
	v_and_b32_e32 v0, v0, v19
	v_xor_b32_e32 v16, s16, v16
	v_dual_mov_b32 v20, v3 :: v_dual_mov_b32 v19, v2
	v_mov_b32_e32 v17, v4
	s_delay_alu instid0(VALU_DEP_4) | instskip(SKIP_1) | instid1(VALU_DEP_2)
	v_and_b32_e32 v0, v0, v15
	v_lshl_add_u32 v35, v1, 2, 64
	v_and_b32_e32 v0, v0, v16
	v_dual_mov_b32 v16, v7 :: v_dual_mov_b32 v15, v6
	s_delay_alu instid0(VALU_DEP_2) | instskip(SKIP_1) | instid1(VALU_DEP_2)
	v_mbcnt_lo_u32_b32 v34, v0, 0
	v_cmp_ne_u32_e64 s16, 0, v0
	v_cmp_eq_u32_e64 s15, 0, v34
	s_delay_alu instid0(VALU_DEP_1) | instskip(NEXT) | instid1(SALU_CYCLE_1)
	s_and_b32 s16, s15, s16
	s_and_saveexec_b32 s15, s16
	s_cbranch_execz .LBB188_6
; %bb.5:                                ;   in Loop: Header=BB188_4 Depth=2
	v_bcnt_u32_b32 v0, v0, 0
	ds_store_b32 v35, v0
.LBB188_6:                              ;   in Loop: Header=BB188_4 Depth=2
	s_or_b32 exec_lo, exec_lo, s15
	v_lshrrev_b32_e32 v0, s27, v19
	v_lshrrev_b32_e32 v1, s24, v20
	; wave barrier
	s_delay_alu instid0(VALU_DEP_1) | instskip(NEXT) | instid1(VALU_DEP_1)
	v_and_b32_e32 v1, s25, v1
	v_dual_cndmask_b32 v1, 0, v1 :: v_dual_and_b32 v0, s28, v0
	s_delay_alu instid0(VALU_DEP_1) | instskip(NEXT) | instid1(VALU_DEP_1)
	v_lshlrev_b32_e32 v0, s26, v0
	v_cndmask_b32_e64 v0, 0, v0, s14
	s_delay_alu instid0(VALU_DEP_1) | instskip(NEXT) | instid1(VALU_DEP_1)
	v_or_b32_e32 v0, v1, v0
	v_and_b32_e32 v1, 1, v0
	v_lshlrev_b32_e32 v2, 30, v0
	v_lshlrev_b32_e32 v3, 29, v0
	v_lshlrev_b32_e32 v4, 28, v0
	v_lshlrev_b32_e32 v6, 27, v0
	v_add_co_u32 v1, s15, v1, -1
	s_delay_alu instid0(VALU_DEP_1)
	v_cndmask_b32_e64 v5, 0, 1, s15
	v_not_b32_e32 v37, v2
	v_cmp_gt_i32_e64 s16, 0, v2
	v_not_b32_e32 v2, v3
	v_lshlrev_b32_e32 v7, 26, v0
	v_cmp_ne_u32_e64 s15, 0, v5
	v_ashrrev_i32_e32 v37, 31, v37
	v_lshlrev_b32_e32 v36, 25, v0
	v_ashrrev_i32_e32 v2, 31, v2
	v_lshlrev_b32_e32 v5, 24, v0
	v_xor_b32_e32 v1, s15, v1
	v_cmp_gt_i32_e64 s15, 0, v3
	v_not_b32_e32 v3, v4
	v_xor_b32_e32 v37, s16, v37
	v_cmp_gt_i32_e64 s16, 0, v4
	v_and_b32_e32 v1, exec_lo, v1
	v_not_b32_e32 v4, v6
	v_ashrrev_i32_e32 v3, 31, v3
	v_xor_b32_e32 v2, s15, v2
	v_cmp_gt_i32_e64 s15, 0, v6
	v_and_b32_e32 v1, v1, v37
	v_not_b32_e32 v6, v7
	v_ashrrev_i32_e32 v4, 31, v4
	v_xor_b32_e32 v3, s16, v3
	v_cmp_gt_i32_e64 s16, 0, v7
	v_and_b32_e32 v1, v1, v2
	;; [unrolled: 5-line block ×3, first 2 shown]
	v_not_b32_e32 v3, v5
	v_ashrrev_i32_e32 v2, 31, v2
	v_xor_b32_e32 v6, s16, v6
	v_lshlrev_b32_e32 v0, 4, v0
	v_and_b32_e32 v1, v1, v4
	v_cmp_gt_i32_e64 s16, 0, v5
	v_ashrrev_i32_e32 v3, 31, v3
	v_xor_b32_e32 v2, s15, v2
	v_add_lshl_u32 v4, v0, v27, 2
	v_and_b32_e32 v1, v1, v6
	s_delay_alu instid0(VALU_DEP_4) | instskip(SKIP_3) | instid1(VALU_DEP_2)
	v_xor_b32_e32 v0, s16, v3
	ds_load_b32 v36, v4 offset:64
	v_and_b32_e32 v1, v1, v2
	v_add_nc_u32_e32 v38, 64, v4
	; wave barrier
	v_and_b32_e32 v0, v1, v0
	s_delay_alu instid0(VALU_DEP_1) | instskip(SKIP_1) | instid1(VALU_DEP_2)
	v_mbcnt_lo_u32_b32 v37, v0, 0
	v_cmp_ne_u32_e64 s16, 0, v0
	v_cmp_eq_u32_e64 s15, 0, v37
	s_delay_alu instid0(VALU_DEP_1) | instskip(NEXT) | instid1(SALU_CYCLE_1)
	s_and_b32 s16, s15, s16
	s_and_saveexec_b32 s15, s16
	s_cbranch_execz .LBB188_8
; %bb.7:                                ;   in Loop: Header=BB188_4 Depth=2
	s_waitcnt lgkmcnt(0)
	v_bcnt_u32_b32 v0, v0, v36
	ds_store_b32 v38, v0
.LBB188_8:                              ;   in Loop: Header=BB188_4 Depth=2
	s_or_b32 exec_lo, exec_lo, s15
	v_lshrrev_b32_e32 v0, s27, v17
	v_lshrrev_b32_e32 v1, s24, v18
	; wave barrier
	s_delay_alu instid0(VALU_DEP_1) | instskip(NEXT) | instid1(VALU_DEP_1)
	v_and_b32_e32 v1, s25, v1
	v_dual_cndmask_b32 v1, 0, v1 :: v_dual_and_b32 v0, s28, v0
	s_delay_alu instid0(VALU_DEP_1) | instskip(NEXT) | instid1(VALU_DEP_1)
	v_lshlrev_b32_e32 v0, s26, v0
	v_cndmask_b32_e64 v0, 0, v0, s14
	s_delay_alu instid0(VALU_DEP_1) | instskip(NEXT) | instid1(VALU_DEP_1)
	v_or_b32_e32 v0, v1, v0
	v_and_b32_e32 v1, 1, v0
	v_lshlrev_b32_e32 v2, 30, v0
	v_lshlrev_b32_e32 v3, 29, v0
	;; [unrolled: 1-line block ×4, first 2 shown]
	v_add_co_u32 v1, s15, v1, -1
	s_delay_alu instid0(VALU_DEP_1)
	v_cndmask_b32_e64 v5, 0, 1, s15
	v_not_b32_e32 v40, v2
	v_cmp_gt_i32_e64 s16, 0, v2
	v_not_b32_e32 v2, v3
	v_lshlrev_b32_e32 v7, 26, v0
	v_cmp_ne_u32_e64 s15, 0, v5
	v_ashrrev_i32_e32 v40, 31, v40
	v_lshlrev_b32_e32 v39, 25, v0
	v_ashrrev_i32_e32 v2, 31, v2
	v_lshlrev_b32_e32 v5, 24, v0
	v_xor_b32_e32 v1, s15, v1
	v_cmp_gt_i32_e64 s15, 0, v3
	v_not_b32_e32 v3, v4
	v_xor_b32_e32 v40, s16, v40
	v_cmp_gt_i32_e64 s16, 0, v4
	v_and_b32_e32 v1, exec_lo, v1
	v_not_b32_e32 v4, v6
	v_ashrrev_i32_e32 v3, 31, v3
	v_xor_b32_e32 v2, s15, v2
	v_cmp_gt_i32_e64 s15, 0, v6
	v_and_b32_e32 v1, v1, v40
	v_not_b32_e32 v6, v7
	v_ashrrev_i32_e32 v4, 31, v4
	v_xor_b32_e32 v3, s16, v3
	v_cmp_gt_i32_e64 s16, 0, v7
	v_and_b32_e32 v1, v1, v2
	v_not_b32_e32 v2, v39
	v_ashrrev_i32_e32 v6, 31, v6
	v_xor_b32_e32 v4, s15, v4
	v_cmp_gt_i32_e64 s15, 0, v39
	v_and_b32_e32 v1, v1, v3
	v_not_b32_e32 v3, v5
	v_ashrrev_i32_e32 v2, 31, v2
	v_xor_b32_e32 v6, s16, v6
	v_lshlrev_b32_e32 v0, 4, v0
	v_and_b32_e32 v1, v1, v4
	v_cmp_gt_i32_e64 s16, 0, v5
	v_ashrrev_i32_e32 v3, 31, v3
	v_xor_b32_e32 v2, s15, v2
	v_add_lshl_u32 v4, v0, v27, 2
	v_and_b32_e32 v1, v1, v6
	s_delay_alu instid0(VALU_DEP_4) | instskip(SKIP_3) | instid1(VALU_DEP_2)
	v_xor_b32_e32 v0, s16, v3
	ds_load_b32 v39, v4 offset:64
	v_and_b32_e32 v1, v1, v2
	v_add_nc_u32_e32 v41, 64, v4
	; wave barrier
	v_and_b32_e32 v0, v1, v0
	s_delay_alu instid0(VALU_DEP_1) | instskip(SKIP_1) | instid1(VALU_DEP_2)
	v_mbcnt_lo_u32_b32 v40, v0, 0
	v_cmp_ne_u32_e64 s16, 0, v0
	v_cmp_eq_u32_e64 s15, 0, v40
	s_delay_alu instid0(VALU_DEP_1) | instskip(NEXT) | instid1(SALU_CYCLE_1)
	s_and_b32 s16, s15, s16
	s_and_saveexec_b32 s15, s16
	s_cbranch_execz .LBB188_10
; %bb.9:                                ;   in Loop: Header=BB188_4 Depth=2
	s_waitcnt lgkmcnt(0)
	v_bcnt_u32_b32 v0, v0, v39
	ds_store_b32 v41, v0
.LBB188_10:                             ;   in Loop: Header=BB188_4 Depth=2
	s_or_b32 exec_lo, exec_lo, s15
	v_lshrrev_b32_e32 v0, s27, v15
	v_lshrrev_b32_e32 v1, s24, v16
	; wave barrier
	s_delay_alu instid0(VALU_DEP_1) | instskip(NEXT) | instid1(VALU_DEP_1)
	v_and_b32_e32 v1, s25, v1
	v_dual_cndmask_b32 v1, 0, v1 :: v_dual_and_b32 v0, s28, v0
	s_delay_alu instid0(VALU_DEP_1) | instskip(NEXT) | instid1(VALU_DEP_1)
	v_lshlrev_b32_e32 v0, s26, v0
	v_cndmask_b32_e64 v0, 0, v0, s14
	s_delay_alu instid0(VALU_DEP_1) | instskip(NEXT) | instid1(VALU_DEP_1)
	v_or_b32_e32 v0, v1, v0
	v_and_b32_e32 v1, 1, v0
	v_lshlrev_b32_e32 v2, 30, v0
	v_lshlrev_b32_e32 v3, 29, v0
	;; [unrolled: 1-line block ×4, first 2 shown]
	v_add_co_u32 v1, s14, v1, -1
	s_delay_alu instid0(VALU_DEP_1)
	v_cndmask_b32_e64 v5, 0, 1, s14
	v_not_b32_e32 v43, v2
	v_cmp_gt_i32_e64 s14, 0, v2
	v_not_b32_e32 v2, v3
	v_lshlrev_b32_e32 v7, 26, v0
	v_cmp_ne_u32_e32 vcc_lo, 0, v5
	v_ashrrev_i32_e32 v43, 31, v43
	v_lshlrev_b32_e32 v42, 25, v0
	v_ashrrev_i32_e32 v2, 31, v2
	v_lshlrev_b32_e32 v5, 24, v0
	v_xor_b32_e32 v1, vcc_lo, v1
	v_cmp_gt_i32_e32 vcc_lo, 0, v3
	v_not_b32_e32 v3, v4
	v_xor_b32_e32 v43, s14, v43
	v_cmp_gt_i32_e64 s14, 0, v4
	v_and_b32_e32 v1, exec_lo, v1
	v_not_b32_e32 v4, v6
	v_ashrrev_i32_e32 v3, 31, v3
	v_xor_b32_e32 v2, vcc_lo, v2
	v_cmp_gt_i32_e32 vcc_lo, 0, v6
	v_and_b32_e32 v1, v1, v43
	v_not_b32_e32 v6, v7
	v_ashrrev_i32_e32 v4, 31, v4
	v_xor_b32_e32 v3, s14, v3
	v_cmp_gt_i32_e64 s14, 0, v7
	v_and_b32_e32 v1, v1, v2
	v_not_b32_e32 v2, v42
	v_ashrrev_i32_e32 v6, 31, v6
	v_xor_b32_e32 v4, vcc_lo, v4
	v_cmp_gt_i32_e32 vcc_lo, 0, v42
	v_and_b32_e32 v1, v1, v3
	v_not_b32_e32 v3, v5
	v_ashrrev_i32_e32 v2, 31, v2
	v_xor_b32_e32 v6, s14, v6
	v_lshlrev_b32_e32 v0, 4, v0
	v_and_b32_e32 v1, v1, v4
	v_cmp_gt_i32_e64 s14, 0, v5
	v_ashrrev_i32_e32 v3, 31, v3
	v_xor_b32_e32 v2, vcc_lo, v2
	v_add_lshl_u32 v4, v0, v27, 2
	v_and_b32_e32 v1, v1, v6
	s_delay_alu instid0(VALU_DEP_4) | instskip(SKIP_3) | instid1(VALU_DEP_2)
	v_xor_b32_e32 v0, s14, v3
	ds_load_b32 v42, v4 offset:64
	v_and_b32_e32 v1, v1, v2
	v_add_nc_u32_e32 v44, 64, v4
	; wave barrier
	v_and_b32_e32 v0, v1, v0
	s_delay_alu instid0(VALU_DEP_1) | instskip(SKIP_1) | instid1(VALU_DEP_2)
	v_mbcnt_lo_u32_b32 v43, v0, 0
	v_cmp_ne_u32_e64 s14, 0, v0
	v_cmp_eq_u32_e32 vcc_lo, 0, v43
	s_delay_alu instid0(VALU_DEP_2) | instskip(NEXT) | instid1(SALU_CYCLE_1)
	s_and_b32 s15, vcc_lo, s14
	s_and_saveexec_b32 s14, s15
	s_cbranch_execz .LBB188_12
; %bb.11:                               ;   in Loop: Header=BB188_4 Depth=2
	s_waitcnt lgkmcnt(0)
	v_bcnt_u32_b32 v0, v0, v42
	ds_store_b32 v44, v0
.LBB188_12:                             ;   in Loop: Header=BB188_4 Depth=2
	s_or_b32 exec_lo, exec_lo, s14
	; wave barrier
	s_waitcnt lgkmcnt(0)
	s_barrier
	buffer_gl0_inv
	ds_load_2addr_b64 v[4:7], v22 offset0:8 offset1:9
	ds_load_2addr_b64 v[0:3], v26 offset0:2 offset1:3
	s_waitcnt lgkmcnt(1)
	v_add_nc_u32_e32 v45, v5, v4
	s_delay_alu instid0(VALU_DEP_1) | instskip(SKIP_1) | instid1(VALU_DEP_1)
	v_add3_u32 v45, v45, v6, v7
	s_waitcnt lgkmcnt(0)
	v_add3_u32 v45, v45, v0, v1
	s_delay_alu instid0(VALU_DEP_1) | instskip(NEXT) | instid1(VALU_DEP_1)
	v_add3_u32 v3, v45, v2, v3
	v_mov_b32_dpp v45, v3 row_shr:1 row_mask:0xf bank_mask:0xf
	s_delay_alu instid0(VALU_DEP_1) | instskip(NEXT) | instid1(VALU_DEP_1)
	v_cndmask_b32_e64 v45, v45, 0, s4
	v_add_nc_u32_e32 v3, v45, v3
	s_delay_alu instid0(VALU_DEP_1) | instskip(NEXT) | instid1(VALU_DEP_1)
	v_mov_b32_dpp v45, v3 row_shr:2 row_mask:0xf bank_mask:0xf
	v_cndmask_b32_e64 v45, 0, v45, s5
	s_delay_alu instid0(VALU_DEP_1) | instskip(NEXT) | instid1(VALU_DEP_1)
	v_add_nc_u32_e32 v3, v3, v45
	v_mov_b32_dpp v45, v3 row_shr:4 row_mask:0xf bank_mask:0xf
	s_delay_alu instid0(VALU_DEP_1) | instskip(NEXT) | instid1(VALU_DEP_1)
	v_cndmask_b32_e64 v45, 0, v45, s6
	v_add_nc_u32_e32 v3, v3, v45
	s_delay_alu instid0(VALU_DEP_1) | instskip(NEXT) | instid1(VALU_DEP_1)
	v_mov_b32_dpp v45, v3 row_shr:8 row_mask:0xf bank_mask:0xf
	v_cndmask_b32_e64 v45, 0, v45, s7
	s_delay_alu instid0(VALU_DEP_1) | instskip(SKIP_3) | instid1(VALU_DEP_1)
	v_add_nc_u32_e32 v3, v3, v45
	ds_swizzle_b32 v45, v3 offset:swizzle(BROADCAST,32,15)
	s_waitcnt lgkmcnt(0)
	v_cndmask_b32_e64 v45, v45, 0, s8
	v_add_nc_u32_e32 v3, v3, v45
	s_and_saveexec_b32 s14, s9
	s_cbranch_execz .LBB188_14
; %bb.13:                               ;   in Loop: Header=BB188_4 Depth=2
	ds_store_b32 v29, v3
.LBB188_14:                             ;   in Loop: Header=BB188_4 Depth=2
	s_or_b32 exec_lo, exec_lo, s14
	s_waitcnt lgkmcnt(0)
	s_barrier
	buffer_gl0_inv
	s_and_saveexec_b32 s14, s10
	s_cbranch_execz .LBB188_16
; %bb.15:                               ;   in Loop: Header=BB188_4 Depth=2
	ds_load_b32 v45, v30
	s_waitcnt lgkmcnt(0)
	v_mov_b32_dpp v46, v45 row_shr:1 row_mask:0xf bank_mask:0xf
	s_delay_alu instid0(VALU_DEP_1) | instskip(NEXT) | instid1(VALU_DEP_1)
	v_cndmask_b32_e64 v46, v46, 0, s4
	v_add_nc_u32_e32 v45, v46, v45
	s_delay_alu instid0(VALU_DEP_1) | instskip(NEXT) | instid1(VALU_DEP_1)
	v_mov_b32_dpp v46, v45 row_shr:2 row_mask:0xf bank_mask:0xf
	v_cndmask_b32_e64 v46, 0, v46, s5
	s_delay_alu instid0(VALU_DEP_1) | instskip(NEXT) | instid1(VALU_DEP_1)
	v_add_nc_u32_e32 v45, v45, v46
	v_mov_b32_dpp v46, v45 row_shr:4 row_mask:0xf bank_mask:0xf
	s_delay_alu instid0(VALU_DEP_1) | instskip(NEXT) | instid1(VALU_DEP_1)
	v_cndmask_b32_e64 v46, 0, v46, s6
	v_add_nc_u32_e32 v45, v45, v46
	s_delay_alu instid0(VALU_DEP_1) | instskip(NEXT) | instid1(VALU_DEP_1)
	v_mov_b32_dpp v46, v45 row_shr:8 row_mask:0xf bank_mask:0xf
	v_cndmask_b32_e64 v46, 0, v46, s7
	s_delay_alu instid0(VALU_DEP_1)
	v_add_nc_u32_e32 v45, v45, v46
	ds_store_b32 v30, v45
.LBB188_16:                             ;   in Loop: Header=BB188_4 Depth=2
	s_or_b32 exec_lo, exec_lo, s14
	v_mov_b32_e32 v45, 0
	s_waitcnt lgkmcnt(0)
	s_barrier
	buffer_gl0_inv
	s_and_saveexec_b32 s14, s11
	s_cbranch_execz .LBB188_18
; %bb.17:                               ;   in Loop: Header=BB188_4 Depth=2
	ds_load_b32 v45, v31
.LBB188_18:                             ;   in Loop: Header=BB188_4 Depth=2
	s_or_b32 exec_lo, exec_lo, s14
	s_waitcnt lgkmcnt(0)
	v_add_nc_u32_e32 v3, v45, v3
	s_cmp_gt_u32 s24, 55
	ds_bpermute_b32 v3, v28, v3
	s_waitcnt lgkmcnt(0)
	v_cndmask_b32_e64 v3, v3, v45, s12
	s_delay_alu instid0(VALU_DEP_1) | instskip(NEXT) | instid1(VALU_DEP_1)
	v_cndmask_b32_e64 v3, v3, 0, s13
	v_add_nc_u32_e32 v4, v3, v4
	s_delay_alu instid0(VALU_DEP_1) | instskip(NEXT) | instid1(VALU_DEP_1)
	v_add_nc_u32_e32 v5, v4, v5
	v_add_nc_u32_e32 v6, v5, v6
	s_delay_alu instid0(VALU_DEP_1) | instskip(SKIP_1) | instid1(VALU_DEP_2)
	v_add_nc_u32_e32 v45, v6, v7
	v_lshlrev_b32_e32 v7, 3, v40
	v_add_nc_u32_e32 v46, v45, v0
	s_delay_alu instid0(VALU_DEP_1) | instskip(NEXT) | instid1(VALU_DEP_1)
	v_add_nc_u32_e32 v0, v46, v1
	v_add_nc_u32_e32 v1, v0, v2
	ds_store_2addr_b64 v22, v[3:4], v[5:6] offset0:8 offset1:9
	ds_store_2addr_b64 v26, v[45:46], v[0:1] offset0:2 offset1:3
	s_waitcnt lgkmcnt(0)
	s_barrier
	buffer_gl0_inv
	ds_load_b32 v0, v38
	ds_load_b32 v1, v41
	;; [unrolled: 1-line block ×4, first 2 shown]
	v_lshlrev_b32_e32 v4, 3, v34
	v_lshlrev_b32_e32 v5, 3, v37
	v_lshlrev_b32_e32 v6, 3, v36
	v_lshlrev_b32_e32 v36, 3, v39
	v_lshlrev_b32_e32 v37, 3, v43
	v_lshlrev_b32_e32 v38, 3, v42
	s_waitcnt lgkmcnt(0)
	v_lshlrev_b32_e32 v0, 3, v0
	v_lshlrev_b32_e32 v1, 3, v1
	;; [unrolled: 1-line block ×3, first 2 shown]
	v_lshl_add_u32 v34, v3, 3, v4
	s_delay_alu instid0(VALU_DEP_4) | instskip(NEXT) | instid1(VALU_DEP_4)
	v_add3_u32 v35, v5, v6, v0
	v_add3_u32 v36, v7, v36, v1
	s_delay_alu instid0(VALU_DEP_4)
	v_add3_u32 v37, v37, v38, v2
	s_cbranch_scc0 .LBB188_3
; %bb.19:                               ;   in Loop: Header=BB188_2 Depth=1
                                        ; implicit-def: $sgpr24
                                        ; implicit-def: $vgpr0_vgpr1
                                        ; implicit-def: $vgpr4_vgpr5
                                        ; implicit-def: $sgpr22
                                        ; implicit-def: $sgpr17
	s_branch .LBB188_1
.LBB188_20:
	v_lshlrev_b32_e32 v0, 3, v8
	s_add_u32 s0, s18, s20
	s_addc_u32 s1, s19, s21
	s_delay_alu instid0(VALU_DEP_1) | instskip(NEXT) | instid1(VALU_DEP_1)
	v_add_co_u32 v9, s2, s0, v0
	v_add_co_ci_u32_e64 v10, null, s1, 0, s2
	s_delay_alu instid0(VALU_DEP_2) | instskip(NEXT) | instid1(VALU_DEP_2)
	v_add_co_u32 v7, vcc_lo, v9, 0x2000
	v_add_co_ci_u32_e32 v8, vcc_lo, 0, v10, vcc_lo
	v_add_co_u32 v9, vcc_lo, 0x3000, v9
	v_add_co_ci_u32_e32 v10, vcc_lo, 0, v10, vcc_lo
	s_clause 0x3
	global_store_b64 v0, v[5:6], s[0:1]
	global_store_b64 v[7:8], v[3:4], off
	global_store_b64 v[7:8], v[13:14], off offset:-4096
	global_store_b64 v[9:10], v[1:2], off
	s_nop 0
	s_sendmsg sendmsg(MSG_DEALLOC_VGPRS)
	s_endpgm
	.section	.rodata,"a",@progbits
	.p2align	6, 0x0
	.amdhsa_kernel _Z16sort_keys_kernelI22helper_blocked_blockedN15benchmark_utils11custom_typeIiiEELj512ELj4ELj10EEvPKT0_PS4_
		.amdhsa_group_segment_fixed_size 16448
		.amdhsa_private_segment_fixed_size 0
		.amdhsa_kernarg_size 272
		.amdhsa_user_sgpr_count 15
		.amdhsa_user_sgpr_dispatch_ptr 0
		.amdhsa_user_sgpr_queue_ptr 0
		.amdhsa_user_sgpr_kernarg_segment_ptr 1
		.amdhsa_user_sgpr_dispatch_id 0
		.amdhsa_user_sgpr_private_segment_size 0
		.amdhsa_wavefront_size32 1
		.amdhsa_uses_dynamic_stack 0
		.amdhsa_enable_private_segment 0
		.amdhsa_system_sgpr_workgroup_id_x 1
		.amdhsa_system_sgpr_workgroup_id_y 0
		.amdhsa_system_sgpr_workgroup_id_z 0
		.amdhsa_system_sgpr_workgroup_info 0
		.amdhsa_system_vgpr_workitem_id 2
		.amdhsa_next_free_vgpr 47
		.amdhsa_next_free_sgpr 29
		.amdhsa_reserve_vcc 1
		.amdhsa_float_round_mode_32 0
		.amdhsa_float_round_mode_16_64 0
		.amdhsa_float_denorm_mode_32 3
		.amdhsa_float_denorm_mode_16_64 3
		.amdhsa_dx10_clamp 1
		.amdhsa_ieee_mode 1
		.amdhsa_fp16_overflow 0
		.amdhsa_workgroup_processor_mode 1
		.amdhsa_memory_ordered 1
		.amdhsa_forward_progress 0
		.amdhsa_shared_vgpr_count 0
		.amdhsa_exception_fp_ieee_invalid_op 0
		.amdhsa_exception_fp_denorm_src 0
		.amdhsa_exception_fp_ieee_div_zero 0
		.amdhsa_exception_fp_ieee_overflow 0
		.amdhsa_exception_fp_ieee_underflow 0
		.amdhsa_exception_fp_ieee_inexact 0
		.amdhsa_exception_int_div_zero 0
	.end_amdhsa_kernel
	.section	.text._Z16sort_keys_kernelI22helper_blocked_blockedN15benchmark_utils11custom_typeIiiEELj512ELj4ELj10EEvPKT0_PS4_,"axG",@progbits,_Z16sort_keys_kernelI22helper_blocked_blockedN15benchmark_utils11custom_typeIiiEELj512ELj4ELj10EEvPKT0_PS4_,comdat
.Lfunc_end188:
	.size	_Z16sort_keys_kernelI22helper_blocked_blockedN15benchmark_utils11custom_typeIiiEELj512ELj4ELj10EEvPKT0_PS4_, .Lfunc_end188-_Z16sort_keys_kernelI22helper_blocked_blockedN15benchmark_utils11custom_typeIiiEELj512ELj4ELj10EEvPKT0_PS4_
                                        ; -- End function
	.section	.AMDGPU.csdata,"",@progbits
; Kernel info:
; codeLenInByte = 3856
; NumSgprs: 31
; NumVgprs: 47
; ScratchSize: 0
; MemoryBound: 0
; FloatMode: 240
; IeeeMode: 1
; LDSByteSize: 16448 bytes/workgroup (compile time only)
; SGPRBlocks: 3
; VGPRBlocks: 5
; NumSGPRsForWavesPerEU: 31
; NumVGPRsForWavesPerEU: 47
; Occupancy: 16
; WaveLimiterHint : 1
; COMPUTE_PGM_RSRC2:SCRATCH_EN: 0
; COMPUTE_PGM_RSRC2:USER_SGPR: 15
; COMPUTE_PGM_RSRC2:TRAP_HANDLER: 0
; COMPUTE_PGM_RSRC2:TGID_X_EN: 1
; COMPUTE_PGM_RSRC2:TGID_Y_EN: 0
; COMPUTE_PGM_RSRC2:TGID_Z_EN: 0
; COMPUTE_PGM_RSRC2:TIDIG_COMP_CNT: 2
	.section	.text._Z17sort_pairs_kernelI22helper_blocked_blockedN15benchmark_utils11custom_typeIiiEELj512ELj4ELj10EEvPKT0_PS4_,"axG",@progbits,_Z17sort_pairs_kernelI22helper_blocked_blockedN15benchmark_utils11custom_typeIiiEELj512ELj4ELj10EEvPKT0_PS4_,comdat
	.protected	_Z17sort_pairs_kernelI22helper_blocked_blockedN15benchmark_utils11custom_typeIiiEELj512ELj4ELj10EEvPKT0_PS4_ ; -- Begin function _Z17sort_pairs_kernelI22helper_blocked_blockedN15benchmark_utils11custom_typeIiiEELj512ELj4ELj10EEvPKT0_PS4_
	.globl	_Z17sort_pairs_kernelI22helper_blocked_blockedN15benchmark_utils11custom_typeIiiEELj512ELj4ELj10EEvPKT0_PS4_
	.p2align	8
	.type	_Z17sort_pairs_kernelI22helper_blocked_blockedN15benchmark_utils11custom_typeIiiEELj512ELj4ELj10EEvPKT0_PS4_,@function
_Z17sort_pairs_kernelI22helper_blocked_blockedN15benchmark_utils11custom_typeIiiEELj512ELj4ELj10EEvPKT0_PS4_: ; @_Z17sort_pairs_kernelI22helper_blocked_blockedN15benchmark_utils11custom_typeIiiEELj512ELj4ELj10EEvPKT0_PS4_
; %bb.0:
	s_clause 0x1
	s_load_b128 s[16:19], s[0:1], 0x0
	s_load_b32 s13, s[0:1], 0x1c
	v_mbcnt_lo_u32_b32 v9, -1, 0
	s_mov_b32 s23, 0
	s_lshl_b32 s22, s15, 11
	s_mov_b32 s24, s23
	s_lshl_b64 s[20:21], s[22:23], 3
	v_add_nc_u32_e32 v14, -1, v9
	v_and_b32_e32 v18, 0x3ff, v0
	v_and_b32_e32 v11, 16, v9
	;; [unrolled: 1-line block ×4, first 2 shown]
	s_mov_b32 s22, s23
	v_lshlrev_b32_e32 v1, 3, v18
	v_cmp_eq_u32_e64 s9, 0, v11
	v_cmp_eq_u32_e64 s5, 0, v10
	v_cmp_lt_u32_e64 s6, 1, v10
	v_cmp_lt_u32_e64 s7, 3, v10
	;; [unrolled: 1-line block ×3, first 2 shown]
	v_or_b32_e32 v34, 32, v33
	s_waitcnt lgkmcnt(0)
	s_add_u32 s0, s16, s20
	s_addc_u32 s1, s17, s21
	v_add_co_u32 v5, s2, s0, v1
	s_delay_alu instid0(VALU_DEP_1)
	v_add_co_ci_u32_e64 v6, null, s1, 0, s2
	global_load_b64 v[1:2], v1, s[0:1]
	v_add_co_u32 v3, vcc_lo, v5, 0x2000
	v_add_co_ci_u32_e32 v4, vcc_lo, 0, v6, vcc_lo
	v_add_co_u32 v7, vcc_lo, 0x3000, v5
	v_add_co_ci_u32_e32 v8, vcc_lo, 0, v6, vcc_lo
	s_clause 0x2
	global_load_b64 v[12:13], v[3:4], off offset:-4096
	global_load_b64 v[5:6], v[3:4], off
	global_load_b64 v[3:4], v[7:8], off
	v_bfe_u32 v8, v0, 10, 10
	v_bfe_u32 v0, v0, 20, 10
	v_cmp_gt_i32_e32 vcc_lo, 0, v14
	s_lshr_b32 s14, s13, 16
	v_and_b32_e32 v7, 3, v9
	s_and_b32 s13, s13, 0xffff
	v_mad_u32_u24 v0, v0, s14, v8
	v_cndmask_b32_e32 v11, v14, v9, vcc_lo
	v_mul_u32_u24_e32 v19, 28, v18
	v_lshlrev_b32_e32 v37, 5, v18
	v_lshrrev_b32_e32 v14, 3, v18
	v_lshlrev_b32_e32 v15, 2, v18
	v_cmp_eq_u32_e64 s1, 0, v7
	v_cmp_eq_u32_e64 s2, 1, v7
	v_cmp_eq_u32_e64 s3, 2, v7
	v_cmp_eq_u32_e64 s4, 3, v7
	v_mad_u64_u32 v[7:8], null, v0, s13, v[18:19]
	v_or_b32_e32 v10, 31, v18
	v_and_b32_e32 v39, 60, v14
	v_and_or_b32 v0, 0x780, v15, v9
	v_mad_i32_i24 v41, 0xffffffe4, v18, v37
	v_cmp_eq_u32_e64 s0, 0, v9
	v_or_b32_e32 v35, 64, v33
	v_or_b32_e32 v36, 0x60, v33
	v_cmp_gt_u32_e64 s10, 16, v18
	v_cmp_lt_u32_e64 s11, 31, v18
	v_cmp_eq_u32_e64 s12, 0, v18
	v_add_nc_u32_e32 v38, 64, v37
	v_cmp_eq_u32_e64 s13, v10, v18
	v_lshlrev_b32_e32 v40, 2, v11
	v_add_nc_u32_e32 v42, -4, v39
	v_lshlrev_b32_e32 v43, 3, v0
	v_lshrrev_b32_e32 v44, 5, v7
	v_add_nc_u32_e32 v45, v41, v19
	s_mov_b32 s25, s23
	s_mov_b32 s17, s23
	s_waitcnt vmcnt(3)
	v_add_nc_u32_e32 v15, 1, v2
	v_add_nc_u32_e32 v14, 1, v1
	s_waitcnt vmcnt(2)
	v_add_nc_u32_e32 v17, 1, v13
	v_add_nc_u32_e32 v16, 1, v12
	;; [unrolled: 3-line block ×4, first 2 shown]
	s_branch .LBB189_2
.LBB189_1:                              ;   in Loop: Header=BB189_2 Depth=1
	s_barrier
	buffer_gl0_inv
	ds_store_b64 v46, v[16:17]
	ds_store_b64 v47, v[27:28]
	;; [unrolled: 1-line block ×4, first 2 shown]
	s_waitcnt lgkmcnt(0)
	s_barrier
	buffer_gl0_inv
	ds_load_2addr_b64 v[1:4], v45 offset1:1
	ds_load_2addr_b64 v[27:30], v45 offset0:2 offset1:3
	s_waitcnt lgkmcnt(0)
	s_barrier
	buffer_gl0_inv
	ds_store_b64 v46, v[21:22]
	ds_store_b64 v47, v[19:20]
	;; [unrolled: 1-line block ×4, first 2 shown]
	s_waitcnt lgkmcnt(0)
	s_barrier
	buffer_gl0_inv
	ds_load_2addr_b64 v[14:17], v45 offset1:1
	ds_load_2addr_b64 v[8:11], v45 offset0:2 offset1:3
	s_add_i32 s17, s17, 1
	s_delay_alu instid0(SALU_CYCLE_1)
	s_cmp_lg_u32 s17, 10
	v_xor_b32_e32 v1, 0x80000000, v1
	v_xor_b32_e32 v2, 0x80000000, v2
	;; [unrolled: 1-line block ×8, first 2 shown]
	s_cbranch_scc0 .LBB189_20
.LBB189_2:                              ; =>This Loop Header: Depth=1
                                        ;     Child Loop BB189_4 Depth 2
	v_xor_b32_e32 v0, 0x80000000, v2
	v_xor_b32_e32 v2, 0x80000000, v1
	;; [unrolled: 1-line block ×5, first 2 shown]
	ds_bpermute_b32 v1, v33, v0
	ds_bpermute_b32 v3, v33, v2
	v_xor_b32_e32 v5, 0x80000000, v5
	ds_bpermute_b32 v19, v33, v12
	v_xor_b32_e32 v6, 0x80000000, v6
	ds_bpermute_b32 v20, v33, v7
	ds_bpermute_b32 v22, v34, v0
	v_xor_b32_e32 v4, 0x80000000, v4
	ds_bpermute_b32 v21, v33, v5
	ds_bpermute_b32 v23, v33, v6
	;; [unrolled: 1-line block ×12, first 2 shown]
	s_waitcnt lgkmcnt(16)
	v_cndmask_b32_e64 v1, 0, v1, s1
	ds_bpermute_b32 v48, v35, v12
	s_waitcnt lgkmcnt(16)
	v_cndmask_b32_e64 v3, 0, v3, s1
	ds_bpermute_b32 v46, v34, v13
	ds_bpermute_b32 v47, v34, v4
	s_waitcnt lgkmcnt(17)
	v_cndmask_b32_e64 v1, v1, v19, s2
	ds_bpermute_b32 v19, v35, v5
	ds_bpermute_b32 v50, v35, v6
	s_waitcnt lgkmcnt(17)
	v_cndmask_b32_e64 v22, 0, v22, s1
	v_cndmask_b32_e64 v3, v3, v20, s2
	s_waitcnt lgkmcnt(15)
	v_cndmask_b32_e64 v1, v1, v23, s3
	s_waitcnt lgkmcnt(14)
	v_cndmask_b32_e64 v20, 0, v25, s1
	ds_bpermute_b32 v23, v36, v0
	s_waitcnt lgkmcnt(14)
	v_cndmask_b32_e64 v0, v22, v27, s2
	v_cndmask_b32_e64 v3, v3, v21, s3
	s_waitcnt lgkmcnt(13)
	v_cndmask_b32_e64 v22, 0, v32, s1
	s_waitcnt lgkmcnt(11)
	;; [unrolled: 2-line block ×4, first 2 shown]
	v_cndmask_b32_e64 v21, 0, v31, s1
	ds_bpermute_b32 v25, v36, v2
	v_cndmask_b32_e64 v2, v0, v30, s3
	s_waitcnt lgkmcnt(8)
	v_cndmask_b32_e64 v22, v22, v49, s2
	v_cndmask_b32_e64 v0, v3, v24, s4
	ds_bpermute_b32 v12, v36, v12
	ds_bpermute_b32 v24, v33, v15
	;; [unrolled: 1-line block ×3, first 2 shown]
	s_waitcnt lgkmcnt(10)
	v_cndmask_b32_e64 v20, v20, v29, s3
	s_waitcnt lgkmcnt(9)
	v_cndmask_b32_e64 v21, v21, v48, s2
	;; [unrolled: 2-line block ×3, first 2 shown]
	ds_bpermute_b32 v22, v35, v4
	ds_bpermute_b32 v7, v36, v7
	;; [unrolled: 1-line block ×4, first 2 shown]
	v_cndmask_b32_e64 v3, v2, v47, s4
	v_cndmask_b32_e64 v2, v20, v46, s4
	s_waitcnt lgkmcnt(9)
	v_cndmask_b32_e64 v20, v21, v50, s3
	ds_bpermute_b32 v21, v35, v13
	ds_bpermute_b32 v6, v36, v6
	;; [unrolled: 1-line block ×7, first 2 shown]
	s_waitcnt lgkmcnt(15)
	v_cndmask_b32_e64 v23, 0, v23, s1
	ds_bpermute_b32 v30, v36, v4
	ds_bpermute_b32 v13, v36, v13
	;; [unrolled: 1-line block ×6, first 2 shown]
	s_waitcnt lgkmcnt(20)
	v_cndmask_b32_e64 v25, 0, v25, s1
	s_waitcnt lgkmcnt(19)
	v_cndmask_b32_e64 v4, v23, v12, s2
	;; [unrolled: 2-line block ×6, first 2 shown]
	ds_bpermute_b32 v25, v35, v17
	s_waitcnt lgkmcnt(15)
	v_cndmask_b32_e64 v12, v12, v27, s2
	s_waitcnt lgkmcnt(14)
	v_cndmask_b32_e64 v20, v23, v28, s2
	;; [unrolled: 2-line block ×3, first 2 shown]
	v_cndmask_b32_e64 v4, v19, v21, s4
	s_waitcnt lgkmcnt(11)
	v_cndmask_b32_e64 v19, v7, v29, s3
	s_waitcnt lgkmcnt(10)
	;; [unrolled: 2-line block ×11, first 2 shown]
	v_cndmask_b32_e64 v20, v22, v51, s2
	ds_bpermute_b32 v21, v34, v9
	ds_bpermute_b32 v22, v35, v15
	;; [unrolled: 1-line block ×19, first 2 shown]
	s_mov_b32 s26, 8
	s_waitcnt lgkmcnt(18)
	v_cndmask_b32_e64 v19, v19, v21, s3
	s_waitcnt lgkmcnt(17)
	v_cndmask_b32_e64 v21, 0, v22, s1
	;; [unrolled: 2-line block ×5, first 2 shown]
	s_mov_b32 s27, 32
	v_cndmask_b32_e64 v21, v21, v25, s2
	s_waitcnt lgkmcnt(13)
	v_cndmask_b32_e64 v22, v22, v26, s2
	s_waitcnt lgkmcnt(12)
	;; [unrolled: 2-line block ×14, first 2 shown]
	v_cndmask_b32_e64 v10, v21, v10, s4
	s_mov_b32 s28, 0
	s_barrier
	s_branch .LBB189_4
.LBB189_3:                              ;   in Loop: Header=BB189_4 Depth=2
	s_barrier
	buffer_gl0_inv
	ds_store_b64 v46, v[16:17]
	ds_store_b64 v47, v[27:28]
	ds_store_b64 v48, v[31:32]
	ds_store_b64 v49, v[29:30]
	s_waitcnt lgkmcnt(0)
	s_barrier
	buffer_gl0_inv
	ds_load_2addr_b64 v[0:3], v43 offset1:32
	ds_load_2addr_b64 v[4:7], v43 offset0:64 offset1:96
	s_waitcnt lgkmcnt(0)
	s_barrier
	buffer_gl0_inv
	ds_store_b64 v46, v[21:22]
	ds_store_b64 v47, v[19:20]
	;; [unrolled: 1-line block ×4, first 2 shown]
	s_waitcnt lgkmcnt(0)
	s_barrier
	buffer_gl0_inv
	ds_load_2addr_b64 v[12:15], v43 offset1:32
	ds_load_2addr_b64 v[8:11], v43 offset0:64 offset1:96
	s_add_i32 s27, s27, -8
	s_add_i32 s26, s26, 8
	s_add_i32 s28, s28, 8
	s_waitcnt lgkmcnt(0)
	s_barrier
	s_cbranch_execz .LBB189_1
.LBB189_4:                              ;   Parent Loop BB189_2 Depth=1
                                        ; =>  This Inner Loop Header: Depth=2
	s_min_i32 s15, s26, 32
	s_cmp_lt_u32 s28, 32
	v_dual_mov_b32 v17, v1 :: v_dual_mov_b32 v16, v0
	s_cselect_b32 vcc_lo, -1, 0
	s_cmp_gt_u32 s28, 24
	v_mov_b32_e32 v30, v7
	s_cselect_b32 s14, -1, 0
	s_sub_i32 s15, s15, 32
	v_lshrrev_b32_e32 v1, s28, v17
	s_add_i32 s16, s15, s27
	v_mov_b32_e32 v32, v5
	s_lshl_b32 s16, -1, s16
	buffer_gl0_inv
	s_not_b32 s16, s16
	s_cmp_lg_u32 s15, s28
	v_mov_b32_e32 v28, v3
	s_cselect_b32 s29, s16, -1
	s_max_i32 s30, s27, 0
	s_max_i32 s15, s28, 32
	v_and_b32_e32 v1, s29, v1
	s_sub_i32 s16, s15, s30
	s_sub_i32 s31, s15, 32
	;; [unrolled: 1-line block ×3, first 2 shown]
	v_lshrrev_b32_e32 v0, s31, v16
	s_min_i32 s15, s16, 32
	v_cndmask_b32_e32 v1, 0, v1, vcc_lo
	s_sub_i32 s15, s15, s31
	v_mov_b32_e32 v27, v2
	s_lshl_b32 s16, -1, s15
	v_mov_b32_e32 v29, v6
	s_not_b32 s16, s16
	s_cmp_lg_u32 s15, 32
	v_mov_b32_e32 v31, v4
	s_cselect_b32 s33, s16, -1
	s_delay_alu instid0(SALU_CYCLE_1) | instskip(NEXT) | instid1(VALU_DEP_1)
	v_and_b32_e32 v0, s33, v0
	v_lshlrev_b32_e32 v0, s30, v0
	s_delay_alu instid0(VALU_DEP_1) | instskip(NEXT) | instid1(VALU_DEP_1)
	v_cndmask_b32_e64 v0, 0, v0, s14
	v_or_b32_e32 v46, v1, v0
	s_delay_alu instid0(VALU_DEP_1)
	v_and_b32_e32 v0, 1, v46
	v_lshlrev_b32_e32 v1, 30, v46
	v_lshlrev_b32_e32 v19, 29, v46
	;; [unrolled: 1-line block ×4, first 2 shown]
	v_add_co_u32 v0, s15, v0, -1
	s_delay_alu instid0(VALU_DEP_1)
	v_cndmask_b32_e64 v21, 0, 1, s15
	v_not_b32_e32 v25, v1
	v_cmp_gt_i32_e64 s16, 0, v1
	v_lshlrev_b32_e32 v23, 26, v46
	v_lshlrev_b32_e32 v24, 25, v46
	v_cmp_ne_u32_e64 s15, 0, v21
	v_ashrrev_i32_e32 v25, 31, v25
	v_lshlrev_b32_e32 v21, 24, v46
	s_delay_alu instid0(VALU_DEP_3) | instskip(NEXT) | instid1(VALU_DEP_3)
	v_xor_b32_e32 v0, s15, v0
	v_xor_b32_e32 v25, s16, v25
	s_delay_alu instid0(VALU_DEP_2) | instskip(NEXT) | instid1(VALU_DEP_1)
	v_and_b32_e32 v0, exec_lo, v0
	v_and_b32_e32 v0, v0, v25
	v_mov_b32_e32 v26, v9
	v_not_b32_e32 v1, v19
	v_cmp_gt_i32_e64 s15, 0, v19
	v_mov_b32_e32 v25, v8
	v_not_b32_e32 v19, v20
	v_cmp_gt_i32_e64 s16, 0, v20
	v_ashrrev_i32_e32 v1, 31, v1
	v_not_b32_e32 v20, v22
	s_delay_alu instid0(VALU_DEP_4) | instskip(NEXT) | instid1(VALU_DEP_3)
	v_ashrrev_i32_e32 v19, 31, v19
	v_xor_b32_e32 v1, s15, v1
	v_cmp_gt_i32_e64 s15, 0, v22
	v_not_b32_e32 v22, v23
	v_ashrrev_i32_e32 v20, 31, v20
	v_xor_b32_e32 v19, s16, v19
	v_and_b32_e32 v0, v0, v1
	v_cmp_gt_i32_e64 s16, 0, v23
	v_not_b32_e32 v1, v24
	v_ashrrev_i32_e32 v22, 31, v22
	v_xor_b32_e32 v20, s15, v20
	v_and_b32_e32 v0, v0, v19
	;; [unrolled: 5-line block ×3, first 2 shown]
	v_cmp_gt_i32_e64 s16, 0, v21
	v_ashrrev_i32_e32 v23, 31, v19
	v_xor_b32_e32 v1, s15, v1
	v_mov_b32_e32 v20, v15
	v_and_b32_e32 v0, v0, v22
	v_dual_mov_b32 v22, v13 :: v_dual_mov_b32 v21, v12
	v_xor_b32_e32 v12, s16, v23
	v_mov_b32_e32 v24, v11
	s_delay_alu instid0(VALU_DEP_4) | instskip(SKIP_2) | instid1(VALU_DEP_3)
	v_dual_mov_b32 v23, v10 :: v_dual_and_b32 v0, v0, v1
	v_mov_b32_e32 v1, s22
	v_dual_mov_b32 v9, s24 :: v_dual_mov_b32 v2, s23
	v_and_b32_e32 v0, v0, v12
	v_mov_b32_e32 v10, s25
	ds_store_2addr_b64 v37, v[1:2], v[9:10] offset0:8 offset1:9
	ds_store_2addr_b64 v38, v[1:2], v[9:10] offset0:2 offset1:3
	v_mbcnt_lo_u32_b32 v8, v0, 0
	v_lshl_add_u32 v1, v46, 4, v44
	v_cmp_ne_u32_e64 s16, 0, v0
	v_mov_b32_e32 v19, v14
	s_waitcnt lgkmcnt(0)
	v_cmp_eq_u32_e64 s15, 0, v8
	v_lshl_add_u32 v9, v1, 2, 64
	s_barrier
	buffer_gl0_inv
	s_and_b32 s16, s15, s16
	; wave barrier
	s_delay_alu instid0(SALU_CYCLE_1)
	s_and_saveexec_b32 s15, s16
	s_cbranch_execz .LBB189_6
; %bb.5:                                ;   in Loop: Header=BB189_4 Depth=2
	v_bcnt_u32_b32 v0, v0, 0
	ds_store_b32 v9, v0
.LBB189_6:                              ;   in Loop: Header=BB189_4 Depth=2
	s_or_b32 exec_lo, exec_lo, s15
	v_lshrrev_b32_e32 v0, s31, v27
	v_lshrrev_b32_e32 v1, s28, v28
	; wave barrier
	s_delay_alu instid0(VALU_DEP_1) | instskip(NEXT) | instid1(VALU_DEP_1)
	v_and_b32_e32 v1, s29, v1
	v_dual_cndmask_b32 v1, 0, v1 :: v_dual_and_b32 v0, s33, v0
	s_delay_alu instid0(VALU_DEP_1) | instskip(NEXT) | instid1(VALU_DEP_1)
	v_lshlrev_b32_e32 v0, s30, v0
	v_cndmask_b32_e64 v0, 0, v0, s14
	s_delay_alu instid0(VALU_DEP_1) | instskip(NEXT) | instid1(VALU_DEP_1)
	v_or_b32_e32 v0, v1, v0
	v_and_b32_e32 v1, 1, v0
	v_lshlrev_b32_e32 v2, 30, v0
	v_lshlrev_b32_e32 v3, 29, v0
	;; [unrolled: 1-line block ×4, first 2 shown]
	v_add_co_u32 v1, s15, v1, -1
	s_delay_alu instid0(VALU_DEP_1)
	v_cndmask_b32_e64 v5, 0, 1, s15
	v_not_b32_e32 v11, v2
	v_cmp_gt_i32_e64 s16, 0, v2
	v_not_b32_e32 v2, v3
	v_lshlrev_b32_e32 v7, 26, v0
	v_cmp_ne_u32_e64 s15, 0, v5
	v_ashrrev_i32_e32 v11, 31, v11
	v_lshlrev_b32_e32 v10, 25, v0
	v_ashrrev_i32_e32 v2, 31, v2
	v_lshlrev_b32_e32 v5, 24, v0
	v_xor_b32_e32 v1, s15, v1
	v_cmp_gt_i32_e64 s15, 0, v3
	v_not_b32_e32 v3, v4
	v_xor_b32_e32 v11, s16, v11
	v_cmp_gt_i32_e64 s16, 0, v4
	v_and_b32_e32 v1, exec_lo, v1
	v_not_b32_e32 v4, v6
	v_ashrrev_i32_e32 v3, 31, v3
	v_xor_b32_e32 v2, s15, v2
	v_cmp_gt_i32_e64 s15, 0, v6
	v_and_b32_e32 v1, v1, v11
	v_not_b32_e32 v6, v7
	v_ashrrev_i32_e32 v4, 31, v4
	v_xor_b32_e32 v3, s16, v3
	v_cmp_gt_i32_e64 s16, 0, v7
	v_and_b32_e32 v1, v1, v2
	;; [unrolled: 5-line block ×3, first 2 shown]
	v_not_b32_e32 v3, v5
	v_ashrrev_i32_e32 v2, 31, v2
	v_xor_b32_e32 v6, s16, v6
	v_lshlrev_b32_e32 v0, 4, v0
	v_and_b32_e32 v1, v1, v4
	v_cmp_gt_i32_e64 s16, 0, v5
	v_ashrrev_i32_e32 v3, 31, v3
	v_xor_b32_e32 v2, s15, v2
	v_add_lshl_u32 v4, v0, v44, 2
	v_and_b32_e32 v1, v1, v6
	s_delay_alu instid0(VALU_DEP_4) | instskip(SKIP_3) | instid1(VALU_DEP_2)
	v_xor_b32_e32 v0, s16, v3
	ds_load_b32 v10, v4 offset:64
	v_and_b32_e32 v1, v1, v2
	v_add_nc_u32_e32 v12, 64, v4
	; wave barrier
	v_and_b32_e32 v0, v1, v0
	s_delay_alu instid0(VALU_DEP_1) | instskip(SKIP_1) | instid1(VALU_DEP_2)
	v_mbcnt_lo_u32_b32 v11, v0, 0
	v_cmp_ne_u32_e64 s16, 0, v0
	v_cmp_eq_u32_e64 s15, 0, v11
	s_delay_alu instid0(VALU_DEP_1) | instskip(NEXT) | instid1(SALU_CYCLE_1)
	s_and_b32 s16, s15, s16
	s_and_saveexec_b32 s15, s16
	s_cbranch_execz .LBB189_8
; %bb.7:                                ;   in Loop: Header=BB189_4 Depth=2
	s_waitcnt lgkmcnt(0)
	v_bcnt_u32_b32 v0, v0, v10
	ds_store_b32 v12, v0
.LBB189_8:                              ;   in Loop: Header=BB189_4 Depth=2
	s_or_b32 exec_lo, exec_lo, s15
	v_lshrrev_b32_e32 v0, s31, v31
	v_lshrrev_b32_e32 v1, s28, v32
	; wave barrier
	s_delay_alu instid0(VALU_DEP_1) | instskip(NEXT) | instid1(VALU_DEP_1)
	v_and_b32_e32 v1, s29, v1
	v_dual_cndmask_b32 v1, 0, v1 :: v_dual_and_b32 v0, s33, v0
	s_delay_alu instid0(VALU_DEP_1) | instskip(NEXT) | instid1(VALU_DEP_1)
	v_lshlrev_b32_e32 v0, s30, v0
	v_cndmask_b32_e64 v0, 0, v0, s14
	s_delay_alu instid0(VALU_DEP_1) | instskip(NEXT) | instid1(VALU_DEP_1)
	v_or_b32_e32 v0, v1, v0
	v_and_b32_e32 v1, 1, v0
	v_lshlrev_b32_e32 v2, 30, v0
	v_lshlrev_b32_e32 v3, 29, v0
	;; [unrolled: 1-line block ×4, first 2 shown]
	v_add_co_u32 v1, s15, v1, -1
	s_delay_alu instid0(VALU_DEP_1)
	v_cndmask_b32_e64 v5, 0, 1, s15
	v_not_b32_e32 v14, v2
	v_cmp_gt_i32_e64 s16, 0, v2
	v_not_b32_e32 v2, v3
	v_lshlrev_b32_e32 v7, 26, v0
	v_cmp_ne_u32_e64 s15, 0, v5
	v_ashrrev_i32_e32 v14, 31, v14
	v_lshlrev_b32_e32 v13, 25, v0
	v_ashrrev_i32_e32 v2, 31, v2
	v_lshlrev_b32_e32 v5, 24, v0
	v_xor_b32_e32 v1, s15, v1
	v_cmp_gt_i32_e64 s15, 0, v3
	v_not_b32_e32 v3, v4
	v_xor_b32_e32 v14, s16, v14
	v_cmp_gt_i32_e64 s16, 0, v4
	v_and_b32_e32 v1, exec_lo, v1
	v_not_b32_e32 v4, v6
	v_ashrrev_i32_e32 v3, 31, v3
	v_xor_b32_e32 v2, s15, v2
	v_cmp_gt_i32_e64 s15, 0, v6
	v_and_b32_e32 v1, v1, v14
	v_not_b32_e32 v6, v7
	v_ashrrev_i32_e32 v4, 31, v4
	v_xor_b32_e32 v3, s16, v3
	v_cmp_gt_i32_e64 s16, 0, v7
	v_and_b32_e32 v1, v1, v2
	;; [unrolled: 5-line block ×3, first 2 shown]
	v_not_b32_e32 v3, v5
	v_ashrrev_i32_e32 v2, 31, v2
	v_xor_b32_e32 v6, s16, v6
	v_lshlrev_b32_e32 v0, 4, v0
	v_and_b32_e32 v1, v1, v4
	v_cmp_gt_i32_e64 s16, 0, v5
	v_ashrrev_i32_e32 v3, 31, v3
	v_xor_b32_e32 v2, s15, v2
	v_add_lshl_u32 v4, v0, v44, 2
	v_and_b32_e32 v1, v1, v6
	s_delay_alu instid0(VALU_DEP_4) | instskip(SKIP_3) | instid1(VALU_DEP_2)
	v_xor_b32_e32 v0, s16, v3
	ds_load_b32 v13, v4 offset:64
	v_and_b32_e32 v1, v1, v2
	v_add_nc_u32_e32 v15, 64, v4
	; wave barrier
	v_and_b32_e32 v0, v1, v0
	s_delay_alu instid0(VALU_DEP_1) | instskip(SKIP_1) | instid1(VALU_DEP_2)
	v_mbcnt_lo_u32_b32 v14, v0, 0
	v_cmp_ne_u32_e64 s16, 0, v0
	v_cmp_eq_u32_e64 s15, 0, v14
	s_delay_alu instid0(VALU_DEP_1) | instskip(NEXT) | instid1(SALU_CYCLE_1)
	s_and_b32 s16, s15, s16
	s_and_saveexec_b32 s15, s16
	s_cbranch_execz .LBB189_10
; %bb.9:                                ;   in Loop: Header=BB189_4 Depth=2
	s_waitcnt lgkmcnt(0)
	v_bcnt_u32_b32 v0, v0, v13
	ds_store_b32 v15, v0
.LBB189_10:                             ;   in Loop: Header=BB189_4 Depth=2
	s_or_b32 exec_lo, exec_lo, s15
	v_lshrrev_b32_e32 v0, s31, v29
	v_lshrrev_b32_e32 v1, s28, v30
	; wave barrier
	s_delay_alu instid0(VALU_DEP_1) | instskip(NEXT) | instid1(VALU_DEP_1)
	v_and_b32_e32 v1, s29, v1
	v_dual_cndmask_b32 v1, 0, v1 :: v_dual_and_b32 v0, s33, v0
	s_delay_alu instid0(VALU_DEP_1) | instskip(NEXT) | instid1(VALU_DEP_1)
	v_lshlrev_b32_e32 v0, s30, v0
	v_cndmask_b32_e64 v0, 0, v0, s14
	s_delay_alu instid0(VALU_DEP_1) | instskip(NEXT) | instid1(VALU_DEP_1)
	v_or_b32_e32 v0, v1, v0
	v_and_b32_e32 v1, 1, v0
	v_lshlrev_b32_e32 v2, 30, v0
	v_lshlrev_b32_e32 v3, 29, v0
	;; [unrolled: 1-line block ×4, first 2 shown]
	v_add_co_u32 v1, s14, v1, -1
	s_delay_alu instid0(VALU_DEP_1)
	v_cndmask_b32_e64 v5, 0, 1, s14
	v_not_b32_e32 v47, v2
	v_cmp_gt_i32_e64 s14, 0, v2
	v_not_b32_e32 v2, v3
	v_lshlrev_b32_e32 v7, 26, v0
	v_cmp_ne_u32_e32 vcc_lo, 0, v5
	v_ashrrev_i32_e32 v47, 31, v47
	v_lshlrev_b32_e32 v46, 25, v0
	v_ashrrev_i32_e32 v2, 31, v2
	v_lshlrev_b32_e32 v5, 24, v0
	v_xor_b32_e32 v1, vcc_lo, v1
	v_cmp_gt_i32_e32 vcc_lo, 0, v3
	v_not_b32_e32 v3, v4
	v_xor_b32_e32 v47, s14, v47
	v_cmp_gt_i32_e64 s14, 0, v4
	v_and_b32_e32 v1, exec_lo, v1
	v_not_b32_e32 v4, v6
	v_ashrrev_i32_e32 v3, 31, v3
	v_xor_b32_e32 v2, vcc_lo, v2
	v_cmp_gt_i32_e32 vcc_lo, 0, v6
	v_and_b32_e32 v1, v1, v47
	v_not_b32_e32 v6, v7
	v_ashrrev_i32_e32 v4, 31, v4
	v_xor_b32_e32 v3, s14, v3
	v_cmp_gt_i32_e64 s14, 0, v7
	v_and_b32_e32 v1, v1, v2
	v_not_b32_e32 v2, v46
	v_ashrrev_i32_e32 v6, 31, v6
	v_xor_b32_e32 v4, vcc_lo, v4
	v_cmp_gt_i32_e32 vcc_lo, 0, v46
	v_and_b32_e32 v1, v1, v3
	v_not_b32_e32 v3, v5
	v_ashrrev_i32_e32 v2, 31, v2
	v_xor_b32_e32 v6, s14, v6
	v_lshlrev_b32_e32 v0, 4, v0
	v_and_b32_e32 v1, v1, v4
	v_cmp_gt_i32_e64 s14, 0, v5
	v_ashrrev_i32_e32 v3, 31, v3
	v_xor_b32_e32 v2, vcc_lo, v2
	v_add_lshl_u32 v4, v0, v44, 2
	v_and_b32_e32 v1, v1, v6
	s_delay_alu instid0(VALU_DEP_4) | instskip(SKIP_3) | instid1(VALU_DEP_2)
	v_xor_b32_e32 v0, s14, v3
	ds_load_b32 v46, v4 offset:64
	v_and_b32_e32 v1, v1, v2
	v_add_nc_u32_e32 v48, 64, v4
	; wave barrier
	v_and_b32_e32 v0, v1, v0
	s_delay_alu instid0(VALU_DEP_1) | instskip(SKIP_1) | instid1(VALU_DEP_2)
	v_mbcnt_lo_u32_b32 v47, v0, 0
	v_cmp_ne_u32_e64 s14, 0, v0
	v_cmp_eq_u32_e32 vcc_lo, 0, v47
	s_delay_alu instid0(VALU_DEP_2) | instskip(NEXT) | instid1(SALU_CYCLE_1)
	s_and_b32 s15, vcc_lo, s14
	s_and_saveexec_b32 s14, s15
	s_cbranch_execz .LBB189_12
; %bb.11:                               ;   in Loop: Header=BB189_4 Depth=2
	s_waitcnt lgkmcnt(0)
	v_bcnt_u32_b32 v0, v0, v46
	ds_store_b32 v48, v0
.LBB189_12:                             ;   in Loop: Header=BB189_4 Depth=2
	s_or_b32 exec_lo, exec_lo, s14
	; wave barrier
	s_waitcnt lgkmcnt(0)
	s_barrier
	buffer_gl0_inv
	ds_load_2addr_b64 v[4:7], v37 offset0:8 offset1:9
	ds_load_2addr_b64 v[0:3], v38 offset0:2 offset1:3
	s_waitcnt lgkmcnt(1)
	v_add_nc_u32_e32 v49, v5, v4
	s_delay_alu instid0(VALU_DEP_1) | instskip(SKIP_1) | instid1(VALU_DEP_1)
	v_add3_u32 v49, v49, v6, v7
	s_waitcnt lgkmcnt(0)
	v_add3_u32 v49, v49, v0, v1
	s_delay_alu instid0(VALU_DEP_1) | instskip(NEXT) | instid1(VALU_DEP_1)
	v_add3_u32 v3, v49, v2, v3
	v_mov_b32_dpp v49, v3 row_shr:1 row_mask:0xf bank_mask:0xf
	s_delay_alu instid0(VALU_DEP_1) | instskip(NEXT) | instid1(VALU_DEP_1)
	v_cndmask_b32_e64 v49, v49, 0, s5
	v_add_nc_u32_e32 v3, v49, v3
	s_delay_alu instid0(VALU_DEP_1) | instskip(NEXT) | instid1(VALU_DEP_1)
	v_mov_b32_dpp v49, v3 row_shr:2 row_mask:0xf bank_mask:0xf
	v_cndmask_b32_e64 v49, 0, v49, s6
	s_delay_alu instid0(VALU_DEP_1) | instskip(NEXT) | instid1(VALU_DEP_1)
	v_add_nc_u32_e32 v3, v3, v49
	v_mov_b32_dpp v49, v3 row_shr:4 row_mask:0xf bank_mask:0xf
	s_delay_alu instid0(VALU_DEP_1) | instskip(NEXT) | instid1(VALU_DEP_1)
	v_cndmask_b32_e64 v49, 0, v49, s7
	v_add_nc_u32_e32 v3, v3, v49
	s_delay_alu instid0(VALU_DEP_1) | instskip(NEXT) | instid1(VALU_DEP_1)
	v_mov_b32_dpp v49, v3 row_shr:8 row_mask:0xf bank_mask:0xf
	v_cndmask_b32_e64 v49, 0, v49, s8
	s_delay_alu instid0(VALU_DEP_1) | instskip(SKIP_3) | instid1(VALU_DEP_1)
	v_add_nc_u32_e32 v3, v3, v49
	ds_swizzle_b32 v49, v3 offset:swizzle(BROADCAST,32,15)
	s_waitcnt lgkmcnt(0)
	v_cndmask_b32_e64 v49, v49, 0, s9
	v_add_nc_u32_e32 v3, v3, v49
	s_and_saveexec_b32 s14, s13
	s_cbranch_execz .LBB189_14
; %bb.13:                               ;   in Loop: Header=BB189_4 Depth=2
	ds_store_b32 v39, v3
.LBB189_14:                             ;   in Loop: Header=BB189_4 Depth=2
	s_or_b32 exec_lo, exec_lo, s14
	s_waitcnt lgkmcnt(0)
	s_barrier
	buffer_gl0_inv
	s_and_saveexec_b32 s14, s10
	s_cbranch_execz .LBB189_16
; %bb.15:                               ;   in Loop: Header=BB189_4 Depth=2
	ds_load_b32 v49, v41
	s_waitcnt lgkmcnt(0)
	v_mov_b32_dpp v50, v49 row_shr:1 row_mask:0xf bank_mask:0xf
	s_delay_alu instid0(VALU_DEP_1) | instskip(NEXT) | instid1(VALU_DEP_1)
	v_cndmask_b32_e64 v50, v50, 0, s5
	v_add_nc_u32_e32 v49, v50, v49
	s_delay_alu instid0(VALU_DEP_1) | instskip(NEXT) | instid1(VALU_DEP_1)
	v_mov_b32_dpp v50, v49 row_shr:2 row_mask:0xf bank_mask:0xf
	v_cndmask_b32_e64 v50, 0, v50, s6
	s_delay_alu instid0(VALU_DEP_1) | instskip(NEXT) | instid1(VALU_DEP_1)
	v_add_nc_u32_e32 v49, v49, v50
	v_mov_b32_dpp v50, v49 row_shr:4 row_mask:0xf bank_mask:0xf
	s_delay_alu instid0(VALU_DEP_1) | instskip(NEXT) | instid1(VALU_DEP_1)
	v_cndmask_b32_e64 v50, 0, v50, s7
	v_add_nc_u32_e32 v49, v49, v50
	s_delay_alu instid0(VALU_DEP_1) | instskip(NEXT) | instid1(VALU_DEP_1)
	v_mov_b32_dpp v50, v49 row_shr:8 row_mask:0xf bank_mask:0xf
	v_cndmask_b32_e64 v50, 0, v50, s8
	s_delay_alu instid0(VALU_DEP_1)
	v_add_nc_u32_e32 v49, v49, v50
	ds_store_b32 v41, v49
.LBB189_16:                             ;   in Loop: Header=BB189_4 Depth=2
	s_or_b32 exec_lo, exec_lo, s14
	v_mov_b32_e32 v49, 0
	s_waitcnt lgkmcnt(0)
	s_barrier
	buffer_gl0_inv
	s_and_saveexec_b32 s14, s11
	s_cbranch_execz .LBB189_18
; %bb.17:                               ;   in Loop: Header=BB189_4 Depth=2
	ds_load_b32 v49, v42
.LBB189_18:                             ;   in Loop: Header=BB189_4 Depth=2
	s_or_b32 exec_lo, exec_lo, s14
	s_waitcnt lgkmcnt(0)
	v_add_nc_u32_e32 v3, v49, v3
	s_cmp_gt_u32 s28, 55
	ds_bpermute_b32 v3, v40, v3
	s_waitcnt lgkmcnt(0)
	v_cndmask_b32_e64 v3, v3, v49, s0
	s_delay_alu instid0(VALU_DEP_1) | instskip(NEXT) | instid1(VALU_DEP_1)
	v_cndmask_b32_e64 v3, v3, 0, s12
	v_add_nc_u32_e32 v4, v3, v4
	s_delay_alu instid0(VALU_DEP_1) | instskip(NEXT) | instid1(VALU_DEP_1)
	v_add_nc_u32_e32 v5, v4, v5
	v_add_nc_u32_e32 v6, v5, v6
	s_delay_alu instid0(VALU_DEP_1) | instskip(SKIP_1) | instid1(VALU_DEP_2)
	v_add_nc_u32_e32 v49, v6, v7
	v_lshlrev_b32_e32 v7, 3, v14
	v_add_nc_u32_e32 v50, v49, v0
	s_delay_alu instid0(VALU_DEP_1) | instskip(NEXT) | instid1(VALU_DEP_1)
	v_add_nc_u32_e32 v0, v50, v1
	v_add_nc_u32_e32 v1, v0, v2
	ds_store_2addr_b64 v37, v[3:4], v[5:6] offset0:8 offset1:9
	ds_store_2addr_b64 v38, v[49:50], v[0:1] offset0:2 offset1:3
	s_waitcnt lgkmcnt(0)
	s_barrier
	buffer_gl0_inv
	ds_load_b32 v0, v12
	ds_load_b32 v1, v15
	;; [unrolled: 1-line block ×4, first 2 shown]
	v_lshlrev_b32_e32 v4, 3, v8
	v_lshlrev_b32_e32 v5, 3, v11
	;; [unrolled: 1-line block ×6, first 2 shown]
	s_waitcnt lgkmcnt(0)
	v_lshlrev_b32_e32 v0, 3, v0
	v_lshlrev_b32_e32 v1, 3, v1
	;; [unrolled: 1-line block ×3, first 2 shown]
	v_lshl_add_u32 v46, v3, 3, v4
	s_delay_alu instid0(VALU_DEP_4) | instskip(NEXT) | instid1(VALU_DEP_4)
	v_add3_u32 v47, v5, v6, v0
	v_add3_u32 v48, v7, v8, v1
	s_delay_alu instid0(VALU_DEP_4)
	v_add3_u32 v49, v9, v10, v2
	s_cbranch_scc0 .LBB189_3
; %bb.19:                               ;   in Loop: Header=BB189_2 Depth=1
                                        ; implicit-def: $sgpr28
                                        ; implicit-def: $vgpr12_vgpr13
                                        ; implicit-def: $vgpr8_vgpr9
                                        ; implicit-def: $vgpr0_vgpr1
                                        ; implicit-def: $vgpr4_vgpr5
                                        ; implicit-def: $sgpr27
                                        ; implicit-def: $sgpr26
	s_branch .LBB189_1
.LBB189_20:
	s_waitcnt lgkmcnt(1)
	v_add_nc_u32_e32 v0, v1, v14
	v_lshlrev_b32_e32 v14, 3, v18
	s_add_u32 s0, s18, s20
	s_waitcnt lgkmcnt(0)
	v_add_nc_u32_e32 v6, v6, v9
	s_addc_u32 s1, s19, s21
	v_add_nc_u32_e32 v1, v2, v15
	v_add_co_u32 v9, s2, s0, v14
	v_add_nc_u32_e32 v2, v3, v10
	v_add_co_ci_u32_e64 v10, null, s1, 0, s2
	s_delay_alu instid0(VALU_DEP_3) | instskip(SKIP_1) | instid1(VALU_DEP_3)
	v_add_co_u32 v7, vcc_lo, v9, 0x2000
	v_add_nc_u32_e32 v5, v5, v8
	v_add_co_ci_u32_e32 v8, vcc_lo, 0, v10, vcc_lo
	v_add_co_u32 v9, vcc_lo, 0x3000, v9
	v_add_nc_u32_e32 v12, v12, v16
	v_add_nc_u32_e32 v13, v13, v17
	;; [unrolled: 1-line block ×3, first 2 shown]
	v_add_co_ci_u32_e32 v10, vcc_lo, 0, v10, vcc_lo
	s_clause 0x3
	global_store_b64 v14, v[0:1], s[0:1]
	global_store_b64 v[7:8], v[5:6], off
	global_store_b64 v[7:8], v[12:13], off offset:-4096
	global_store_b64 v[9:10], v[2:3], off
	s_nop 0
	s_sendmsg sendmsg(MSG_DEALLOC_VGPRS)
	s_endpgm
	.section	.rodata,"a",@progbits
	.p2align	6, 0x0
	.amdhsa_kernel _Z17sort_pairs_kernelI22helper_blocked_blockedN15benchmark_utils11custom_typeIiiEELj512ELj4ELj10EEvPKT0_PS4_
		.amdhsa_group_segment_fixed_size 16448
		.amdhsa_private_segment_fixed_size 0
		.amdhsa_kernarg_size 272
		.amdhsa_user_sgpr_count 15
		.amdhsa_user_sgpr_dispatch_ptr 0
		.amdhsa_user_sgpr_queue_ptr 0
		.amdhsa_user_sgpr_kernarg_segment_ptr 1
		.amdhsa_user_sgpr_dispatch_id 0
		.amdhsa_user_sgpr_private_segment_size 0
		.amdhsa_wavefront_size32 1
		.amdhsa_uses_dynamic_stack 0
		.amdhsa_enable_private_segment 0
		.amdhsa_system_sgpr_workgroup_id_x 1
		.amdhsa_system_sgpr_workgroup_id_y 0
		.amdhsa_system_sgpr_workgroup_id_z 0
		.amdhsa_system_sgpr_workgroup_info 0
		.amdhsa_system_vgpr_workitem_id 2
		.amdhsa_next_free_vgpr 52
		.amdhsa_next_free_sgpr 34
		.amdhsa_reserve_vcc 1
		.amdhsa_float_round_mode_32 0
		.amdhsa_float_round_mode_16_64 0
		.amdhsa_float_denorm_mode_32 3
		.amdhsa_float_denorm_mode_16_64 3
		.amdhsa_dx10_clamp 1
		.amdhsa_ieee_mode 1
		.amdhsa_fp16_overflow 0
		.amdhsa_workgroup_processor_mode 1
		.amdhsa_memory_ordered 1
		.amdhsa_forward_progress 0
		.amdhsa_shared_vgpr_count 0
		.amdhsa_exception_fp_ieee_invalid_op 0
		.amdhsa_exception_fp_denorm_src 0
		.amdhsa_exception_fp_ieee_div_zero 0
		.amdhsa_exception_fp_ieee_overflow 0
		.amdhsa_exception_fp_ieee_underflow 0
		.amdhsa_exception_fp_ieee_inexact 0
		.amdhsa_exception_int_div_zero 0
	.end_amdhsa_kernel
	.section	.text._Z17sort_pairs_kernelI22helper_blocked_blockedN15benchmark_utils11custom_typeIiiEELj512ELj4ELj10EEvPKT0_PS4_,"axG",@progbits,_Z17sort_pairs_kernelI22helper_blocked_blockedN15benchmark_utils11custom_typeIiiEELj512ELj4ELj10EEvPKT0_PS4_,comdat
.Lfunc_end189:
	.size	_Z17sort_pairs_kernelI22helper_blocked_blockedN15benchmark_utils11custom_typeIiiEELj512ELj4ELj10EEvPKT0_PS4_, .Lfunc_end189-_Z17sort_pairs_kernelI22helper_blocked_blockedN15benchmark_utils11custom_typeIiiEELj512ELj4ELj10EEvPKT0_PS4_
                                        ; -- End function
	.section	.AMDGPU.csdata,"",@progbits
; Kernel info:
; codeLenInByte = 4752
; NumSgprs: 36
; NumVgprs: 52
; ScratchSize: 0
; MemoryBound: 0
; FloatMode: 240
; IeeeMode: 1
; LDSByteSize: 16448 bytes/workgroup (compile time only)
; SGPRBlocks: 4
; VGPRBlocks: 6
; NumSGPRsForWavesPerEU: 36
; NumVGPRsForWavesPerEU: 52
; Occupancy: 16
; WaveLimiterHint : 1
; COMPUTE_PGM_RSRC2:SCRATCH_EN: 0
; COMPUTE_PGM_RSRC2:USER_SGPR: 15
; COMPUTE_PGM_RSRC2:TRAP_HANDLER: 0
; COMPUTE_PGM_RSRC2:TGID_X_EN: 1
; COMPUTE_PGM_RSRC2:TGID_Y_EN: 0
; COMPUTE_PGM_RSRC2:TGID_Z_EN: 0
; COMPUTE_PGM_RSRC2:TIDIG_COMP_CNT: 2
	.section	.text._Z16sort_keys_kernelI22helper_blocked_blockedN15benchmark_utils11custom_typeIiiEELj512ELj8ELj10EEvPKT0_PS4_,"axG",@progbits,_Z16sort_keys_kernelI22helper_blocked_blockedN15benchmark_utils11custom_typeIiiEELj512ELj8ELj10EEvPKT0_PS4_,comdat
	.protected	_Z16sort_keys_kernelI22helper_blocked_blockedN15benchmark_utils11custom_typeIiiEELj512ELj8ELj10EEvPKT0_PS4_ ; -- Begin function _Z16sort_keys_kernelI22helper_blocked_blockedN15benchmark_utils11custom_typeIiiEELj512ELj8ELj10EEvPKT0_PS4_
	.globl	_Z16sort_keys_kernelI22helper_blocked_blockedN15benchmark_utils11custom_typeIiiEELj512ELj8ELj10EEvPKT0_PS4_
	.p2align	8
	.type	_Z16sort_keys_kernelI22helper_blocked_blockedN15benchmark_utils11custom_typeIiiEELj512ELj8ELj10EEvPKT0_PS4_,@function
_Z16sort_keys_kernelI22helper_blocked_blockedN15benchmark_utils11custom_typeIiiEELj512ELj8ELj10EEvPKT0_PS4_: ; @_Z16sort_keys_kernelI22helper_blocked_blockedN15benchmark_utils11custom_typeIiiEELj512ELj8ELj10EEvPKT0_PS4_
; %bb.0:
	s_clause 0x1
	s_load_b128 s[16:19], s[0:1], 0x0
	s_load_b32 s2, s[0:1], 0x1c
	v_and_b32_e32 v16, 0x3ff, v0
	s_mov_b32 s21, 0
	s_lshl_b32 s20, s15, 12
	v_mbcnt_lo_u32_b32 v21, -1, 0
	s_lshl_b64 s[14:15], s[20:21], 3
	v_lshlrev_b32_e32 v15, 3, v16
	v_bfe_u32 v19, v0, 10, 10
	v_bfe_u32 v0, v0, 20, 10
	v_and_b32_e32 v22, 0x1e0, v16
	v_lshlrev_b32_e32 v33, 5, v16
	v_cmp_gt_u32_e64 s6, 16, v16
	v_cmp_lt_u32_e64 s7, 31, v16
	v_cmp_eq_u32_e64 s8, 0, v21
	v_or_b32_e32 v23, v21, v22
	v_mad_i32_i24 v40, 0xffffffe4, v16, v33
	v_add_nc_u32_e32 v36, 64, v33
	v_cmp_eq_u32_e64 s9, 0, v16
	s_mov_b32 s20, s21
	s_waitcnt lgkmcnt(0)
	s_add_u32 s0, s16, s14
	s_addc_u32 s1, s17, s15
	v_add_co_u32 v5, s3, s0, v15
	s_delay_alu instid0(VALU_DEP_1)
	v_add_co_ci_u32_e64 v6, null, s1, 0, s3
	global_load_b64 v[1:2], v15, s[0:1]
	v_add_co_u32 v3, vcc_lo, v5, 0x2000
	v_add_co_ci_u32_e32 v4, vcc_lo, 0, v6, vcc_lo
	v_add_co_u32 v9, vcc_lo, v5, 0x4000
	v_add_co_ci_u32_e32 v10, vcc_lo, 0, v6, vcc_lo
	;; [unrolled: 2-line block ×4, first 2 shown]
	s_clause 0x6
	global_load_b64 v[5:6], v[3:4], off
	global_load_b64 v[7:8], v[9:10], off offset:-4096
	global_load_b64 v[9:10], v[9:10], off
	global_load_b64 v[11:12], v[13:14], off offset:-4096
	;; [unrolled: 2-line block ×3, first 2 shown]
	global_load_b64 v[17:18], v[17:18], off
	s_lshr_b32 s0, s2, 16
	v_lshlrev_b32_e32 v34, 6, v23
	v_mad_u32_u24 v0, v0, s0, v19
	s_and_b32 s0, s2, 0xffff
	s_mov_b32 s16, s21
	s_mov_b32 s17, s21
	;; [unrolled: 1-line block ×3, first 2 shown]
	s_waitcnt vmcnt(0)
	v_mad_u64_u32 v[19:20], null, v0, s0, v[16:17]
	v_and_or_b32 v0, 0xf00, v15, v21
	v_and_b32_e32 v15, 15, v21
	s_delay_alu instid0(VALU_DEP_2) | instskip(NEXT) | instid1(VALU_DEP_4)
	v_lshlrev_b32_e32 v35, 3, v0
	v_lshrrev_b32_e32 v37, 5, v19
	v_add_nc_u32_e32 v19, -1, v21
	v_and_b32_e32 v0, 16, v21
	v_cmp_eq_u32_e64 s0, 0, v15
	v_cmp_lt_u32_e64 s1, 1, v15
	v_cmp_lt_u32_e64 s2, 3, v15
	v_cmp_gt_i32_e32 vcc_lo, 0, v19
	v_cmp_eq_u32_e64 s4, 0, v0
	v_cmp_lt_u32_e64 s3, 7, v15
	v_or_b32_e32 v15, 31, v22
	v_cndmask_b32_e32 v0, v19, v21, vcc_lo
	v_lshrrev_b32_e32 v19, 3, v16
	s_delay_alu instid0(VALU_DEP_3) | instskip(NEXT) | instid1(VALU_DEP_3)
	v_cmp_eq_u32_e64 s5, v15, v16
	v_lshlrev_b32_e32 v38, 2, v0
	s_delay_alu instid0(VALU_DEP_3) | instskip(SKIP_1) | instid1(VALU_DEP_2)
	v_and_b32_e32 v39, 60, v19
	v_mul_u32_u24_e32 v0, 60, v16
	v_add_nc_u32_e32 v41, -4, v39
	s_delay_alu instid0(VALU_DEP_2)
	v_add_nc_u32_e32 v42, v40, v0
	s_branch .LBB190_2
.LBB190_1:                              ;   in Loop: Header=BB190_2 Depth=1
	s_barrier
	buffer_gl0_inv
	ds_store_b64 v43, v[17:18]
	ds_store_b64 v44, v[21:22]
	;; [unrolled: 1-line block ×8, first 2 shown]
	s_waitcnt lgkmcnt(0)
	s_barrier
	buffer_gl0_inv
	ds_load_2addr_b64 v[1:4], v42 offset1:1
	ds_load_2addr_b64 v[5:8], v42 offset0:2 offset1:3
	ds_load_2addr_b64 v[9:12], v42 offset0:4 offset1:5
	;; [unrolled: 1-line block ×3, first 2 shown]
	s_add_i32 s13, s13, 1
	s_delay_alu instid0(SALU_CYCLE_1)
	s_cmp_eq_u32 s13, 10
	s_waitcnt lgkmcnt(3)
	v_xor_b32_e32 v1, 0x80000000, v1
	v_xor_b32_e32 v2, 0x80000000, v2
	v_xor_b32_e32 v3, 0x80000000, v3
	v_xor_b32_e32 v4, 0x80000000, v4
	s_waitcnt lgkmcnt(2)
	v_xor_b32_e32 v5, 0x80000000, v5
	v_xor_b32_e32 v6, 0x80000000, v6
	v_xor_b32_e32 v7, 0x80000000, v7
	v_xor_b32_e32 v8, 0x80000000, v8
	;; [unrolled: 5-line block ×4, first 2 shown]
	s_cbranch_scc1 .LBB190_28
.LBB190_2:                              ; =>This Loop Header: Depth=1
                                        ;     Child Loop BB190_4 Depth 2
	v_xor_b32_e32 v2, 0x80000000, v2
	v_xor_b32_e32 v1, 0x80000000, v1
	;; [unrolled: 1-line block ×16, first 2 shown]
	ds_store_2addr_b64 v34, v[1:2], v[3:4] offset1:1
	ds_store_2addr_b64 v34, v[5:6], v[7:8] offset0:2 offset1:3
	ds_store_2addr_b64 v34, v[9:10], v[11:12] offset0:4 offset1:5
	;; [unrolled: 1-line block ×3, first 2 shown]
	; wave barrier
	ds_load_2addr_b64 v[0:3], v35 offset1:32
	ds_load_2addr_b64 v[4:7], v35 offset0:64 offset1:96
	ds_load_2addr_b64 v[8:11], v35 offset0:128 offset1:160
	;; [unrolled: 1-line block ×3, first 2 shown]
	s_mov_b32 s22, 8
	s_mov_b32 s23, 32
	;; [unrolled: 1-line block ×3, first 2 shown]
	s_waitcnt lgkmcnt(0)
	s_barrier
	buffer_gl0_inv
	; wave barrier
	s_barrier
	s_branch .LBB190_4
.LBB190_3:                              ;   in Loop: Header=BB190_4 Depth=2
	s_barrier
	buffer_gl0_inv
	ds_store_b64 v43, v[17:18]
	ds_store_b64 v44, v[21:22]
	;; [unrolled: 1-line block ×8, first 2 shown]
	s_waitcnt lgkmcnt(0)
	s_barrier
	buffer_gl0_inv
	ds_load_2addr_b64 v[0:3], v35 offset1:32
	ds_load_2addr_b64 v[4:7], v35 offset0:64 offset1:96
	ds_load_2addr_b64 v[8:11], v35 offset0:128 offset1:160
	;; [unrolled: 1-line block ×3, first 2 shown]
	s_add_i32 s23, s23, -8
	s_add_i32 s22, s22, 8
	s_add_i32 s24, s24, 8
	s_waitcnt lgkmcnt(0)
	s_barrier
	s_cbranch_execz .LBB190_1
.LBB190_4:                              ;   Parent Loop BB190_2 Depth=1
                                        ; =>  This Inner Loop Header: Depth=2
	s_min_i32 s11, s22, 32
	s_cmp_lt_u32 s24, 32
	v_dual_mov_b32 v18, v1 :: v_dual_mov_b32 v17, v0
	s_cselect_b32 vcc_lo, -1, 0
	s_cmp_gt_u32 s24, 24
	v_mov_b32_e32 v30, v15
	s_cselect_b32 s10, -1, 0
	s_sub_i32 s11, s11, 32
	v_lshrrev_b32_e32 v1, s24, v18
	s_add_i32 s12, s11, s23
	v_mov_b32_e32 v32, v13
	s_lshl_b32 s12, -1, s12
	buffer_gl0_inv
	s_not_b32 s12, s12
	s_cmp_lg_u32 s11, s24
	v_mov_b32_e32 v28, v7
	s_cselect_b32 s25, s12, -1
	s_max_i32 s26, s23, 0
	s_max_i32 s11, s24, 32
	v_and_b32_e32 v1, s25, v1
	s_sub_i32 s12, s11, s26
	s_sub_i32 s27, s11, 32
	s_sub_i32 s12, s12, 24
	v_lshrrev_b32_e32 v0, s27, v17
	s_min_i32 s11, s12, 32
	v_cndmask_b32_e32 v1, 0, v1, vcc_lo
	s_sub_i32 s11, s11, s27
	v_mov_b32_e32 v27, v6
	s_lshl_b32 s12, -1, s11
	v_mov_b32_e32 v29, v14
	s_not_b32 s12, s12
	s_cmp_lg_u32 s11, 32
	v_mov_b32_e32 v31, v12
	s_cselect_b32 s28, s12, -1
	s_delay_alu instid0(SALU_CYCLE_1) | instskip(NEXT) | instid1(VALU_DEP_1)
	v_and_b32_e32 v0, s28, v0
	v_lshlrev_b32_e32 v0, s26, v0
	s_delay_alu instid0(VALU_DEP_1) | instskip(NEXT) | instid1(VALU_DEP_1)
	v_cndmask_b32_e64 v0, 0, v0, s10
	v_or_b32_e32 v43, v1, v0
	s_delay_alu instid0(VALU_DEP_1)
	v_and_b32_e32 v0, 1, v43
	v_lshlrev_b32_e32 v1, 30, v43
	v_lshlrev_b32_e32 v19, 29, v43
	;; [unrolled: 1-line block ×4, first 2 shown]
	v_add_co_u32 v0, s11, v0, -1
	s_delay_alu instid0(VALU_DEP_1)
	v_cndmask_b32_e64 v21, 0, 1, s11
	v_not_b32_e32 v25, v1
	v_cmp_gt_i32_e64 s12, 0, v1
	v_not_b32_e32 v1, v19
	v_lshlrev_b32_e32 v23, 26, v43
	v_cmp_ne_u32_e64 s11, 0, v21
	v_ashrrev_i32_e32 v25, 31, v25
	v_lshlrev_b32_e32 v24, 25, v43
	v_ashrrev_i32_e32 v1, 31, v1
	v_lshlrev_b32_e32 v21, 24, v43
	v_xor_b32_e32 v0, s11, v0
	v_xor_b32_e32 v25, s12, v25
	v_cmp_gt_i32_e64 s11, 0, v19
	v_not_b32_e32 v19, v20
	v_cmp_gt_i32_e64 s12, 0, v20
	v_and_b32_e32 v0, exec_lo, v0
	s_delay_alu instid0(VALU_DEP_4) | instskip(NEXT) | instid1(VALU_DEP_4)
	v_xor_b32_e32 v1, s11, v1
	v_ashrrev_i32_e32 v19, 31, v19
	s_delay_alu instid0(VALU_DEP_3)
	v_and_b32_e32 v0, v0, v25
	v_dual_mov_b32 v26, v9 :: v_dual_mov_b32 v25, v8
	v_not_b32_e32 v20, v22
	v_cmp_gt_i32_e64 s11, 0, v22
	v_not_b32_e32 v22, v23
	v_xor_b32_e32 v19, s12, v19
	v_and_b32_e32 v0, v0, v1
	v_ashrrev_i32_e32 v20, 31, v20
	v_cmp_gt_i32_e64 s12, 0, v23
	v_not_b32_e32 v1, v24
	v_ashrrev_i32_e32 v22, 31, v22
	v_and_b32_e32 v0, v0, v19
	v_xor_b32_e32 v20, s11, v20
	v_cmp_gt_i32_e64 s11, 0, v24
	v_not_b32_e32 v19, v21
	v_ashrrev_i32_e32 v1, 31, v1
	v_xor_b32_e32 v22, s12, v22
	v_and_b32_e32 v0, v0, v20
	v_cmp_gt_i32_e64 s12, 0, v21
	v_ashrrev_i32_e32 v23, 31, v19
	v_xor_b32_e32 v1, s11, v1
	v_mov_b32_e32 v20, v5
	v_and_b32_e32 v0, v0, v22
	v_dual_mov_b32 v22, v3 :: v_dual_mov_b32 v21, v2
	v_xor_b32_e32 v3, s12, v23
	v_mov_b32_e32 v19, v4
	s_delay_alu instid0(VALU_DEP_4) | instskip(SKIP_2) | instid1(VALU_DEP_3)
	v_dual_mov_b32 v1, s20 :: v_dual_and_b32 v0, v0, v1
	v_mov_b32_e32 v2, s21
	v_dual_mov_b32 v24, v11 :: v_dual_mov_b32 v23, v10
	v_dual_mov_b32 v3, s16 :: v_dual_and_b32 v0, v0, v3
	v_mov_b32_e32 v4, s17
	ds_store_2addr_b64 v33, v[1:2], v[3:4] offset0:8 offset1:9
	ds_store_2addr_b64 v36, v[1:2], v[3:4] offset0:2 offset1:3
	v_mbcnt_lo_u32_b32 v9, v0, 0
	v_lshl_add_u32 v1, v43, 4, v37
	v_cmp_ne_u32_e64 s12, 0, v0
	s_waitcnt lgkmcnt(0)
	s_barrier
	v_cmp_eq_u32_e64 s11, 0, v9
	v_lshl_add_u32 v8, v1, 2, 64
	buffer_gl0_inv
	; wave barrier
	s_and_b32 s12, s11, s12
	s_delay_alu instid0(SALU_CYCLE_1)
	s_and_saveexec_b32 s11, s12
	s_cbranch_execz .LBB190_6
; %bb.5:                                ;   in Loop: Header=BB190_4 Depth=2
	v_bcnt_u32_b32 v0, v0, 0
	ds_store_b32 v8, v0
.LBB190_6:                              ;   in Loop: Header=BB190_4 Depth=2
	s_or_b32 exec_lo, exec_lo, s11
	v_lshrrev_b32_e32 v0, s27, v21
	v_lshrrev_b32_e32 v1, s24, v22
	; wave barrier
	s_delay_alu instid0(VALU_DEP_1) | instskip(NEXT) | instid1(VALU_DEP_1)
	v_and_b32_e32 v1, s25, v1
	v_dual_cndmask_b32 v1, 0, v1 :: v_dual_and_b32 v0, s28, v0
	s_delay_alu instid0(VALU_DEP_1) | instskip(NEXT) | instid1(VALU_DEP_1)
	v_lshlrev_b32_e32 v0, s26, v0
	v_cndmask_b32_e64 v0, 0, v0, s10
	s_delay_alu instid0(VALU_DEP_1) | instskip(NEXT) | instid1(VALU_DEP_1)
	v_or_b32_e32 v0, v1, v0
	v_and_b32_e32 v1, 1, v0
	v_lshlrev_b32_e32 v2, 30, v0
	v_lshlrev_b32_e32 v3, 29, v0
	;; [unrolled: 1-line block ×4, first 2 shown]
	v_add_co_u32 v1, s11, v1, -1
	s_delay_alu instid0(VALU_DEP_1)
	v_cndmask_b32_e64 v5, 0, 1, s11
	v_not_b32_e32 v11, v2
	v_cmp_gt_i32_e64 s12, 0, v2
	v_not_b32_e32 v2, v3
	v_lshlrev_b32_e32 v7, 26, v0
	v_cmp_ne_u32_e64 s11, 0, v5
	v_ashrrev_i32_e32 v11, 31, v11
	v_lshlrev_b32_e32 v10, 25, v0
	v_ashrrev_i32_e32 v2, 31, v2
	v_lshlrev_b32_e32 v5, 24, v0
	v_xor_b32_e32 v1, s11, v1
	v_cmp_gt_i32_e64 s11, 0, v3
	v_not_b32_e32 v3, v4
	v_xor_b32_e32 v11, s12, v11
	v_cmp_gt_i32_e64 s12, 0, v4
	v_and_b32_e32 v1, exec_lo, v1
	v_not_b32_e32 v4, v6
	v_ashrrev_i32_e32 v3, 31, v3
	v_xor_b32_e32 v2, s11, v2
	v_cmp_gt_i32_e64 s11, 0, v6
	v_and_b32_e32 v1, v1, v11
	v_not_b32_e32 v6, v7
	v_ashrrev_i32_e32 v4, 31, v4
	v_xor_b32_e32 v3, s12, v3
	v_cmp_gt_i32_e64 s12, 0, v7
	v_and_b32_e32 v1, v1, v2
	;; [unrolled: 5-line block ×3, first 2 shown]
	v_not_b32_e32 v3, v5
	v_ashrrev_i32_e32 v2, 31, v2
	v_xor_b32_e32 v6, s12, v6
	v_lshlrev_b32_e32 v0, 4, v0
	v_and_b32_e32 v1, v1, v4
	v_cmp_gt_i32_e64 s12, 0, v5
	v_ashrrev_i32_e32 v3, 31, v3
	v_xor_b32_e32 v2, s11, v2
	v_add_lshl_u32 v4, v0, v37, 2
	v_and_b32_e32 v1, v1, v6
	s_delay_alu instid0(VALU_DEP_4) | instskip(SKIP_3) | instid1(VALU_DEP_2)
	v_xor_b32_e32 v0, s12, v3
	ds_load_b32 v10, v4 offset:64
	v_and_b32_e32 v1, v1, v2
	v_add_nc_u32_e32 v11, 64, v4
	; wave barrier
	v_and_b32_e32 v0, v1, v0
	s_delay_alu instid0(VALU_DEP_1) | instskip(SKIP_1) | instid1(VALU_DEP_2)
	v_mbcnt_lo_u32_b32 v12, v0, 0
	v_cmp_ne_u32_e64 s12, 0, v0
	v_cmp_eq_u32_e64 s11, 0, v12
	s_delay_alu instid0(VALU_DEP_1) | instskip(NEXT) | instid1(SALU_CYCLE_1)
	s_and_b32 s12, s11, s12
	s_and_saveexec_b32 s11, s12
	s_cbranch_execz .LBB190_8
; %bb.7:                                ;   in Loop: Header=BB190_4 Depth=2
	s_waitcnt lgkmcnt(0)
	v_bcnt_u32_b32 v0, v0, v10
	ds_store_b32 v11, v0
.LBB190_8:                              ;   in Loop: Header=BB190_4 Depth=2
	s_or_b32 exec_lo, exec_lo, s11
	v_lshrrev_b32_e32 v0, s27, v19
	v_lshrrev_b32_e32 v1, s24, v20
	; wave barrier
	s_delay_alu instid0(VALU_DEP_1) | instskip(NEXT) | instid1(VALU_DEP_1)
	v_and_b32_e32 v1, s25, v1
	v_dual_cndmask_b32 v1, 0, v1 :: v_dual_and_b32 v0, s28, v0
	s_delay_alu instid0(VALU_DEP_1) | instskip(NEXT) | instid1(VALU_DEP_1)
	v_lshlrev_b32_e32 v0, s26, v0
	v_cndmask_b32_e64 v0, 0, v0, s10
	s_delay_alu instid0(VALU_DEP_1) | instskip(NEXT) | instid1(VALU_DEP_1)
	v_or_b32_e32 v0, v1, v0
	v_and_b32_e32 v1, 1, v0
	v_lshlrev_b32_e32 v2, 30, v0
	v_lshlrev_b32_e32 v3, 29, v0
	;; [unrolled: 1-line block ×4, first 2 shown]
	v_add_co_u32 v1, s11, v1, -1
	s_delay_alu instid0(VALU_DEP_1)
	v_cndmask_b32_e64 v5, 0, 1, s11
	v_not_b32_e32 v14, v2
	v_cmp_gt_i32_e64 s12, 0, v2
	v_not_b32_e32 v2, v3
	v_lshlrev_b32_e32 v7, 26, v0
	v_cmp_ne_u32_e64 s11, 0, v5
	v_ashrrev_i32_e32 v14, 31, v14
	v_lshlrev_b32_e32 v13, 25, v0
	v_ashrrev_i32_e32 v2, 31, v2
	v_lshlrev_b32_e32 v5, 24, v0
	v_xor_b32_e32 v1, s11, v1
	v_cmp_gt_i32_e64 s11, 0, v3
	v_not_b32_e32 v3, v4
	v_xor_b32_e32 v14, s12, v14
	v_cmp_gt_i32_e64 s12, 0, v4
	v_and_b32_e32 v1, exec_lo, v1
	v_not_b32_e32 v4, v6
	v_ashrrev_i32_e32 v3, 31, v3
	v_xor_b32_e32 v2, s11, v2
	v_cmp_gt_i32_e64 s11, 0, v6
	v_and_b32_e32 v1, v1, v14
	v_not_b32_e32 v6, v7
	v_ashrrev_i32_e32 v4, 31, v4
	v_xor_b32_e32 v3, s12, v3
	v_cmp_gt_i32_e64 s12, 0, v7
	v_and_b32_e32 v1, v1, v2
	;; [unrolled: 5-line block ×3, first 2 shown]
	v_not_b32_e32 v3, v5
	v_ashrrev_i32_e32 v2, 31, v2
	v_xor_b32_e32 v6, s12, v6
	v_lshlrev_b32_e32 v0, 4, v0
	v_and_b32_e32 v1, v1, v4
	v_cmp_gt_i32_e64 s12, 0, v5
	v_ashrrev_i32_e32 v3, 31, v3
	v_xor_b32_e32 v2, s11, v2
	v_add_lshl_u32 v4, v0, v37, 2
	v_and_b32_e32 v1, v1, v6
	s_delay_alu instid0(VALU_DEP_4) | instskip(SKIP_3) | instid1(VALU_DEP_2)
	v_xor_b32_e32 v0, s12, v3
	ds_load_b32 v13, v4 offset:64
	v_and_b32_e32 v1, v1, v2
	v_add_nc_u32_e32 v15, 64, v4
	; wave barrier
	v_and_b32_e32 v0, v1, v0
	s_delay_alu instid0(VALU_DEP_1) | instskip(SKIP_1) | instid1(VALU_DEP_2)
	v_mbcnt_lo_u32_b32 v14, v0, 0
	v_cmp_ne_u32_e64 s12, 0, v0
	v_cmp_eq_u32_e64 s11, 0, v14
	s_delay_alu instid0(VALU_DEP_1) | instskip(NEXT) | instid1(SALU_CYCLE_1)
	s_and_b32 s12, s11, s12
	s_and_saveexec_b32 s11, s12
	s_cbranch_execz .LBB190_10
; %bb.9:                                ;   in Loop: Header=BB190_4 Depth=2
	s_waitcnt lgkmcnt(0)
	v_bcnt_u32_b32 v0, v0, v13
	ds_store_b32 v15, v0
.LBB190_10:                             ;   in Loop: Header=BB190_4 Depth=2
	s_or_b32 exec_lo, exec_lo, s11
	v_lshrrev_b32_e32 v0, s27, v27
	v_lshrrev_b32_e32 v1, s24, v28
	; wave barrier
	s_delay_alu instid0(VALU_DEP_1) | instskip(NEXT) | instid1(VALU_DEP_1)
	v_and_b32_e32 v1, s25, v1
	v_dual_cndmask_b32 v1, 0, v1 :: v_dual_and_b32 v0, s28, v0
	s_delay_alu instid0(VALU_DEP_1) | instskip(NEXT) | instid1(VALU_DEP_1)
	v_lshlrev_b32_e32 v0, s26, v0
	v_cndmask_b32_e64 v0, 0, v0, s10
	s_delay_alu instid0(VALU_DEP_1) | instskip(NEXT) | instid1(VALU_DEP_1)
	v_or_b32_e32 v0, v1, v0
	v_and_b32_e32 v1, 1, v0
	v_lshlrev_b32_e32 v2, 30, v0
	v_lshlrev_b32_e32 v3, 29, v0
	;; [unrolled: 1-line block ×4, first 2 shown]
	v_add_co_u32 v1, s11, v1, -1
	s_delay_alu instid0(VALU_DEP_1)
	v_cndmask_b32_e64 v5, 0, 1, s11
	v_not_b32_e32 v44, v2
	v_cmp_gt_i32_e64 s12, 0, v2
	v_not_b32_e32 v2, v3
	v_lshlrev_b32_e32 v7, 26, v0
	v_cmp_ne_u32_e64 s11, 0, v5
	v_ashrrev_i32_e32 v44, 31, v44
	v_lshlrev_b32_e32 v43, 25, v0
	v_ashrrev_i32_e32 v2, 31, v2
	v_lshlrev_b32_e32 v5, 24, v0
	v_xor_b32_e32 v1, s11, v1
	v_cmp_gt_i32_e64 s11, 0, v3
	v_not_b32_e32 v3, v4
	v_xor_b32_e32 v44, s12, v44
	v_cmp_gt_i32_e64 s12, 0, v4
	v_and_b32_e32 v1, exec_lo, v1
	v_not_b32_e32 v4, v6
	v_ashrrev_i32_e32 v3, 31, v3
	v_xor_b32_e32 v2, s11, v2
	v_cmp_gt_i32_e64 s11, 0, v6
	v_and_b32_e32 v1, v1, v44
	v_not_b32_e32 v6, v7
	v_ashrrev_i32_e32 v4, 31, v4
	v_xor_b32_e32 v3, s12, v3
	v_cmp_gt_i32_e64 s12, 0, v7
	v_and_b32_e32 v1, v1, v2
	;; [unrolled: 5-line block ×3, first 2 shown]
	v_not_b32_e32 v3, v5
	v_ashrrev_i32_e32 v2, 31, v2
	v_xor_b32_e32 v6, s12, v6
	v_lshlrev_b32_e32 v0, 4, v0
	v_and_b32_e32 v1, v1, v4
	v_cmp_gt_i32_e64 s12, 0, v5
	v_ashrrev_i32_e32 v3, 31, v3
	v_xor_b32_e32 v2, s11, v2
	v_add_lshl_u32 v4, v0, v37, 2
	v_and_b32_e32 v1, v1, v6
	s_delay_alu instid0(VALU_DEP_4) | instskip(SKIP_3) | instid1(VALU_DEP_2)
	v_xor_b32_e32 v0, s12, v3
	ds_load_b32 v43, v4 offset:64
	v_and_b32_e32 v1, v1, v2
	v_add_nc_u32_e32 v45, 64, v4
	; wave barrier
	v_and_b32_e32 v0, v1, v0
	s_delay_alu instid0(VALU_DEP_1) | instskip(SKIP_1) | instid1(VALU_DEP_2)
	v_mbcnt_lo_u32_b32 v44, v0, 0
	v_cmp_ne_u32_e64 s12, 0, v0
	v_cmp_eq_u32_e64 s11, 0, v44
	s_delay_alu instid0(VALU_DEP_1) | instskip(NEXT) | instid1(SALU_CYCLE_1)
	s_and_b32 s12, s11, s12
	s_and_saveexec_b32 s11, s12
	s_cbranch_execz .LBB190_12
; %bb.11:                               ;   in Loop: Header=BB190_4 Depth=2
	s_waitcnt lgkmcnt(0)
	v_bcnt_u32_b32 v0, v0, v43
	ds_store_b32 v45, v0
.LBB190_12:                             ;   in Loop: Header=BB190_4 Depth=2
	s_or_b32 exec_lo, exec_lo, s11
	v_lshrrev_b32_e32 v0, s27, v25
	v_lshrrev_b32_e32 v1, s24, v26
	; wave barrier
	s_delay_alu instid0(VALU_DEP_1) | instskip(NEXT) | instid1(VALU_DEP_1)
	v_and_b32_e32 v1, s25, v1
	v_dual_cndmask_b32 v1, 0, v1 :: v_dual_and_b32 v0, s28, v0
	s_delay_alu instid0(VALU_DEP_1) | instskip(NEXT) | instid1(VALU_DEP_1)
	v_lshlrev_b32_e32 v0, s26, v0
	v_cndmask_b32_e64 v0, 0, v0, s10
	s_delay_alu instid0(VALU_DEP_1) | instskip(NEXT) | instid1(VALU_DEP_1)
	v_or_b32_e32 v0, v1, v0
	v_and_b32_e32 v1, 1, v0
	v_lshlrev_b32_e32 v2, 30, v0
	v_lshlrev_b32_e32 v3, 29, v0
	;; [unrolled: 1-line block ×4, first 2 shown]
	v_add_co_u32 v1, s11, v1, -1
	s_delay_alu instid0(VALU_DEP_1)
	v_cndmask_b32_e64 v5, 0, 1, s11
	v_not_b32_e32 v47, v2
	v_cmp_gt_i32_e64 s12, 0, v2
	v_not_b32_e32 v2, v3
	v_lshlrev_b32_e32 v7, 26, v0
	v_cmp_ne_u32_e64 s11, 0, v5
	v_ashrrev_i32_e32 v47, 31, v47
	v_lshlrev_b32_e32 v46, 25, v0
	v_ashrrev_i32_e32 v2, 31, v2
	v_lshlrev_b32_e32 v5, 24, v0
	v_xor_b32_e32 v1, s11, v1
	v_cmp_gt_i32_e64 s11, 0, v3
	v_not_b32_e32 v3, v4
	v_xor_b32_e32 v47, s12, v47
	v_cmp_gt_i32_e64 s12, 0, v4
	v_and_b32_e32 v1, exec_lo, v1
	v_not_b32_e32 v4, v6
	v_ashrrev_i32_e32 v3, 31, v3
	v_xor_b32_e32 v2, s11, v2
	v_cmp_gt_i32_e64 s11, 0, v6
	v_and_b32_e32 v1, v1, v47
	v_not_b32_e32 v6, v7
	v_ashrrev_i32_e32 v4, 31, v4
	v_xor_b32_e32 v3, s12, v3
	v_cmp_gt_i32_e64 s12, 0, v7
	v_and_b32_e32 v1, v1, v2
	;; [unrolled: 5-line block ×3, first 2 shown]
	v_not_b32_e32 v3, v5
	v_ashrrev_i32_e32 v2, 31, v2
	v_xor_b32_e32 v6, s12, v6
	v_lshlrev_b32_e32 v0, 4, v0
	v_and_b32_e32 v1, v1, v4
	v_cmp_gt_i32_e64 s12, 0, v5
	v_ashrrev_i32_e32 v3, 31, v3
	v_xor_b32_e32 v2, s11, v2
	v_add_lshl_u32 v4, v0, v37, 2
	v_and_b32_e32 v1, v1, v6
	s_delay_alu instid0(VALU_DEP_4) | instskip(SKIP_3) | instid1(VALU_DEP_2)
	v_xor_b32_e32 v0, s12, v3
	ds_load_b32 v46, v4 offset:64
	v_and_b32_e32 v1, v1, v2
	v_add_nc_u32_e32 v48, 64, v4
	; wave barrier
	v_and_b32_e32 v0, v1, v0
	s_delay_alu instid0(VALU_DEP_1) | instskip(SKIP_1) | instid1(VALU_DEP_2)
	v_mbcnt_lo_u32_b32 v47, v0, 0
	v_cmp_ne_u32_e64 s12, 0, v0
	v_cmp_eq_u32_e64 s11, 0, v47
	s_delay_alu instid0(VALU_DEP_1) | instskip(NEXT) | instid1(SALU_CYCLE_1)
	s_and_b32 s12, s11, s12
	s_and_saveexec_b32 s11, s12
	s_cbranch_execz .LBB190_14
; %bb.13:                               ;   in Loop: Header=BB190_4 Depth=2
	s_waitcnt lgkmcnt(0)
	v_bcnt_u32_b32 v0, v0, v46
	ds_store_b32 v48, v0
.LBB190_14:                             ;   in Loop: Header=BB190_4 Depth=2
	s_or_b32 exec_lo, exec_lo, s11
	v_lshrrev_b32_e32 v0, s27, v23
	v_lshrrev_b32_e32 v1, s24, v24
	; wave barrier
	s_delay_alu instid0(VALU_DEP_1) | instskip(NEXT) | instid1(VALU_DEP_1)
	v_and_b32_e32 v1, s25, v1
	v_dual_cndmask_b32 v1, 0, v1 :: v_dual_and_b32 v0, s28, v0
	s_delay_alu instid0(VALU_DEP_1) | instskip(NEXT) | instid1(VALU_DEP_1)
	v_lshlrev_b32_e32 v0, s26, v0
	v_cndmask_b32_e64 v0, 0, v0, s10
	s_delay_alu instid0(VALU_DEP_1) | instskip(NEXT) | instid1(VALU_DEP_1)
	v_or_b32_e32 v0, v1, v0
	v_and_b32_e32 v1, 1, v0
	v_lshlrev_b32_e32 v2, 30, v0
	v_lshlrev_b32_e32 v3, 29, v0
	;; [unrolled: 1-line block ×4, first 2 shown]
	v_add_co_u32 v1, s11, v1, -1
	s_delay_alu instid0(VALU_DEP_1)
	v_cndmask_b32_e64 v5, 0, 1, s11
	v_not_b32_e32 v50, v2
	v_cmp_gt_i32_e64 s12, 0, v2
	v_not_b32_e32 v2, v3
	v_lshlrev_b32_e32 v7, 26, v0
	v_cmp_ne_u32_e64 s11, 0, v5
	v_ashrrev_i32_e32 v50, 31, v50
	v_lshlrev_b32_e32 v49, 25, v0
	v_ashrrev_i32_e32 v2, 31, v2
	v_lshlrev_b32_e32 v5, 24, v0
	v_xor_b32_e32 v1, s11, v1
	v_cmp_gt_i32_e64 s11, 0, v3
	v_not_b32_e32 v3, v4
	v_xor_b32_e32 v50, s12, v50
	v_cmp_gt_i32_e64 s12, 0, v4
	v_and_b32_e32 v1, exec_lo, v1
	v_not_b32_e32 v4, v6
	v_ashrrev_i32_e32 v3, 31, v3
	v_xor_b32_e32 v2, s11, v2
	v_cmp_gt_i32_e64 s11, 0, v6
	v_and_b32_e32 v1, v1, v50
	v_not_b32_e32 v6, v7
	v_ashrrev_i32_e32 v4, 31, v4
	v_xor_b32_e32 v3, s12, v3
	v_cmp_gt_i32_e64 s12, 0, v7
	v_and_b32_e32 v1, v1, v2
	;; [unrolled: 5-line block ×3, first 2 shown]
	v_not_b32_e32 v3, v5
	v_ashrrev_i32_e32 v2, 31, v2
	v_xor_b32_e32 v6, s12, v6
	v_lshlrev_b32_e32 v0, 4, v0
	v_and_b32_e32 v1, v1, v4
	v_cmp_gt_i32_e64 s12, 0, v5
	v_ashrrev_i32_e32 v3, 31, v3
	v_xor_b32_e32 v2, s11, v2
	v_add_lshl_u32 v4, v0, v37, 2
	v_and_b32_e32 v1, v1, v6
	s_delay_alu instid0(VALU_DEP_4) | instskip(SKIP_3) | instid1(VALU_DEP_2)
	v_xor_b32_e32 v0, s12, v3
	ds_load_b32 v49, v4 offset:64
	v_and_b32_e32 v1, v1, v2
	v_add_nc_u32_e32 v51, 64, v4
	; wave barrier
	v_and_b32_e32 v0, v1, v0
	s_delay_alu instid0(VALU_DEP_1) | instskip(SKIP_1) | instid1(VALU_DEP_2)
	v_mbcnt_lo_u32_b32 v50, v0, 0
	v_cmp_ne_u32_e64 s12, 0, v0
	v_cmp_eq_u32_e64 s11, 0, v50
	s_delay_alu instid0(VALU_DEP_1) | instskip(NEXT) | instid1(SALU_CYCLE_1)
	s_and_b32 s12, s11, s12
	s_and_saveexec_b32 s11, s12
	s_cbranch_execz .LBB190_16
; %bb.15:                               ;   in Loop: Header=BB190_4 Depth=2
	s_waitcnt lgkmcnt(0)
	v_bcnt_u32_b32 v0, v0, v49
	ds_store_b32 v51, v0
.LBB190_16:                             ;   in Loop: Header=BB190_4 Depth=2
	s_or_b32 exec_lo, exec_lo, s11
	v_lshrrev_b32_e32 v0, s27, v31
	v_lshrrev_b32_e32 v1, s24, v32
	; wave barrier
	s_delay_alu instid0(VALU_DEP_1) | instskip(NEXT) | instid1(VALU_DEP_1)
	v_and_b32_e32 v1, s25, v1
	v_dual_cndmask_b32 v1, 0, v1 :: v_dual_and_b32 v0, s28, v0
	s_delay_alu instid0(VALU_DEP_1) | instskip(NEXT) | instid1(VALU_DEP_1)
	v_lshlrev_b32_e32 v0, s26, v0
	v_cndmask_b32_e64 v0, 0, v0, s10
	s_delay_alu instid0(VALU_DEP_1) | instskip(NEXT) | instid1(VALU_DEP_1)
	v_or_b32_e32 v0, v1, v0
	v_and_b32_e32 v1, 1, v0
	v_lshlrev_b32_e32 v2, 30, v0
	v_lshlrev_b32_e32 v3, 29, v0
	;; [unrolled: 1-line block ×4, first 2 shown]
	v_add_co_u32 v1, s11, v1, -1
	s_delay_alu instid0(VALU_DEP_1)
	v_cndmask_b32_e64 v5, 0, 1, s11
	v_not_b32_e32 v53, v2
	v_cmp_gt_i32_e64 s12, 0, v2
	v_not_b32_e32 v2, v3
	v_lshlrev_b32_e32 v7, 26, v0
	v_cmp_ne_u32_e64 s11, 0, v5
	v_ashrrev_i32_e32 v53, 31, v53
	v_lshlrev_b32_e32 v52, 25, v0
	v_ashrrev_i32_e32 v2, 31, v2
	v_lshlrev_b32_e32 v5, 24, v0
	v_xor_b32_e32 v1, s11, v1
	v_cmp_gt_i32_e64 s11, 0, v3
	v_not_b32_e32 v3, v4
	v_xor_b32_e32 v53, s12, v53
	v_cmp_gt_i32_e64 s12, 0, v4
	v_and_b32_e32 v1, exec_lo, v1
	v_not_b32_e32 v4, v6
	v_ashrrev_i32_e32 v3, 31, v3
	v_xor_b32_e32 v2, s11, v2
	v_cmp_gt_i32_e64 s11, 0, v6
	v_and_b32_e32 v1, v1, v53
	v_not_b32_e32 v6, v7
	v_ashrrev_i32_e32 v4, 31, v4
	v_xor_b32_e32 v3, s12, v3
	v_cmp_gt_i32_e64 s12, 0, v7
	v_and_b32_e32 v1, v1, v2
	;; [unrolled: 5-line block ×3, first 2 shown]
	v_not_b32_e32 v3, v5
	v_ashrrev_i32_e32 v2, 31, v2
	v_xor_b32_e32 v6, s12, v6
	v_lshlrev_b32_e32 v0, 4, v0
	v_and_b32_e32 v1, v1, v4
	v_cmp_gt_i32_e64 s12, 0, v5
	v_ashrrev_i32_e32 v3, 31, v3
	v_xor_b32_e32 v2, s11, v2
	v_add_lshl_u32 v4, v0, v37, 2
	v_and_b32_e32 v1, v1, v6
	s_delay_alu instid0(VALU_DEP_4) | instskip(SKIP_3) | instid1(VALU_DEP_2)
	v_xor_b32_e32 v0, s12, v3
	ds_load_b32 v52, v4 offset:64
	v_and_b32_e32 v1, v1, v2
	v_add_nc_u32_e32 v54, 64, v4
	; wave barrier
	v_and_b32_e32 v0, v1, v0
	s_delay_alu instid0(VALU_DEP_1) | instskip(SKIP_1) | instid1(VALU_DEP_2)
	v_mbcnt_lo_u32_b32 v53, v0, 0
	v_cmp_ne_u32_e64 s12, 0, v0
	v_cmp_eq_u32_e64 s11, 0, v53
	s_delay_alu instid0(VALU_DEP_1) | instskip(NEXT) | instid1(SALU_CYCLE_1)
	s_and_b32 s12, s11, s12
	s_and_saveexec_b32 s11, s12
	s_cbranch_execz .LBB190_18
; %bb.17:                               ;   in Loop: Header=BB190_4 Depth=2
	s_waitcnt lgkmcnt(0)
	v_bcnt_u32_b32 v0, v0, v52
	ds_store_b32 v54, v0
.LBB190_18:                             ;   in Loop: Header=BB190_4 Depth=2
	s_or_b32 exec_lo, exec_lo, s11
	v_lshrrev_b32_e32 v0, s27, v29
	v_lshrrev_b32_e32 v1, s24, v30
	; wave barrier
	s_delay_alu instid0(VALU_DEP_1) | instskip(NEXT) | instid1(VALU_DEP_1)
	v_and_b32_e32 v1, s25, v1
	v_dual_cndmask_b32 v1, 0, v1 :: v_dual_and_b32 v0, s28, v0
	s_delay_alu instid0(VALU_DEP_1) | instskip(NEXT) | instid1(VALU_DEP_1)
	v_lshlrev_b32_e32 v0, s26, v0
	v_cndmask_b32_e64 v0, 0, v0, s10
	s_delay_alu instid0(VALU_DEP_1) | instskip(NEXT) | instid1(VALU_DEP_1)
	v_or_b32_e32 v0, v1, v0
	v_and_b32_e32 v1, 1, v0
	v_lshlrev_b32_e32 v2, 30, v0
	v_lshlrev_b32_e32 v3, 29, v0
	;; [unrolled: 1-line block ×4, first 2 shown]
	v_add_co_u32 v1, s10, v1, -1
	s_delay_alu instid0(VALU_DEP_1)
	v_cndmask_b32_e64 v5, 0, 1, s10
	v_not_b32_e32 v56, v2
	v_cmp_gt_i32_e64 s10, 0, v2
	v_not_b32_e32 v2, v3
	v_lshlrev_b32_e32 v7, 26, v0
	v_cmp_ne_u32_e32 vcc_lo, 0, v5
	v_ashrrev_i32_e32 v56, 31, v56
	v_lshlrev_b32_e32 v55, 25, v0
	v_ashrrev_i32_e32 v2, 31, v2
	v_lshlrev_b32_e32 v5, 24, v0
	v_xor_b32_e32 v1, vcc_lo, v1
	v_cmp_gt_i32_e32 vcc_lo, 0, v3
	v_not_b32_e32 v3, v4
	v_xor_b32_e32 v56, s10, v56
	v_cmp_gt_i32_e64 s10, 0, v4
	v_and_b32_e32 v1, exec_lo, v1
	v_not_b32_e32 v4, v6
	v_ashrrev_i32_e32 v3, 31, v3
	v_xor_b32_e32 v2, vcc_lo, v2
	v_cmp_gt_i32_e32 vcc_lo, 0, v6
	v_and_b32_e32 v1, v1, v56
	v_not_b32_e32 v6, v7
	v_ashrrev_i32_e32 v4, 31, v4
	v_xor_b32_e32 v3, s10, v3
	v_cmp_gt_i32_e64 s10, 0, v7
	v_and_b32_e32 v1, v1, v2
	v_not_b32_e32 v2, v55
	v_ashrrev_i32_e32 v6, 31, v6
	v_xor_b32_e32 v4, vcc_lo, v4
	v_cmp_gt_i32_e32 vcc_lo, 0, v55
	v_and_b32_e32 v1, v1, v3
	v_not_b32_e32 v3, v5
	v_ashrrev_i32_e32 v2, 31, v2
	v_xor_b32_e32 v6, s10, v6
	v_lshlrev_b32_e32 v0, 4, v0
	v_and_b32_e32 v1, v1, v4
	v_cmp_gt_i32_e64 s10, 0, v5
	v_ashrrev_i32_e32 v3, 31, v3
	v_xor_b32_e32 v2, vcc_lo, v2
	v_add_lshl_u32 v4, v0, v37, 2
	v_and_b32_e32 v1, v1, v6
	s_delay_alu instid0(VALU_DEP_4) | instskip(SKIP_3) | instid1(VALU_DEP_2)
	v_xor_b32_e32 v0, s10, v3
	ds_load_b32 v55, v4 offset:64
	v_and_b32_e32 v1, v1, v2
	v_add_nc_u32_e32 v57, 64, v4
	; wave barrier
	v_and_b32_e32 v0, v1, v0
	s_delay_alu instid0(VALU_DEP_1) | instskip(SKIP_1) | instid1(VALU_DEP_2)
	v_mbcnt_lo_u32_b32 v56, v0, 0
	v_cmp_ne_u32_e64 s10, 0, v0
	v_cmp_eq_u32_e32 vcc_lo, 0, v56
	s_delay_alu instid0(VALU_DEP_2) | instskip(NEXT) | instid1(SALU_CYCLE_1)
	s_and_b32 s11, vcc_lo, s10
	s_and_saveexec_b32 s10, s11
	s_cbranch_execz .LBB190_20
; %bb.19:                               ;   in Loop: Header=BB190_4 Depth=2
	s_waitcnt lgkmcnt(0)
	v_bcnt_u32_b32 v0, v0, v55
	ds_store_b32 v57, v0
.LBB190_20:                             ;   in Loop: Header=BB190_4 Depth=2
	s_or_b32 exec_lo, exec_lo, s10
	; wave barrier
	s_waitcnt lgkmcnt(0)
	s_barrier
	buffer_gl0_inv
	ds_load_2addr_b64 v[4:7], v33 offset0:8 offset1:9
	ds_load_2addr_b64 v[0:3], v36 offset0:2 offset1:3
	s_waitcnt lgkmcnt(1)
	v_add_nc_u32_e32 v58, v5, v4
	s_delay_alu instid0(VALU_DEP_1) | instskip(SKIP_1) | instid1(VALU_DEP_1)
	v_add3_u32 v58, v58, v6, v7
	s_waitcnt lgkmcnt(0)
	v_add3_u32 v58, v58, v0, v1
	s_delay_alu instid0(VALU_DEP_1) | instskip(NEXT) | instid1(VALU_DEP_1)
	v_add3_u32 v3, v58, v2, v3
	v_mov_b32_dpp v58, v3 row_shr:1 row_mask:0xf bank_mask:0xf
	s_delay_alu instid0(VALU_DEP_1) | instskip(NEXT) | instid1(VALU_DEP_1)
	v_cndmask_b32_e64 v58, v58, 0, s0
	v_add_nc_u32_e32 v3, v58, v3
	s_delay_alu instid0(VALU_DEP_1) | instskip(NEXT) | instid1(VALU_DEP_1)
	v_mov_b32_dpp v58, v3 row_shr:2 row_mask:0xf bank_mask:0xf
	v_cndmask_b32_e64 v58, 0, v58, s1
	s_delay_alu instid0(VALU_DEP_1) | instskip(NEXT) | instid1(VALU_DEP_1)
	v_add_nc_u32_e32 v3, v3, v58
	v_mov_b32_dpp v58, v3 row_shr:4 row_mask:0xf bank_mask:0xf
	s_delay_alu instid0(VALU_DEP_1) | instskip(NEXT) | instid1(VALU_DEP_1)
	v_cndmask_b32_e64 v58, 0, v58, s2
	v_add_nc_u32_e32 v3, v3, v58
	s_delay_alu instid0(VALU_DEP_1) | instskip(NEXT) | instid1(VALU_DEP_1)
	v_mov_b32_dpp v58, v3 row_shr:8 row_mask:0xf bank_mask:0xf
	v_cndmask_b32_e64 v58, 0, v58, s3
	s_delay_alu instid0(VALU_DEP_1) | instskip(SKIP_3) | instid1(VALU_DEP_1)
	v_add_nc_u32_e32 v3, v3, v58
	ds_swizzle_b32 v58, v3 offset:swizzle(BROADCAST,32,15)
	s_waitcnt lgkmcnt(0)
	v_cndmask_b32_e64 v58, v58, 0, s4
	v_add_nc_u32_e32 v3, v3, v58
	s_and_saveexec_b32 s10, s5
	s_cbranch_execz .LBB190_22
; %bb.21:                               ;   in Loop: Header=BB190_4 Depth=2
	ds_store_b32 v39, v3
.LBB190_22:                             ;   in Loop: Header=BB190_4 Depth=2
	s_or_b32 exec_lo, exec_lo, s10
	s_waitcnt lgkmcnt(0)
	s_barrier
	buffer_gl0_inv
	s_and_saveexec_b32 s10, s6
	s_cbranch_execz .LBB190_24
; %bb.23:                               ;   in Loop: Header=BB190_4 Depth=2
	ds_load_b32 v58, v40
	s_waitcnt lgkmcnt(0)
	v_mov_b32_dpp v59, v58 row_shr:1 row_mask:0xf bank_mask:0xf
	s_delay_alu instid0(VALU_DEP_1) | instskip(NEXT) | instid1(VALU_DEP_1)
	v_cndmask_b32_e64 v59, v59, 0, s0
	v_add_nc_u32_e32 v58, v59, v58
	s_delay_alu instid0(VALU_DEP_1) | instskip(NEXT) | instid1(VALU_DEP_1)
	v_mov_b32_dpp v59, v58 row_shr:2 row_mask:0xf bank_mask:0xf
	v_cndmask_b32_e64 v59, 0, v59, s1
	s_delay_alu instid0(VALU_DEP_1) | instskip(NEXT) | instid1(VALU_DEP_1)
	v_add_nc_u32_e32 v58, v58, v59
	v_mov_b32_dpp v59, v58 row_shr:4 row_mask:0xf bank_mask:0xf
	s_delay_alu instid0(VALU_DEP_1) | instskip(NEXT) | instid1(VALU_DEP_1)
	v_cndmask_b32_e64 v59, 0, v59, s2
	v_add_nc_u32_e32 v58, v58, v59
	s_delay_alu instid0(VALU_DEP_1) | instskip(NEXT) | instid1(VALU_DEP_1)
	v_mov_b32_dpp v59, v58 row_shr:8 row_mask:0xf bank_mask:0xf
	v_cndmask_b32_e64 v59, 0, v59, s3
	s_delay_alu instid0(VALU_DEP_1)
	v_add_nc_u32_e32 v58, v58, v59
	ds_store_b32 v40, v58
.LBB190_24:                             ;   in Loop: Header=BB190_4 Depth=2
	s_or_b32 exec_lo, exec_lo, s10
	v_mov_b32_e32 v58, 0
	s_waitcnt lgkmcnt(0)
	s_barrier
	buffer_gl0_inv
	s_and_saveexec_b32 s10, s7
	s_cbranch_execz .LBB190_26
; %bb.25:                               ;   in Loop: Header=BB190_4 Depth=2
	ds_load_b32 v58, v41
.LBB190_26:                             ;   in Loop: Header=BB190_4 Depth=2
	s_or_b32 exec_lo, exec_lo, s10
	s_waitcnt lgkmcnt(0)
	v_add_nc_u32_e32 v3, v58, v3
	v_lshlrev_b32_e32 v49, 3, v49
	s_cmp_gt_u32 s24, 55
	ds_bpermute_b32 v3, v38, v3
	s_waitcnt lgkmcnt(0)
	v_cndmask_b32_e64 v3, v3, v58, s8
	s_delay_alu instid0(VALU_DEP_1) | instskip(NEXT) | instid1(VALU_DEP_1)
	v_cndmask_b32_e64 v3, v3, 0, s9
	v_add_nc_u32_e32 v4, v3, v4
	s_delay_alu instid0(VALU_DEP_1) | instskip(NEXT) | instid1(VALU_DEP_1)
	v_add_nc_u32_e32 v5, v4, v5
	v_add_nc_u32_e32 v6, v5, v6
	s_delay_alu instid0(VALU_DEP_1) | instskip(SKIP_3) | instid1(VALU_DEP_4)
	v_add_nc_u32_e32 v58, v6, v7
	v_lshlrev_b32_e32 v7, 3, v12
	v_lshlrev_b32_e32 v12, 3, v13
	;; [unrolled: 1-line block ×3, first 2 shown]
	v_add_nc_u32_e32 v59, v58, v0
	s_delay_alu instid0(VALU_DEP_1) | instskip(NEXT) | instid1(VALU_DEP_1)
	v_add_nc_u32_e32 v0, v59, v1
	v_add_nc_u32_e32 v1, v0, v2
	v_lshlrev_b32_e32 v2, 3, v9
	v_lshlrev_b32_e32 v9, 3, v10
	ds_store_2addr_b64 v33, v[3:4], v[5:6] offset0:8 offset1:9
	ds_store_2addr_b64 v36, v[58:59], v[0:1] offset0:2 offset1:3
	s_waitcnt lgkmcnt(0)
	s_barrier
	buffer_gl0_inv
	ds_load_b32 v0, v8
	ds_load_b32 v1, v11
	ds_load_b32 v3, v15
	ds_load_b32 v4, v45
	ds_load_b32 v5, v48
	ds_load_b32 v6, v51
	ds_load_b32 v8, v54
	ds_load_b32 v10, v57
	v_lshlrev_b32_e32 v11, 3, v14
	v_lshlrev_b32_e32 v14, 3, v43
	v_lshlrev_b32_e32 v15, 3, v47
	v_lshlrev_b32_e32 v47, 3, v46
	v_lshlrev_b32_e32 v48, 3, v50
	v_lshlrev_b32_e32 v50, 3, v53
	v_lshlrev_b32_e32 v51, 3, v52
	v_lshlrev_b32_e32 v52, 3, v56
	v_lshlrev_b32_e32 v53, 3, v55
	s_waitcnt lgkmcnt(0)
	v_lshl_add_u32 v43, v0, 3, v2
	v_lshlrev_b32_e32 v0, 3, v1
	v_lshlrev_b32_e32 v1, 3, v3
	;; [unrolled: 1-line block ×7, first 2 shown]
	v_add3_u32 v44, v7, v9, v0
	v_add3_u32 v45, v11, v12, v1
	;; [unrolled: 1-line block ×7, first 2 shown]
	s_cbranch_scc0 .LBB190_3
; %bb.27:                               ;   in Loop: Header=BB190_2 Depth=1
                                        ; implicit-def: $sgpr24
                                        ; implicit-def: $vgpr0_vgpr1
                                        ; implicit-def: $vgpr4_vgpr5
                                        ; implicit-def: $vgpr8_vgpr9
                                        ; implicit-def: $vgpr12_vgpr13
                                        ; implicit-def: $sgpr23
                                        ; implicit-def: $sgpr22
	s_branch .LBB190_1
.LBB190_28:
	v_lshlrev_b32_e32 v0, 3, v16
	s_add_u32 s0, s18, s14
	s_addc_u32 s1, s19, s15
	s_delay_alu instid0(VALU_DEP_1) | instskip(NEXT) | instid1(VALU_DEP_1)
	v_add_co_u32 v23, s2, s0, v0
	v_add_co_ci_u32_e64 v24, null, s1, 0, s2
	s_delay_alu instid0(VALU_DEP_2) | instskip(NEXT) | instid1(VALU_DEP_2)
	v_add_co_u32 v15, vcc_lo, v23, 0x2000
	v_add_co_ci_u32_e32 v16, vcc_lo, 0, v24, vcc_lo
	v_add_co_u32 v19, vcc_lo, v23, 0x4000
	v_add_co_ci_u32_e32 v20, vcc_lo, 0, v24, vcc_lo
	;; [unrolled: 2-line block ×4, first 2 shown]
	s_clause 0x7
	global_store_b64 v0, v[1:2], s[0:1]
	global_store_b64 v[15:16], v[5:6], off
	global_store_b64 v[19:20], v[7:8], off offset:-4096
	global_store_b64 v[19:20], v[9:10], off
	global_store_b64 v[21:22], v[11:12], off offset:-4096
	;; [unrolled: 2-line block ×3, first 2 shown]
	global_store_b64 v[23:24], v[17:18], off
	s_nop 0
	s_sendmsg sendmsg(MSG_DEALLOC_VGPRS)
	s_endpgm
	.section	.rodata,"a",@progbits
	.p2align	6, 0x0
	.amdhsa_kernel _Z16sort_keys_kernelI22helper_blocked_blockedN15benchmark_utils11custom_typeIiiEELj512ELj8ELj10EEvPKT0_PS4_
		.amdhsa_group_segment_fixed_size 32768
		.amdhsa_private_segment_fixed_size 0
		.amdhsa_kernarg_size 272
		.amdhsa_user_sgpr_count 15
		.amdhsa_user_sgpr_dispatch_ptr 0
		.amdhsa_user_sgpr_queue_ptr 0
		.amdhsa_user_sgpr_kernarg_segment_ptr 1
		.amdhsa_user_sgpr_dispatch_id 0
		.amdhsa_user_sgpr_private_segment_size 0
		.amdhsa_wavefront_size32 1
		.amdhsa_uses_dynamic_stack 0
		.amdhsa_enable_private_segment 0
		.amdhsa_system_sgpr_workgroup_id_x 1
		.amdhsa_system_sgpr_workgroup_id_y 0
		.amdhsa_system_sgpr_workgroup_id_z 0
		.amdhsa_system_sgpr_workgroup_info 0
		.amdhsa_system_vgpr_workitem_id 2
		.amdhsa_next_free_vgpr 60
		.amdhsa_next_free_sgpr 29
		.amdhsa_reserve_vcc 1
		.amdhsa_float_round_mode_32 0
		.amdhsa_float_round_mode_16_64 0
		.amdhsa_float_denorm_mode_32 3
		.amdhsa_float_denorm_mode_16_64 3
		.amdhsa_dx10_clamp 1
		.amdhsa_ieee_mode 1
		.amdhsa_fp16_overflow 0
		.amdhsa_workgroup_processor_mode 1
		.amdhsa_memory_ordered 1
		.amdhsa_forward_progress 0
		.amdhsa_shared_vgpr_count 0
		.amdhsa_exception_fp_ieee_invalid_op 0
		.amdhsa_exception_fp_denorm_src 0
		.amdhsa_exception_fp_ieee_div_zero 0
		.amdhsa_exception_fp_ieee_overflow 0
		.amdhsa_exception_fp_ieee_underflow 0
		.amdhsa_exception_fp_ieee_inexact 0
		.amdhsa_exception_int_div_zero 0
	.end_amdhsa_kernel
	.section	.text._Z16sort_keys_kernelI22helper_blocked_blockedN15benchmark_utils11custom_typeIiiEELj512ELj8ELj10EEvPKT0_PS4_,"axG",@progbits,_Z16sort_keys_kernelI22helper_blocked_blockedN15benchmark_utils11custom_typeIiiEELj512ELj8ELj10EEvPKT0_PS4_,comdat
.Lfunc_end190:
	.size	_Z16sort_keys_kernelI22helper_blocked_blockedN15benchmark_utils11custom_typeIiiEELj512ELj8ELj10EEvPKT0_PS4_, .Lfunc_end190-_Z16sort_keys_kernelI22helper_blocked_blockedN15benchmark_utils11custom_typeIiiEELj512ELj8ELj10EEvPKT0_PS4_
                                        ; -- End function
	.section	.AMDGPU.csdata,"",@progbits
; Kernel info:
; codeLenInByte = 5304
; NumSgprs: 31
; NumVgprs: 60
; ScratchSize: 0
; MemoryBound: 0
; FloatMode: 240
; IeeeMode: 1
; LDSByteSize: 32768 bytes/workgroup (compile time only)
; SGPRBlocks: 3
; VGPRBlocks: 7
; NumSGPRsForWavesPerEU: 31
; NumVGPRsForWavesPerEU: 60
; Occupancy: 16
; WaveLimiterHint : 1
; COMPUTE_PGM_RSRC2:SCRATCH_EN: 0
; COMPUTE_PGM_RSRC2:USER_SGPR: 15
; COMPUTE_PGM_RSRC2:TRAP_HANDLER: 0
; COMPUTE_PGM_RSRC2:TGID_X_EN: 1
; COMPUTE_PGM_RSRC2:TGID_Y_EN: 0
; COMPUTE_PGM_RSRC2:TGID_Z_EN: 0
; COMPUTE_PGM_RSRC2:TIDIG_COMP_CNT: 2
	.section	.text._Z17sort_pairs_kernelI22helper_blocked_blockedN15benchmark_utils11custom_typeIiiEELj512ELj8ELj10EEvPKT0_PS4_,"axG",@progbits,_Z17sort_pairs_kernelI22helper_blocked_blockedN15benchmark_utils11custom_typeIiiEELj512ELj8ELj10EEvPKT0_PS4_,comdat
	.protected	_Z17sort_pairs_kernelI22helper_blocked_blockedN15benchmark_utils11custom_typeIiiEELj512ELj8ELj10EEvPKT0_PS4_ ; -- Begin function _Z17sort_pairs_kernelI22helper_blocked_blockedN15benchmark_utils11custom_typeIiiEELj512ELj8ELj10EEvPKT0_PS4_
	.globl	_Z17sort_pairs_kernelI22helper_blocked_blockedN15benchmark_utils11custom_typeIiiEELj512ELj8ELj10EEvPKT0_PS4_
	.p2align	8
	.type	_Z17sort_pairs_kernelI22helper_blocked_blockedN15benchmark_utils11custom_typeIiiEELj512ELj8ELj10EEvPKT0_PS4_,@function
_Z17sort_pairs_kernelI22helper_blocked_blockedN15benchmark_utils11custom_typeIiiEELj512ELj8ELj10EEvPKT0_PS4_: ; @_Z17sort_pairs_kernelI22helper_blocked_blockedN15benchmark_utils11custom_typeIiiEELj512ELj8ELj10EEvPKT0_PS4_
; %bb.0:
	s_clause 0x1
	s_load_b128 s[16:19], s[0:1], 0x0
	s_load_b32 s9, s[0:1], 0x1c
	v_and_b32_e32 v32, 0x3ff, v0
	s_mov_b32 s21, 0
	s_lshl_b32 s20, s15, 12
	s_mov_b32 s13, s21
	s_lshl_b64 s[14:15], s[20:21], 3
	v_lshlrev_b32_e32 v17, 3, v32
	v_and_b32_e32 v21, 0x1e0, v32
	v_lshlrev_b32_e32 v65, 5, v32
	v_mul_u32_u24_e32 v35, 60, v32
	v_cmp_gt_u32_e64 s6, 16, v32
	v_cmp_lt_u32_e64 s7, 31, v32
	v_cmp_eq_u32_e64 s8, 0, v32
	v_mad_i32_i24 v69, 0xffffffe4, v32, v65
	v_add_nc_u32_e32 v66, 64, v65
	s_mov_b32 s20, s21
	s_delay_alu instid0(VALU_DEP_2) | instskip(SKIP_4) | instid1(VALU_DEP_1)
	v_add_nc_u32_e32 v74, v69, v35
	s_waitcnt lgkmcnt(0)
	s_add_u32 s0, s16, s14
	s_addc_u32 s1, s17, s15
	v_add_co_u32 v13, s2, s0, v17
	v_add_co_ci_u32_e64 v14, null, s1, 0, s2
	global_load_b64 v[1:2], v17, s[0:1]
	v_add_co_u32 v5, vcc_lo, v13, 0x2000
	v_add_co_ci_u32_e32 v6, vcc_lo, 0, v14, vcc_lo
	v_add_co_u32 v9, vcc_lo, v13, 0x4000
	v_add_co_ci_u32_e32 v10, vcc_lo, 0, v14, vcc_lo
	v_add_co_u32 v11, vcc_lo, v13, 0x6000
	v_add_co_ci_u32_e32 v12, vcc_lo, 0, v14, vcc_lo
	v_add_co_u32 v15, vcc_lo, 0x7000, v13
	v_add_co_ci_u32_e32 v16, vcc_lo, 0, v14, vcc_lo
	s_clause 0x6
	global_load_b64 v[3:4], v[5:6], off offset:-4096
	global_load_b64 v[5:6], v[5:6], off
	global_load_b64 v[7:8], v[9:10], off offset:-4096
	global_load_b64 v[9:10], v[9:10], off
	;; [unrolled: 2-line block ×3, first 2 shown]
	global_load_b64 v[11:12], v[15:16], off
	v_mbcnt_lo_u32_b32 v15, -1, 0
	v_bfe_u32 v16, v0, 10, 10
	v_bfe_u32 v0, v0, 20, 10
	s_lshr_b32 s10, s9, 16
	s_and_b32 s9, s9, 0xffff
	v_add_nc_u32_e32 v20, -1, v15
	v_and_b32_e32 v19, 16, v15
	v_and_b32_e32 v18, 15, v15
	v_mad_u32_u24 v0, v0, s10, v16
	v_cmp_eq_u32_e64 s0, 0, v15
	v_cmp_gt_i32_e32 vcc_lo, 0, v20
	v_cmp_eq_u32_e64 s5, 0, v19
	v_lshrrev_b32_e32 v19, 3, v32
	v_cmp_eq_u32_e64 s1, 0, v18
	v_cmp_lt_u32_e64 s2, 1, v18
	v_cmp_lt_u32_e64 s3, 3, v18
	;; [unrolled: 1-line block ×3, first 2 shown]
	v_cndmask_b32_e32 v18, v20, v15, vcc_lo
	v_or_b32_e32 v20, v15, v21
	v_and_or_b32 v17, 0xf00, v17, v15
	v_or_b32_e32 v21, 31, v21
	v_and_b32_e32 v68, 60, v19
	v_lshlrev_b32_e32 v67, 2, v18
	v_lshlrev_b32_e32 v70, 6, v20
	;; [unrolled: 1-line block ×3, first 2 shown]
	s_mov_b32 s16, s21
	v_add_nc_u32_e32 v72, -4, v68
	s_mov_b32 s17, s21
	s_waitcnt vmcnt(7)
	v_add_nc_u32_e32 v29, 1, v2
	v_add_nc_u32_e32 v28, 1, v1
	s_waitcnt vmcnt(6)
	v_add_nc_u32_e32 v31, 1, v4
	v_add_nc_u32_e32 v30, 1, v3
	s_waitcnt vmcnt(5)
	v_add_nc_u32_e32 v25, 1, v6
	s_waitcnt vmcnt(1)
	v_mad_u64_u32 v[15:16], null, v0, s9, v[32:33]
	v_cmp_eq_u32_e64 s9, v21, v32
	v_add_nc_u32_e32 v24, 1, v5
	v_add_nc_u32_e32 v27, 1, v8
	;; [unrolled: 1-line block ×5, first 2 shown]
	v_lshrrev_b32_e32 v73, 5, v15
	v_add_nc_u32_e32 v23, 1, v14
	v_add_nc_u32_e32 v22, 1, v13
	v_add_nc_u32_e32 v17, 1, v34
	v_add_nc_u32_e32 v16, 1, v33
	s_waitcnt vmcnt(0)
	v_add_nc_u32_e32 v19, 1, v12
	v_add_nc_u32_e32 v18, 1, v11
	s_branch .LBB191_2
.LBB191_1:                              ;   in Loop: Header=BB191_2 Depth=1
	s_barrier
	buffer_gl0_inv
	ds_store_b64 v75, v[33:34]
	ds_store_b64 v76, v[53:54]
	;; [unrolled: 1-line block ×8, first 2 shown]
	s_waitcnt lgkmcnt(0)
	s_barrier
	buffer_gl0_inv
	ds_load_2addr_b64 v[1:4], v74 offset1:1
	ds_load_2addr_b64 v[5:8], v74 offset0:2 offset1:3
	ds_load_2addr_b64 v[9:12], v74 offset0:4 offset1:5
	;; [unrolled: 1-line block ×3, first 2 shown]
	s_waitcnt lgkmcnt(0)
	s_barrier
	buffer_gl0_inv
	ds_store_b64 v75, v[37:38]
	ds_store_b64 v76, v[35:36]
	;; [unrolled: 1-line block ×8, first 2 shown]
	s_waitcnt lgkmcnt(0)
	s_barrier
	buffer_gl0_inv
	ds_load_2addr_b64 v[28:31], v74 offset1:1
	ds_load_2addr_b64 v[24:27], v74 offset0:2 offset1:3
	ds_load_2addr_b64 v[20:23], v74 offset0:4 offset1:5
	;; [unrolled: 1-line block ×3, first 2 shown]
	s_add_i32 s13, s13, 1
	s_delay_alu instid0(SALU_CYCLE_1)
	s_cmp_lg_u32 s13, 10
	v_xor_b32_e32 v1, 0x80000000, v1
	v_xor_b32_e32 v2, 0x80000000, v2
	;; [unrolled: 1-line block ×16, first 2 shown]
	s_cbranch_scc0 .LBB191_28
.LBB191_2:                              ; =>This Loop Header: Depth=1
                                        ;     Child Loop BB191_4 Depth 2
	v_xor_b32_e32 v2, 0x80000000, v2
	v_xor_b32_e32 v1, 0x80000000, v1
	;; [unrolled: 1-line block ×16, first 2 shown]
	ds_store_2addr_b64 v70, v[1:2], v[3:4] offset1:1
	ds_store_2addr_b64 v70, v[5:6], v[7:8] offset0:2 offset1:3
	ds_store_2addr_b64 v70, v[9:10], v[13:14] offset0:4 offset1:5
	;; [unrolled: 1-line block ×3, first 2 shown]
	; wave barrier
	ds_load_2addr_b64 v[0:3], v71 offset1:32
	ds_load_2addr_b64 v[4:7], v71 offset0:64 offset1:96
	ds_load_2addr_b64 v[8:11], v71 offset0:128 offset1:160
	;; [unrolled: 1-line block ×3, first 2 shown]
	; wave barrier
	s_waitcnt lgkmcnt(11)
	ds_store_2addr_b64 v70, v[28:29], v[30:31] offset1:1
	s_waitcnt lgkmcnt(11)
	ds_store_2addr_b64 v70, v[24:25], v[26:27] offset0:2 offset1:3
	s_waitcnt lgkmcnt(11)
	ds_store_2addr_b64 v70, v[20:21], v[22:23] offset0:4 offset1:5
	;; [unrolled: 2-line block ×3, first 2 shown]
	; wave barrier
	ds_load_2addr_b64 v[20:23], v71 offset1:32
	ds_load_2addr_b64 v[24:27], v71 offset0:64 offset1:96
	ds_load_2addr_b64 v[28:31], v71 offset0:128 offset1:160
	;; [unrolled: 1-line block ×3, first 2 shown]
	s_mov_b32 s22, 8
	s_mov_b32 s23, 32
	s_mov_b32 s24, 0
	s_waitcnt lgkmcnt(0)
	s_barrier
	s_branch .LBB191_4
.LBB191_3:                              ;   in Loop: Header=BB191_4 Depth=2
	s_barrier
	buffer_gl0_inv
	ds_store_b64 v75, v[33:34]
	ds_store_b64 v76, v[53:54]
	;; [unrolled: 1-line block ×8, first 2 shown]
	s_waitcnt lgkmcnt(0)
	s_barrier
	buffer_gl0_inv
	ds_load_2addr_b64 v[0:3], v71 offset1:32
	ds_load_2addr_b64 v[4:7], v71 offset0:64 offset1:96
	ds_load_2addr_b64 v[8:11], v71 offset0:128 offset1:160
	;; [unrolled: 1-line block ×3, first 2 shown]
	s_waitcnt lgkmcnt(0)
	s_barrier
	buffer_gl0_inv
	ds_store_b64 v75, v[37:38]
	ds_store_b64 v76, v[35:36]
	;; [unrolled: 1-line block ×8, first 2 shown]
	s_waitcnt lgkmcnt(0)
	s_barrier
	buffer_gl0_inv
	ds_load_2addr_b64 v[20:23], v71 offset1:32
	ds_load_2addr_b64 v[24:27], v71 offset0:64 offset1:96
	ds_load_2addr_b64 v[28:31], v71 offset0:128 offset1:160
	;; [unrolled: 1-line block ×3, first 2 shown]
	s_add_i32 s23, s23, -8
	s_add_i32 s22, s22, 8
	s_add_i32 s24, s24, 8
	s_waitcnt lgkmcnt(0)
	s_barrier
	s_cbranch_execz .LBB191_1
.LBB191_4:                              ;   Parent Loop BB191_2 Depth=1
                                        ; =>  This Inner Loop Header: Depth=2
	s_min_i32 s11, s22, 32
	s_cmp_lt_u32 s24, 32
	v_dual_mov_b32 v34, v1 :: v_dual_mov_b32 v33, v0
	s_cselect_b32 vcc_lo, -1, 0
	s_cmp_gt_u32 s24, 24
	v_dual_mov_b32 v36, v23 :: v_dual_mov_b32 v35, v22
	s_cselect_b32 s10, -1, 0
	s_sub_i32 s11, s11, 32
	v_lshrrev_b32_e32 v1, s24, v34
	s_add_i32 s12, s11, s23
	v_dual_mov_b32 v44, v27 :: v_dual_mov_b32 v43, v26
	s_lshl_b32 s12, -1, s12
	v_dual_mov_b32 v46, v25 :: v_dual_mov_b32 v45, v24
	s_not_b32 s12, s12
	s_cmp_lg_u32 s11, s24
	v_mov_b32_e32 v38, v21
	s_cselect_b32 s25, s12, -1
	s_max_i32 s26, s23, 0
	s_max_i32 s11, s24, 32
	v_and_b32_e32 v1, s25, v1
	s_sub_i32 s12, s11, s26
	s_sub_i32 s27, s11, 32
	;; [unrolled: 1-line block ×3, first 2 shown]
	v_lshrrev_b32_e32 v0, s27, v33
	s_min_i32 s11, s12, 32
	v_mov_b32_e32 v60, v7
	s_sub_i32 s11, s11, s27
	v_cndmask_b32_e32 v1, 0, v1, vcc_lo
	s_lshl_b32 s12, -1, s11
	v_mov_b32_e32 v56, v11
	s_not_b32 s12, s12
	s_cmp_lg_u32 s11, 32
	v_mov_b32_e32 v37, v20
	s_cselect_b32 s28, s12, -1
	v_mov_b32_e32 v62, v15
	v_and_b32_e32 v0, s28, v0
	v_dual_mov_b32 v58, v9 :: v_dual_mov_b32 v57, v8
	buffer_gl0_inv
	v_dual_mov_b32 v64, v13 :: v_dual_mov_b32 v63, v12
	v_lshlrev_b32_e32 v0, s26, v0
	v_dual_mov_b32 v42, v29 :: v_dual_mov_b32 v41, v28
	v_dual_mov_b32 v40, v31 :: v_dual_mov_b32 v39, v30
	s_delay_alu instid0(VALU_DEP_3) | instskip(SKIP_2) | instid1(VALU_DEP_3)
	v_cndmask_b32_e64 v0, 0, v0, s10
	v_dual_mov_b32 v48, v17 :: v_dual_mov_b32 v47, v16
	v_dual_mov_b32 v50, v19 :: v_dual_mov_b32 v49, v18
	v_or_b32_e32 v20, v1, v0
	v_dual_mov_b32 v54, v3 :: v_dual_mov_b32 v53, v2
	v_dual_mov_b32 v52, v5 :: v_dual_mov_b32 v51, v4
	s_delay_alu instid0(VALU_DEP_3)
	v_and_b32_e32 v0, 1, v20
	v_lshlrev_b32_e32 v1, 30, v20
	v_lshlrev_b32_e32 v21, 29, v20
	;; [unrolled: 1-line block ×4, first 2 shown]
	v_add_co_u32 v0, s11, v0, -1
	s_delay_alu instid0(VALU_DEP_1)
	v_cndmask_b32_e64 v23, 0, 1, s11
	v_not_b32_e32 v27, v1
	v_cmp_gt_i32_e64 s12, 0, v1
	v_not_b32_e32 v1, v21
	v_lshlrev_b32_e32 v25, 26, v20
	v_cmp_ne_u32_e64 s11, 0, v23
	v_ashrrev_i32_e32 v27, 31, v27
	v_mov_b32_e32 v59, v6
	v_ashrrev_i32_e32 v1, 31, v1
	v_lshlrev_b32_e32 v26, 25, v20
	v_xor_b32_e32 v0, s11, v0
	v_cmp_gt_i32_e64 s11, 0, v21
	v_not_b32_e32 v21, v22
	v_xor_b32_e32 v27, s12, v27
	v_cmp_gt_i32_e64 s12, 0, v22
	v_and_b32_e32 v0, exec_lo, v0
	v_not_b32_e32 v22, v24
	v_ashrrev_i32_e32 v21, 31, v21
	v_xor_b32_e32 v1, s11, v1
	v_cmp_gt_i32_e64 s11, 0, v24
	v_dual_mov_b32 v55, v10 :: v_dual_and_b32 v0, v0, v27
	v_not_b32_e32 v24, v25
	v_ashrrev_i32_e32 v22, 31, v22
	v_xor_b32_e32 v21, s12, v21
	s_delay_alu instid0(VALU_DEP_4)
	v_and_b32_e32 v0, v0, v1
	v_lshlrev_b32_e32 v23, 24, v20
	v_cmp_gt_i32_e64 s12, 0, v25
	v_not_b32_e32 v1, v26
	v_ashrrev_i32_e32 v24, 31, v24
	v_xor_b32_e32 v22, s11, v22
	v_and_b32_e32 v0, v0, v21
	v_cmp_gt_i32_e64 s11, 0, v26
	v_not_b32_e32 v21, v23
	v_ashrrev_i32_e32 v1, 31, v1
	v_xor_b32_e32 v24, s12, v24
	v_dual_mov_b32 v61, v14 :: v_dual_and_b32 v0, v0, v22
	v_cmp_gt_i32_e64 s12, 0, v23
	v_ashrrev_i32_e32 v16, 31, v21
	v_xor_b32_e32 v1, s11, v1
	s_delay_alu instid0(VALU_DEP_4) | instskip(NEXT) | instid1(VALU_DEP_3)
	v_and_b32_e32 v0, v0, v24
	v_xor_b32_e32 v3, s12, v16
	s_delay_alu instid0(VALU_DEP_2) | instskip(SKIP_1) | instid1(VALU_DEP_2)
	v_dual_mov_b32 v1, s20 :: v_dual_and_b32 v0, v0, v1
	v_mov_b32_e32 v2, s21
	v_dual_mov_b32 v3, s16 :: v_dual_and_b32 v0, v0, v3
	v_mov_b32_e32 v4, s17
	ds_store_2addr_b64 v65, v[1:2], v[3:4] offset0:8 offset1:9
	ds_store_2addr_b64 v66, v[1:2], v[3:4] offset0:2 offset1:3
	v_mbcnt_lo_u32_b32 v9, v0, 0
	v_lshl_add_u32 v1, v20, 4, v73
	v_cmp_ne_u32_e64 s12, 0, v0
	s_waitcnt lgkmcnt(0)
	s_barrier
	v_cmp_eq_u32_e64 s11, 0, v9
	v_lshl_add_u32 v8, v1, 2, 64
	buffer_gl0_inv
	; wave barrier
	s_and_b32 s12, s11, s12
	s_delay_alu instid0(SALU_CYCLE_1)
	s_and_saveexec_b32 s11, s12
	s_cbranch_execz .LBB191_6
; %bb.5:                                ;   in Loop: Header=BB191_4 Depth=2
	v_bcnt_u32_b32 v0, v0, 0
	ds_store_b32 v8, v0
.LBB191_6:                              ;   in Loop: Header=BB191_4 Depth=2
	s_or_b32 exec_lo, exec_lo, s11
	v_lshrrev_b32_e32 v0, s27, v53
	v_lshrrev_b32_e32 v1, s24, v54
	; wave barrier
	s_delay_alu instid0(VALU_DEP_1) | instskip(NEXT) | instid1(VALU_DEP_1)
	v_and_b32_e32 v1, s25, v1
	v_dual_cndmask_b32 v1, 0, v1 :: v_dual_and_b32 v0, s28, v0
	s_delay_alu instid0(VALU_DEP_1) | instskip(NEXT) | instid1(VALU_DEP_1)
	v_lshlrev_b32_e32 v0, s26, v0
	v_cndmask_b32_e64 v0, 0, v0, s10
	s_delay_alu instid0(VALU_DEP_1) | instskip(NEXT) | instid1(VALU_DEP_1)
	v_or_b32_e32 v0, v1, v0
	v_and_b32_e32 v1, 1, v0
	v_lshlrev_b32_e32 v2, 30, v0
	v_lshlrev_b32_e32 v3, 29, v0
	v_lshlrev_b32_e32 v4, 28, v0
	v_lshlrev_b32_e32 v6, 27, v0
	v_add_co_u32 v1, s11, v1, -1
	s_delay_alu instid0(VALU_DEP_1)
	v_cndmask_b32_e64 v5, 0, 1, s11
	v_not_b32_e32 v11, v2
	v_cmp_gt_i32_e64 s12, 0, v2
	v_not_b32_e32 v2, v3
	v_lshlrev_b32_e32 v7, 26, v0
	v_cmp_ne_u32_e64 s11, 0, v5
	v_ashrrev_i32_e32 v11, 31, v11
	v_lshlrev_b32_e32 v10, 25, v0
	v_ashrrev_i32_e32 v2, 31, v2
	v_lshlrev_b32_e32 v5, 24, v0
	v_xor_b32_e32 v1, s11, v1
	v_cmp_gt_i32_e64 s11, 0, v3
	v_not_b32_e32 v3, v4
	v_xor_b32_e32 v11, s12, v11
	v_cmp_gt_i32_e64 s12, 0, v4
	v_and_b32_e32 v1, exec_lo, v1
	v_not_b32_e32 v4, v6
	v_ashrrev_i32_e32 v3, 31, v3
	v_xor_b32_e32 v2, s11, v2
	v_cmp_gt_i32_e64 s11, 0, v6
	v_and_b32_e32 v1, v1, v11
	v_not_b32_e32 v6, v7
	v_ashrrev_i32_e32 v4, 31, v4
	v_xor_b32_e32 v3, s12, v3
	v_cmp_gt_i32_e64 s12, 0, v7
	v_and_b32_e32 v1, v1, v2
	;; [unrolled: 5-line block ×3, first 2 shown]
	v_not_b32_e32 v3, v5
	v_ashrrev_i32_e32 v2, 31, v2
	v_xor_b32_e32 v6, s12, v6
	v_lshlrev_b32_e32 v0, 4, v0
	v_and_b32_e32 v1, v1, v4
	v_cmp_gt_i32_e64 s12, 0, v5
	v_ashrrev_i32_e32 v3, 31, v3
	v_xor_b32_e32 v2, s11, v2
	v_add_lshl_u32 v4, v0, v73, 2
	v_and_b32_e32 v1, v1, v6
	s_delay_alu instid0(VALU_DEP_4) | instskip(SKIP_3) | instid1(VALU_DEP_2)
	v_xor_b32_e32 v0, s12, v3
	ds_load_b32 v10, v4 offset:64
	v_and_b32_e32 v1, v1, v2
	v_add_nc_u32_e32 v11, 64, v4
	; wave barrier
	v_and_b32_e32 v0, v1, v0
	s_delay_alu instid0(VALU_DEP_1) | instskip(SKIP_1) | instid1(VALU_DEP_2)
	v_mbcnt_lo_u32_b32 v12, v0, 0
	v_cmp_ne_u32_e64 s12, 0, v0
	v_cmp_eq_u32_e64 s11, 0, v12
	s_delay_alu instid0(VALU_DEP_1) | instskip(NEXT) | instid1(SALU_CYCLE_1)
	s_and_b32 s12, s11, s12
	s_and_saveexec_b32 s11, s12
	s_cbranch_execz .LBB191_8
; %bb.7:                                ;   in Loop: Header=BB191_4 Depth=2
	s_waitcnt lgkmcnt(0)
	v_bcnt_u32_b32 v0, v0, v10
	ds_store_b32 v11, v0
.LBB191_8:                              ;   in Loop: Header=BB191_4 Depth=2
	s_or_b32 exec_lo, exec_lo, s11
	v_lshrrev_b32_e32 v0, s27, v51
	v_lshrrev_b32_e32 v1, s24, v52
	; wave barrier
	s_delay_alu instid0(VALU_DEP_1) | instskip(NEXT) | instid1(VALU_DEP_1)
	v_and_b32_e32 v1, s25, v1
	v_dual_cndmask_b32 v1, 0, v1 :: v_dual_and_b32 v0, s28, v0
	s_delay_alu instid0(VALU_DEP_1) | instskip(NEXT) | instid1(VALU_DEP_1)
	v_lshlrev_b32_e32 v0, s26, v0
	v_cndmask_b32_e64 v0, 0, v0, s10
	s_delay_alu instid0(VALU_DEP_1) | instskip(NEXT) | instid1(VALU_DEP_1)
	v_or_b32_e32 v0, v1, v0
	v_and_b32_e32 v1, 1, v0
	v_lshlrev_b32_e32 v2, 30, v0
	v_lshlrev_b32_e32 v3, 29, v0
	;; [unrolled: 1-line block ×4, first 2 shown]
	v_add_co_u32 v1, s11, v1, -1
	s_delay_alu instid0(VALU_DEP_1)
	v_cndmask_b32_e64 v5, 0, 1, s11
	v_not_b32_e32 v14, v2
	v_cmp_gt_i32_e64 s12, 0, v2
	v_not_b32_e32 v2, v3
	v_lshlrev_b32_e32 v7, 26, v0
	v_cmp_ne_u32_e64 s11, 0, v5
	v_ashrrev_i32_e32 v14, 31, v14
	v_lshlrev_b32_e32 v13, 25, v0
	v_ashrrev_i32_e32 v2, 31, v2
	v_lshlrev_b32_e32 v5, 24, v0
	v_xor_b32_e32 v1, s11, v1
	v_cmp_gt_i32_e64 s11, 0, v3
	v_not_b32_e32 v3, v4
	v_xor_b32_e32 v14, s12, v14
	v_cmp_gt_i32_e64 s12, 0, v4
	v_and_b32_e32 v1, exec_lo, v1
	v_not_b32_e32 v4, v6
	v_ashrrev_i32_e32 v3, 31, v3
	v_xor_b32_e32 v2, s11, v2
	v_cmp_gt_i32_e64 s11, 0, v6
	v_and_b32_e32 v1, v1, v14
	v_not_b32_e32 v6, v7
	v_ashrrev_i32_e32 v4, 31, v4
	v_xor_b32_e32 v3, s12, v3
	v_cmp_gt_i32_e64 s12, 0, v7
	v_and_b32_e32 v1, v1, v2
	;; [unrolled: 5-line block ×3, first 2 shown]
	v_not_b32_e32 v3, v5
	v_ashrrev_i32_e32 v2, 31, v2
	v_xor_b32_e32 v6, s12, v6
	v_lshlrev_b32_e32 v0, 4, v0
	v_and_b32_e32 v1, v1, v4
	v_cmp_gt_i32_e64 s12, 0, v5
	v_ashrrev_i32_e32 v3, 31, v3
	v_xor_b32_e32 v2, s11, v2
	v_add_lshl_u32 v4, v0, v73, 2
	v_and_b32_e32 v1, v1, v6
	s_delay_alu instid0(VALU_DEP_4) | instskip(SKIP_3) | instid1(VALU_DEP_2)
	v_xor_b32_e32 v0, s12, v3
	ds_load_b32 v13, v4 offset:64
	v_and_b32_e32 v1, v1, v2
	v_add_nc_u32_e32 v15, 64, v4
	; wave barrier
	v_and_b32_e32 v0, v1, v0
	s_delay_alu instid0(VALU_DEP_1) | instskip(SKIP_1) | instid1(VALU_DEP_2)
	v_mbcnt_lo_u32_b32 v14, v0, 0
	v_cmp_ne_u32_e64 s12, 0, v0
	v_cmp_eq_u32_e64 s11, 0, v14
	s_delay_alu instid0(VALU_DEP_1) | instskip(NEXT) | instid1(SALU_CYCLE_1)
	s_and_b32 s12, s11, s12
	s_and_saveexec_b32 s11, s12
	s_cbranch_execz .LBB191_10
; %bb.9:                                ;   in Loop: Header=BB191_4 Depth=2
	s_waitcnt lgkmcnt(0)
	v_bcnt_u32_b32 v0, v0, v13
	ds_store_b32 v15, v0
.LBB191_10:                             ;   in Loop: Header=BB191_4 Depth=2
	s_or_b32 exec_lo, exec_lo, s11
	v_lshrrev_b32_e32 v0, s27, v59
	v_lshrrev_b32_e32 v1, s24, v60
	; wave barrier
	s_delay_alu instid0(VALU_DEP_1) | instskip(NEXT) | instid1(VALU_DEP_1)
	v_and_b32_e32 v1, s25, v1
	v_dual_cndmask_b32 v1, 0, v1 :: v_dual_and_b32 v0, s28, v0
	s_delay_alu instid0(VALU_DEP_1) | instskip(NEXT) | instid1(VALU_DEP_1)
	v_lshlrev_b32_e32 v0, s26, v0
	v_cndmask_b32_e64 v0, 0, v0, s10
	s_delay_alu instid0(VALU_DEP_1) | instskip(NEXT) | instid1(VALU_DEP_1)
	v_or_b32_e32 v0, v1, v0
	v_and_b32_e32 v1, 1, v0
	v_lshlrev_b32_e32 v2, 30, v0
	v_lshlrev_b32_e32 v3, 29, v0
	;; [unrolled: 1-line block ×4, first 2 shown]
	v_add_co_u32 v1, s11, v1, -1
	s_delay_alu instid0(VALU_DEP_1)
	v_cndmask_b32_e64 v5, 0, 1, s11
	v_not_b32_e32 v17, v2
	v_cmp_gt_i32_e64 s12, 0, v2
	v_not_b32_e32 v2, v3
	v_lshlrev_b32_e32 v7, 26, v0
	v_cmp_ne_u32_e64 s11, 0, v5
	v_ashrrev_i32_e32 v17, 31, v17
	v_lshlrev_b32_e32 v16, 25, v0
	v_ashrrev_i32_e32 v2, 31, v2
	v_lshlrev_b32_e32 v5, 24, v0
	v_xor_b32_e32 v1, s11, v1
	v_cmp_gt_i32_e64 s11, 0, v3
	v_not_b32_e32 v3, v4
	v_xor_b32_e32 v17, s12, v17
	v_cmp_gt_i32_e64 s12, 0, v4
	v_and_b32_e32 v1, exec_lo, v1
	v_not_b32_e32 v4, v6
	v_ashrrev_i32_e32 v3, 31, v3
	v_xor_b32_e32 v2, s11, v2
	v_cmp_gt_i32_e64 s11, 0, v6
	v_and_b32_e32 v1, v1, v17
	v_not_b32_e32 v6, v7
	v_ashrrev_i32_e32 v4, 31, v4
	v_xor_b32_e32 v3, s12, v3
	v_cmp_gt_i32_e64 s12, 0, v7
	v_and_b32_e32 v1, v1, v2
	;; [unrolled: 5-line block ×3, first 2 shown]
	v_not_b32_e32 v3, v5
	v_ashrrev_i32_e32 v2, 31, v2
	v_xor_b32_e32 v6, s12, v6
	v_lshlrev_b32_e32 v0, 4, v0
	v_and_b32_e32 v1, v1, v4
	v_cmp_gt_i32_e64 s12, 0, v5
	v_ashrrev_i32_e32 v3, 31, v3
	v_xor_b32_e32 v2, s11, v2
	v_add_lshl_u32 v4, v0, v73, 2
	v_and_b32_e32 v1, v1, v6
	s_delay_alu instid0(VALU_DEP_4) | instskip(SKIP_3) | instid1(VALU_DEP_2)
	v_xor_b32_e32 v0, s12, v3
	ds_load_b32 v16, v4 offset:64
	v_and_b32_e32 v1, v1, v2
	v_add_nc_u32_e32 v18, 64, v4
	; wave barrier
	v_and_b32_e32 v0, v1, v0
	s_delay_alu instid0(VALU_DEP_1) | instskip(SKIP_1) | instid1(VALU_DEP_2)
	v_mbcnt_lo_u32_b32 v17, v0, 0
	v_cmp_ne_u32_e64 s12, 0, v0
	v_cmp_eq_u32_e64 s11, 0, v17
	s_delay_alu instid0(VALU_DEP_1) | instskip(NEXT) | instid1(SALU_CYCLE_1)
	s_and_b32 s12, s11, s12
	s_and_saveexec_b32 s11, s12
	s_cbranch_execz .LBB191_12
; %bb.11:                               ;   in Loop: Header=BB191_4 Depth=2
	s_waitcnt lgkmcnt(0)
	v_bcnt_u32_b32 v0, v0, v16
	ds_store_b32 v18, v0
.LBB191_12:                             ;   in Loop: Header=BB191_4 Depth=2
	s_or_b32 exec_lo, exec_lo, s11
	v_lshrrev_b32_e32 v0, s27, v57
	v_lshrrev_b32_e32 v1, s24, v58
	; wave barrier
	s_delay_alu instid0(VALU_DEP_1) | instskip(NEXT) | instid1(VALU_DEP_1)
	v_and_b32_e32 v1, s25, v1
	v_dual_cndmask_b32 v1, 0, v1 :: v_dual_and_b32 v0, s28, v0
	s_delay_alu instid0(VALU_DEP_1) | instskip(NEXT) | instid1(VALU_DEP_1)
	v_lshlrev_b32_e32 v0, s26, v0
	v_cndmask_b32_e64 v0, 0, v0, s10
	s_delay_alu instid0(VALU_DEP_1) | instskip(NEXT) | instid1(VALU_DEP_1)
	v_or_b32_e32 v0, v1, v0
	v_and_b32_e32 v1, 1, v0
	v_lshlrev_b32_e32 v2, 30, v0
	v_lshlrev_b32_e32 v3, 29, v0
	;; [unrolled: 1-line block ×4, first 2 shown]
	v_add_co_u32 v1, s11, v1, -1
	s_delay_alu instid0(VALU_DEP_1)
	v_cndmask_b32_e64 v5, 0, 1, s11
	v_not_b32_e32 v20, v2
	v_cmp_gt_i32_e64 s12, 0, v2
	v_not_b32_e32 v2, v3
	v_lshlrev_b32_e32 v7, 26, v0
	v_cmp_ne_u32_e64 s11, 0, v5
	v_ashrrev_i32_e32 v20, 31, v20
	v_lshlrev_b32_e32 v19, 25, v0
	v_ashrrev_i32_e32 v2, 31, v2
	v_lshlrev_b32_e32 v5, 24, v0
	v_xor_b32_e32 v1, s11, v1
	v_cmp_gt_i32_e64 s11, 0, v3
	v_not_b32_e32 v3, v4
	v_xor_b32_e32 v20, s12, v20
	v_cmp_gt_i32_e64 s12, 0, v4
	v_and_b32_e32 v1, exec_lo, v1
	v_not_b32_e32 v4, v6
	v_ashrrev_i32_e32 v3, 31, v3
	v_xor_b32_e32 v2, s11, v2
	v_cmp_gt_i32_e64 s11, 0, v6
	v_and_b32_e32 v1, v1, v20
	v_not_b32_e32 v6, v7
	v_ashrrev_i32_e32 v4, 31, v4
	v_xor_b32_e32 v3, s12, v3
	v_cmp_gt_i32_e64 s12, 0, v7
	v_and_b32_e32 v1, v1, v2
	;; [unrolled: 5-line block ×3, first 2 shown]
	v_not_b32_e32 v3, v5
	v_ashrrev_i32_e32 v2, 31, v2
	v_xor_b32_e32 v6, s12, v6
	v_lshlrev_b32_e32 v0, 4, v0
	v_and_b32_e32 v1, v1, v4
	v_cmp_gt_i32_e64 s12, 0, v5
	v_ashrrev_i32_e32 v3, 31, v3
	v_xor_b32_e32 v2, s11, v2
	v_add_lshl_u32 v4, v0, v73, 2
	v_and_b32_e32 v1, v1, v6
	s_delay_alu instid0(VALU_DEP_4) | instskip(SKIP_3) | instid1(VALU_DEP_2)
	v_xor_b32_e32 v0, s12, v3
	ds_load_b32 v19, v4 offset:64
	v_and_b32_e32 v1, v1, v2
	v_add_nc_u32_e32 v21, 64, v4
	; wave barrier
	v_and_b32_e32 v0, v1, v0
	s_delay_alu instid0(VALU_DEP_1) | instskip(SKIP_1) | instid1(VALU_DEP_2)
	v_mbcnt_lo_u32_b32 v20, v0, 0
	v_cmp_ne_u32_e64 s12, 0, v0
	v_cmp_eq_u32_e64 s11, 0, v20
	s_delay_alu instid0(VALU_DEP_1) | instskip(NEXT) | instid1(SALU_CYCLE_1)
	s_and_b32 s12, s11, s12
	s_and_saveexec_b32 s11, s12
	s_cbranch_execz .LBB191_14
; %bb.13:                               ;   in Loop: Header=BB191_4 Depth=2
	s_waitcnt lgkmcnt(0)
	v_bcnt_u32_b32 v0, v0, v19
	ds_store_b32 v21, v0
.LBB191_14:                             ;   in Loop: Header=BB191_4 Depth=2
	s_or_b32 exec_lo, exec_lo, s11
	v_lshrrev_b32_e32 v0, s27, v55
	v_lshrrev_b32_e32 v1, s24, v56
	; wave barrier
	s_delay_alu instid0(VALU_DEP_1) | instskip(NEXT) | instid1(VALU_DEP_1)
	v_and_b32_e32 v1, s25, v1
	v_dual_cndmask_b32 v1, 0, v1 :: v_dual_and_b32 v0, s28, v0
	s_delay_alu instid0(VALU_DEP_1) | instskip(NEXT) | instid1(VALU_DEP_1)
	v_lshlrev_b32_e32 v0, s26, v0
	v_cndmask_b32_e64 v0, 0, v0, s10
	s_delay_alu instid0(VALU_DEP_1) | instskip(NEXT) | instid1(VALU_DEP_1)
	v_or_b32_e32 v0, v1, v0
	v_and_b32_e32 v1, 1, v0
	v_lshlrev_b32_e32 v2, 30, v0
	v_lshlrev_b32_e32 v3, 29, v0
	;; [unrolled: 1-line block ×4, first 2 shown]
	v_add_co_u32 v1, s11, v1, -1
	s_delay_alu instid0(VALU_DEP_1)
	v_cndmask_b32_e64 v5, 0, 1, s11
	v_not_b32_e32 v23, v2
	v_cmp_gt_i32_e64 s12, 0, v2
	v_not_b32_e32 v2, v3
	v_lshlrev_b32_e32 v7, 26, v0
	v_cmp_ne_u32_e64 s11, 0, v5
	v_ashrrev_i32_e32 v23, 31, v23
	v_lshlrev_b32_e32 v22, 25, v0
	v_ashrrev_i32_e32 v2, 31, v2
	v_lshlrev_b32_e32 v5, 24, v0
	v_xor_b32_e32 v1, s11, v1
	v_cmp_gt_i32_e64 s11, 0, v3
	v_not_b32_e32 v3, v4
	v_xor_b32_e32 v23, s12, v23
	v_cmp_gt_i32_e64 s12, 0, v4
	v_and_b32_e32 v1, exec_lo, v1
	v_not_b32_e32 v4, v6
	v_ashrrev_i32_e32 v3, 31, v3
	v_xor_b32_e32 v2, s11, v2
	v_cmp_gt_i32_e64 s11, 0, v6
	v_and_b32_e32 v1, v1, v23
	v_not_b32_e32 v6, v7
	v_ashrrev_i32_e32 v4, 31, v4
	v_xor_b32_e32 v3, s12, v3
	v_cmp_gt_i32_e64 s12, 0, v7
	v_and_b32_e32 v1, v1, v2
	;; [unrolled: 5-line block ×3, first 2 shown]
	v_not_b32_e32 v3, v5
	v_ashrrev_i32_e32 v2, 31, v2
	v_xor_b32_e32 v6, s12, v6
	v_lshlrev_b32_e32 v0, 4, v0
	v_and_b32_e32 v1, v1, v4
	v_cmp_gt_i32_e64 s12, 0, v5
	v_ashrrev_i32_e32 v3, 31, v3
	v_xor_b32_e32 v2, s11, v2
	v_add_lshl_u32 v4, v0, v73, 2
	v_and_b32_e32 v1, v1, v6
	s_delay_alu instid0(VALU_DEP_4) | instskip(SKIP_3) | instid1(VALU_DEP_2)
	v_xor_b32_e32 v0, s12, v3
	ds_load_b32 v22, v4 offset:64
	v_and_b32_e32 v1, v1, v2
	v_add_nc_u32_e32 v24, 64, v4
	; wave barrier
	v_and_b32_e32 v0, v1, v0
	s_delay_alu instid0(VALU_DEP_1) | instskip(SKIP_1) | instid1(VALU_DEP_2)
	v_mbcnt_lo_u32_b32 v23, v0, 0
	v_cmp_ne_u32_e64 s12, 0, v0
	v_cmp_eq_u32_e64 s11, 0, v23
	s_delay_alu instid0(VALU_DEP_1) | instskip(NEXT) | instid1(SALU_CYCLE_1)
	s_and_b32 s12, s11, s12
	s_and_saveexec_b32 s11, s12
	s_cbranch_execz .LBB191_16
; %bb.15:                               ;   in Loop: Header=BB191_4 Depth=2
	s_waitcnt lgkmcnt(0)
	v_bcnt_u32_b32 v0, v0, v22
	ds_store_b32 v24, v0
.LBB191_16:                             ;   in Loop: Header=BB191_4 Depth=2
	s_or_b32 exec_lo, exec_lo, s11
	v_lshrrev_b32_e32 v0, s27, v63
	v_lshrrev_b32_e32 v1, s24, v64
	; wave barrier
	s_delay_alu instid0(VALU_DEP_1) | instskip(NEXT) | instid1(VALU_DEP_1)
	v_and_b32_e32 v1, s25, v1
	v_dual_cndmask_b32 v1, 0, v1 :: v_dual_and_b32 v0, s28, v0
	s_delay_alu instid0(VALU_DEP_1) | instskip(NEXT) | instid1(VALU_DEP_1)
	v_lshlrev_b32_e32 v0, s26, v0
	v_cndmask_b32_e64 v0, 0, v0, s10
	s_delay_alu instid0(VALU_DEP_1) | instskip(NEXT) | instid1(VALU_DEP_1)
	v_or_b32_e32 v0, v1, v0
	v_and_b32_e32 v1, 1, v0
	v_lshlrev_b32_e32 v2, 30, v0
	v_lshlrev_b32_e32 v3, 29, v0
	;; [unrolled: 1-line block ×4, first 2 shown]
	v_add_co_u32 v1, s11, v1, -1
	s_delay_alu instid0(VALU_DEP_1)
	v_cndmask_b32_e64 v5, 0, 1, s11
	v_not_b32_e32 v26, v2
	v_cmp_gt_i32_e64 s12, 0, v2
	v_not_b32_e32 v2, v3
	v_lshlrev_b32_e32 v7, 26, v0
	v_cmp_ne_u32_e64 s11, 0, v5
	v_ashrrev_i32_e32 v26, 31, v26
	v_lshlrev_b32_e32 v25, 25, v0
	v_ashrrev_i32_e32 v2, 31, v2
	v_lshlrev_b32_e32 v5, 24, v0
	v_xor_b32_e32 v1, s11, v1
	v_cmp_gt_i32_e64 s11, 0, v3
	v_not_b32_e32 v3, v4
	v_xor_b32_e32 v26, s12, v26
	v_cmp_gt_i32_e64 s12, 0, v4
	v_and_b32_e32 v1, exec_lo, v1
	v_not_b32_e32 v4, v6
	v_ashrrev_i32_e32 v3, 31, v3
	v_xor_b32_e32 v2, s11, v2
	v_cmp_gt_i32_e64 s11, 0, v6
	v_and_b32_e32 v1, v1, v26
	v_not_b32_e32 v6, v7
	v_ashrrev_i32_e32 v4, 31, v4
	v_xor_b32_e32 v3, s12, v3
	v_cmp_gt_i32_e64 s12, 0, v7
	v_and_b32_e32 v1, v1, v2
	;; [unrolled: 5-line block ×3, first 2 shown]
	v_not_b32_e32 v3, v5
	v_ashrrev_i32_e32 v2, 31, v2
	v_xor_b32_e32 v6, s12, v6
	v_lshlrev_b32_e32 v0, 4, v0
	v_and_b32_e32 v1, v1, v4
	v_cmp_gt_i32_e64 s12, 0, v5
	v_ashrrev_i32_e32 v3, 31, v3
	v_xor_b32_e32 v2, s11, v2
	v_add_lshl_u32 v4, v0, v73, 2
	v_and_b32_e32 v1, v1, v6
	s_delay_alu instid0(VALU_DEP_4) | instskip(SKIP_3) | instid1(VALU_DEP_2)
	v_xor_b32_e32 v0, s12, v3
	ds_load_b32 v25, v4 offset:64
	v_and_b32_e32 v1, v1, v2
	v_add_nc_u32_e32 v27, 64, v4
	; wave barrier
	v_and_b32_e32 v0, v1, v0
	s_delay_alu instid0(VALU_DEP_1) | instskip(SKIP_1) | instid1(VALU_DEP_2)
	v_mbcnt_lo_u32_b32 v26, v0, 0
	v_cmp_ne_u32_e64 s12, 0, v0
	v_cmp_eq_u32_e64 s11, 0, v26
	s_delay_alu instid0(VALU_DEP_1) | instskip(NEXT) | instid1(SALU_CYCLE_1)
	s_and_b32 s12, s11, s12
	s_and_saveexec_b32 s11, s12
	s_cbranch_execz .LBB191_18
; %bb.17:                               ;   in Loop: Header=BB191_4 Depth=2
	s_waitcnt lgkmcnt(0)
	v_bcnt_u32_b32 v0, v0, v25
	ds_store_b32 v27, v0
.LBB191_18:                             ;   in Loop: Header=BB191_4 Depth=2
	s_or_b32 exec_lo, exec_lo, s11
	v_lshrrev_b32_e32 v0, s27, v61
	v_lshrrev_b32_e32 v1, s24, v62
	; wave barrier
	s_delay_alu instid0(VALU_DEP_1) | instskip(NEXT) | instid1(VALU_DEP_1)
	v_and_b32_e32 v1, s25, v1
	v_dual_cndmask_b32 v1, 0, v1 :: v_dual_and_b32 v0, s28, v0
	s_delay_alu instid0(VALU_DEP_1) | instskip(NEXT) | instid1(VALU_DEP_1)
	v_lshlrev_b32_e32 v0, s26, v0
	v_cndmask_b32_e64 v0, 0, v0, s10
	s_delay_alu instid0(VALU_DEP_1) | instskip(NEXT) | instid1(VALU_DEP_1)
	v_or_b32_e32 v0, v1, v0
	v_and_b32_e32 v1, 1, v0
	v_lshlrev_b32_e32 v2, 30, v0
	v_lshlrev_b32_e32 v3, 29, v0
	;; [unrolled: 1-line block ×4, first 2 shown]
	v_add_co_u32 v1, s10, v1, -1
	s_delay_alu instid0(VALU_DEP_1)
	v_cndmask_b32_e64 v5, 0, 1, s10
	v_not_b32_e32 v29, v2
	v_cmp_gt_i32_e64 s10, 0, v2
	v_not_b32_e32 v2, v3
	v_lshlrev_b32_e32 v7, 26, v0
	v_cmp_ne_u32_e32 vcc_lo, 0, v5
	v_ashrrev_i32_e32 v29, 31, v29
	v_lshlrev_b32_e32 v28, 25, v0
	v_ashrrev_i32_e32 v2, 31, v2
	v_lshlrev_b32_e32 v5, 24, v0
	v_xor_b32_e32 v1, vcc_lo, v1
	v_cmp_gt_i32_e32 vcc_lo, 0, v3
	v_not_b32_e32 v3, v4
	v_xor_b32_e32 v29, s10, v29
	v_cmp_gt_i32_e64 s10, 0, v4
	v_and_b32_e32 v1, exec_lo, v1
	v_not_b32_e32 v4, v6
	v_ashrrev_i32_e32 v3, 31, v3
	v_xor_b32_e32 v2, vcc_lo, v2
	v_cmp_gt_i32_e32 vcc_lo, 0, v6
	v_and_b32_e32 v1, v1, v29
	v_not_b32_e32 v6, v7
	v_ashrrev_i32_e32 v4, 31, v4
	v_xor_b32_e32 v3, s10, v3
	v_cmp_gt_i32_e64 s10, 0, v7
	v_and_b32_e32 v1, v1, v2
	v_not_b32_e32 v2, v28
	v_ashrrev_i32_e32 v6, 31, v6
	v_xor_b32_e32 v4, vcc_lo, v4
	v_cmp_gt_i32_e32 vcc_lo, 0, v28
	v_and_b32_e32 v1, v1, v3
	v_not_b32_e32 v3, v5
	v_ashrrev_i32_e32 v2, 31, v2
	v_xor_b32_e32 v6, s10, v6
	v_lshlrev_b32_e32 v0, 4, v0
	v_and_b32_e32 v1, v1, v4
	v_cmp_gt_i32_e64 s10, 0, v5
	v_ashrrev_i32_e32 v3, 31, v3
	v_xor_b32_e32 v2, vcc_lo, v2
	v_add_lshl_u32 v4, v0, v73, 2
	v_and_b32_e32 v1, v1, v6
	s_delay_alu instid0(VALU_DEP_4) | instskip(SKIP_3) | instid1(VALU_DEP_2)
	v_xor_b32_e32 v0, s10, v3
	ds_load_b32 v28, v4 offset:64
	v_and_b32_e32 v1, v1, v2
	v_add_nc_u32_e32 v30, 64, v4
	; wave barrier
	v_and_b32_e32 v0, v1, v0
	s_delay_alu instid0(VALU_DEP_1) | instskip(SKIP_1) | instid1(VALU_DEP_2)
	v_mbcnt_lo_u32_b32 v29, v0, 0
	v_cmp_ne_u32_e64 s10, 0, v0
	v_cmp_eq_u32_e32 vcc_lo, 0, v29
	s_delay_alu instid0(VALU_DEP_2) | instskip(NEXT) | instid1(SALU_CYCLE_1)
	s_and_b32 s11, vcc_lo, s10
	s_and_saveexec_b32 s10, s11
	s_cbranch_execz .LBB191_20
; %bb.19:                               ;   in Loop: Header=BB191_4 Depth=2
	s_waitcnt lgkmcnt(0)
	v_bcnt_u32_b32 v0, v0, v28
	ds_store_b32 v30, v0
.LBB191_20:                             ;   in Loop: Header=BB191_4 Depth=2
	s_or_b32 exec_lo, exec_lo, s10
	; wave barrier
	s_waitcnt lgkmcnt(0)
	s_barrier
	buffer_gl0_inv
	ds_load_2addr_b64 v[4:7], v65 offset0:8 offset1:9
	ds_load_2addr_b64 v[0:3], v66 offset0:2 offset1:3
	s_waitcnt lgkmcnt(1)
	v_add_nc_u32_e32 v31, v5, v4
	s_delay_alu instid0(VALU_DEP_1) | instskip(SKIP_1) | instid1(VALU_DEP_1)
	v_add3_u32 v31, v31, v6, v7
	s_waitcnt lgkmcnt(0)
	v_add3_u32 v31, v31, v0, v1
	s_delay_alu instid0(VALU_DEP_1) | instskip(NEXT) | instid1(VALU_DEP_1)
	v_add3_u32 v3, v31, v2, v3
	v_mov_b32_dpp v31, v3 row_shr:1 row_mask:0xf bank_mask:0xf
	s_delay_alu instid0(VALU_DEP_1) | instskip(NEXT) | instid1(VALU_DEP_1)
	v_cndmask_b32_e64 v31, v31, 0, s1
	v_add_nc_u32_e32 v3, v31, v3
	s_delay_alu instid0(VALU_DEP_1) | instskip(NEXT) | instid1(VALU_DEP_1)
	v_mov_b32_dpp v31, v3 row_shr:2 row_mask:0xf bank_mask:0xf
	v_cndmask_b32_e64 v31, 0, v31, s2
	s_delay_alu instid0(VALU_DEP_1) | instskip(NEXT) | instid1(VALU_DEP_1)
	v_add_nc_u32_e32 v3, v3, v31
	v_mov_b32_dpp v31, v3 row_shr:4 row_mask:0xf bank_mask:0xf
	s_delay_alu instid0(VALU_DEP_1) | instskip(NEXT) | instid1(VALU_DEP_1)
	v_cndmask_b32_e64 v31, 0, v31, s3
	v_add_nc_u32_e32 v3, v3, v31
	s_delay_alu instid0(VALU_DEP_1) | instskip(NEXT) | instid1(VALU_DEP_1)
	v_mov_b32_dpp v31, v3 row_shr:8 row_mask:0xf bank_mask:0xf
	v_cndmask_b32_e64 v31, 0, v31, s4
	s_delay_alu instid0(VALU_DEP_1) | instskip(SKIP_3) | instid1(VALU_DEP_1)
	v_add_nc_u32_e32 v3, v3, v31
	ds_swizzle_b32 v31, v3 offset:swizzle(BROADCAST,32,15)
	s_waitcnt lgkmcnt(0)
	v_cndmask_b32_e64 v31, v31, 0, s5
	v_add_nc_u32_e32 v3, v3, v31
	s_and_saveexec_b32 s10, s9
	s_cbranch_execz .LBB191_22
; %bb.21:                               ;   in Loop: Header=BB191_4 Depth=2
	ds_store_b32 v68, v3
.LBB191_22:                             ;   in Loop: Header=BB191_4 Depth=2
	s_or_b32 exec_lo, exec_lo, s10
	s_waitcnt lgkmcnt(0)
	s_barrier
	buffer_gl0_inv
	s_and_saveexec_b32 s10, s6
	s_cbranch_execz .LBB191_24
; %bb.23:                               ;   in Loop: Header=BB191_4 Depth=2
	ds_load_b32 v31, v69
	s_waitcnt lgkmcnt(0)
	v_mov_b32_dpp v75, v31 row_shr:1 row_mask:0xf bank_mask:0xf
	s_delay_alu instid0(VALU_DEP_1) | instskip(NEXT) | instid1(VALU_DEP_1)
	v_cndmask_b32_e64 v75, v75, 0, s1
	v_add_nc_u32_e32 v31, v75, v31
	s_delay_alu instid0(VALU_DEP_1) | instskip(NEXT) | instid1(VALU_DEP_1)
	v_mov_b32_dpp v75, v31 row_shr:2 row_mask:0xf bank_mask:0xf
	v_cndmask_b32_e64 v75, 0, v75, s2
	s_delay_alu instid0(VALU_DEP_1) | instskip(NEXT) | instid1(VALU_DEP_1)
	v_add_nc_u32_e32 v31, v31, v75
	v_mov_b32_dpp v75, v31 row_shr:4 row_mask:0xf bank_mask:0xf
	s_delay_alu instid0(VALU_DEP_1) | instskip(NEXT) | instid1(VALU_DEP_1)
	v_cndmask_b32_e64 v75, 0, v75, s3
	v_add_nc_u32_e32 v31, v31, v75
	s_delay_alu instid0(VALU_DEP_1) | instskip(NEXT) | instid1(VALU_DEP_1)
	v_mov_b32_dpp v75, v31 row_shr:8 row_mask:0xf bank_mask:0xf
	v_cndmask_b32_e64 v75, 0, v75, s4
	s_delay_alu instid0(VALU_DEP_1)
	v_add_nc_u32_e32 v31, v31, v75
	ds_store_b32 v69, v31
.LBB191_24:                             ;   in Loop: Header=BB191_4 Depth=2
	s_or_b32 exec_lo, exec_lo, s10
	v_mov_b32_e32 v31, 0
	s_waitcnt lgkmcnt(0)
	s_barrier
	buffer_gl0_inv
	s_and_saveexec_b32 s10, s7
	s_cbranch_execz .LBB191_26
; %bb.25:                               ;   in Loop: Header=BB191_4 Depth=2
	ds_load_b32 v31, v72
.LBB191_26:                             ;   in Loop: Header=BB191_4 Depth=2
	s_or_b32 exec_lo, exec_lo, s10
	s_waitcnt lgkmcnt(0)
	v_add_nc_u32_e32 v3, v31, v3
	s_cmp_gt_u32 s24, 55
	ds_bpermute_b32 v3, v67, v3
	s_waitcnt lgkmcnt(0)
	v_cndmask_b32_e64 v3, v3, v31, s0
	s_delay_alu instid0(VALU_DEP_1) | instskip(NEXT) | instid1(VALU_DEP_1)
	v_cndmask_b32_e64 v3, v3, 0, s8
	v_add_nc_u32_e32 v4, v3, v4
	s_delay_alu instid0(VALU_DEP_1) | instskip(NEXT) | instid1(VALU_DEP_1)
	v_add_nc_u32_e32 v5, v4, v5
	v_add_nc_u32_e32 v6, v5, v6
	s_delay_alu instid0(VALU_DEP_1)
	v_add_nc_u32_e32 v75, v6, v7
	v_lshlrev_b32_e32 v7, 3, v12
	v_lshlrev_b32_e32 v12, 3, v13
	v_lshlrev_b32_e32 v13, 3, v17
	v_lshlrev_b32_e32 v17, 3, v23
	v_add_nc_u32_e32 v76, v75, v0
	s_delay_alu instid0(VALU_DEP_1) | instskip(NEXT) | instid1(VALU_DEP_1)
	v_add_nc_u32_e32 v0, v76, v1
	v_add_nc_u32_e32 v1, v0, v2
	v_lshlrev_b32_e32 v2, 3, v9
	v_lshlrev_b32_e32 v9, 3, v10
	ds_store_2addr_b64 v65, v[3:4], v[5:6] offset0:8 offset1:9
	ds_store_2addr_b64 v66, v[75:76], v[0:1] offset0:2 offset1:3
	s_waitcnt lgkmcnt(0)
	s_barrier
	buffer_gl0_inv
	ds_load_b32 v0, v8
	ds_load_b32 v1, v11
	;; [unrolled: 1-line block ×8, first 2 shown]
	v_lshlrev_b32_e32 v11, 3, v14
	v_lshlrev_b32_e32 v14, 3, v16
	;; [unrolled: 1-line block ×9, first 2 shown]
	s_waitcnt lgkmcnt(0)
	v_lshl_add_u32 v75, v0, 3, v2
	v_lshlrev_b32_e32 v0, 3, v1
	v_lshlrev_b32_e32 v1, 3, v3
	;; [unrolled: 1-line block ×7, first 2 shown]
	v_add3_u32 v76, v7, v9, v0
	v_add3_u32 v77, v11, v12, v1
	v_add3_u32 v78, v13, v14, v2
	v_add3_u32 v79, v15, v16, v3
	v_add3_u32 v80, v17, v18, v4
	v_add3_u32 v81, v19, v20, v5
	v_add3_u32 v82, v21, v22, v6
	s_cbranch_scc0 .LBB191_3
; %bb.27:                               ;   in Loop: Header=BB191_2 Depth=1
                                        ; implicit-def: $sgpr24
                                        ; implicit-def: $vgpr20_vgpr21
                                        ; implicit-def: $vgpr24_vgpr25
                                        ; implicit-def: $vgpr28_vgpr29
                                        ; implicit-def: $vgpr16_vgpr17
                                        ; implicit-def: $vgpr0_vgpr1
                                        ; implicit-def: $vgpr4_vgpr5
                                        ; implicit-def: $vgpr8_vgpr9
                                        ; implicit-def: $vgpr12_vgpr13
                                        ; implicit-def: $sgpr23
                                        ; implicit-def: $sgpr22
	s_branch .LBB191_1
.LBB191_28:
	s_waitcnt lgkmcnt(3)
	v_add_nc_u32_e32 v0, v1, v28
	v_add_nc_u32_e32 v1, v2, v29
	;; [unrolled: 1-line block ×4, first 2 shown]
	s_waitcnt lgkmcnt(2)
	v_add_nc_u32_e32 v4, v5, v24
	v_add_nc_u32_e32 v5, v6, v25
	v_lshlrev_b32_e32 v25, 3, v32
	s_add_u32 s0, s18, s14
	s_waitcnt lgkmcnt(1)
	v_add_nc_u32_e32 v14, v14, v23
	s_addc_u32 s1, s19, s15
	s_waitcnt lgkmcnt(0)
	v_add_nc_u32_e32 v15, v33, v16
	v_add_co_u32 v23, s2, s0, v25
	s_delay_alu instid0(VALU_DEP_1) | instskip(SKIP_1) | instid1(VALU_DEP_3)
	v_add_co_ci_u32_e64 v24, null, s1, 0, s2
	v_add_nc_u32_e32 v16, v34, v17
	v_add_co_u32 v17, vcc_lo, v23, 0x2000
	v_add_nc_u32_e32 v6, v7, v26
	v_add_nc_u32_e32 v7, v8, v27
	;; [unrolled: 1-line block ×5, first 2 shown]
	v_add_co_ci_u32_e32 v18, vcc_lo, 0, v24, vcc_lo
	v_add_nc_u32_e32 v11, v12, v19
	v_add_co_u32 v19, vcc_lo, v23, 0x4000
	v_add_co_ci_u32_e32 v20, vcc_lo, 0, v24, vcc_lo
	v_add_co_u32 v21, vcc_lo, v23, 0x6000
	v_add_nc_u32_e32 v13, v13, v22
	v_add_co_ci_u32_e32 v22, vcc_lo, 0, v24, vcc_lo
	v_add_co_u32 v23, vcc_lo, 0x7000, v23
	v_add_co_ci_u32_e32 v24, vcc_lo, 0, v24, vcc_lo
	s_clause 0x7
	global_store_b64 v25, v[0:1], s[0:1]
	global_store_b64 v[17:18], v[4:5], off
	global_store_b64 v[19:20], v[6:7], off offset:-4096
	global_store_b64 v[19:20], v[8:9], off
	global_store_b64 v[21:22], v[13:14], off offset:-4096
	;; [unrolled: 2-line block ×3, first 2 shown]
	global_store_b64 v[23:24], v[10:11], off
	s_nop 0
	s_sendmsg sendmsg(MSG_DEALLOC_VGPRS)
	s_endpgm
	.section	.rodata,"a",@progbits
	.p2align	6, 0x0
	.amdhsa_kernel _Z17sort_pairs_kernelI22helper_blocked_blockedN15benchmark_utils11custom_typeIiiEELj512ELj8ELj10EEvPKT0_PS4_
		.amdhsa_group_segment_fixed_size 32768
		.amdhsa_private_segment_fixed_size 0
		.amdhsa_kernarg_size 272
		.amdhsa_user_sgpr_count 15
		.amdhsa_user_sgpr_dispatch_ptr 0
		.amdhsa_user_sgpr_queue_ptr 0
		.amdhsa_user_sgpr_kernarg_segment_ptr 1
		.amdhsa_user_sgpr_dispatch_id 0
		.amdhsa_user_sgpr_private_segment_size 0
		.amdhsa_wavefront_size32 1
		.amdhsa_uses_dynamic_stack 0
		.amdhsa_enable_private_segment 0
		.amdhsa_system_sgpr_workgroup_id_x 1
		.amdhsa_system_sgpr_workgroup_id_y 0
		.amdhsa_system_sgpr_workgroup_id_z 0
		.amdhsa_system_sgpr_workgroup_info 0
		.amdhsa_system_vgpr_workitem_id 2
		.amdhsa_next_free_vgpr 83
		.amdhsa_next_free_sgpr 29
		.amdhsa_reserve_vcc 1
		.amdhsa_float_round_mode_32 0
		.amdhsa_float_round_mode_16_64 0
		.amdhsa_float_denorm_mode_32 3
		.amdhsa_float_denorm_mode_16_64 3
		.amdhsa_dx10_clamp 1
		.amdhsa_ieee_mode 1
		.amdhsa_fp16_overflow 0
		.amdhsa_workgroup_processor_mode 1
		.amdhsa_memory_ordered 1
		.amdhsa_forward_progress 0
		.amdhsa_shared_vgpr_count 0
		.amdhsa_exception_fp_ieee_invalid_op 0
		.amdhsa_exception_fp_denorm_src 0
		.amdhsa_exception_fp_ieee_div_zero 0
		.amdhsa_exception_fp_ieee_overflow 0
		.amdhsa_exception_fp_ieee_underflow 0
		.amdhsa_exception_fp_ieee_inexact 0
		.amdhsa_exception_int_div_zero 0
	.end_amdhsa_kernel
	.section	.text._Z17sort_pairs_kernelI22helper_blocked_blockedN15benchmark_utils11custom_typeIiiEELj512ELj8ELj10EEvPKT0_PS4_,"axG",@progbits,_Z17sort_pairs_kernelI22helper_blocked_blockedN15benchmark_utils11custom_typeIiiEELj512ELj8ELj10EEvPKT0_PS4_,comdat
.Lfunc_end191:
	.size	_Z17sort_pairs_kernelI22helper_blocked_blockedN15benchmark_utils11custom_typeIiiEELj512ELj8ELj10EEvPKT0_PS4_, .Lfunc_end191-_Z17sort_pairs_kernelI22helper_blocked_blockedN15benchmark_utils11custom_typeIiiEELj512ELj8ELj10EEvPKT0_PS4_
                                        ; -- End function
	.section	.AMDGPU.csdata,"",@progbits
; Kernel info:
; codeLenInByte = 5812
; NumSgprs: 31
; NumVgprs: 83
; ScratchSize: 0
; MemoryBound: 0
; FloatMode: 240
; IeeeMode: 1
; LDSByteSize: 32768 bytes/workgroup (compile time only)
; SGPRBlocks: 3
; VGPRBlocks: 10
; NumSGPRsForWavesPerEU: 31
; NumVGPRsForWavesPerEU: 83
; Occupancy: 16
; WaveLimiterHint : 1
; COMPUTE_PGM_RSRC2:SCRATCH_EN: 0
; COMPUTE_PGM_RSRC2:USER_SGPR: 15
; COMPUTE_PGM_RSRC2:TRAP_HANDLER: 0
; COMPUTE_PGM_RSRC2:TGID_X_EN: 1
; COMPUTE_PGM_RSRC2:TGID_Y_EN: 0
; COMPUTE_PGM_RSRC2:TGID_Z_EN: 0
; COMPUTE_PGM_RSRC2:TIDIG_COMP_CNT: 2
	.section	.text._Z16sort_keys_kernelI22helper_blocked_stripediLj64ELj1ELj10EEvPKT0_PS1_,"axG",@progbits,_Z16sort_keys_kernelI22helper_blocked_stripediLj64ELj1ELj10EEvPKT0_PS1_,comdat
	.protected	_Z16sort_keys_kernelI22helper_blocked_stripediLj64ELj1ELj10EEvPKT0_PS1_ ; -- Begin function _Z16sort_keys_kernelI22helper_blocked_stripediLj64ELj1ELj10EEvPKT0_PS1_
	.globl	_Z16sort_keys_kernelI22helper_blocked_stripediLj64ELj1ELj10EEvPKT0_PS1_
	.p2align	8
	.type	_Z16sort_keys_kernelI22helper_blocked_stripediLj64ELj1ELj10EEvPKT0_PS1_,@function
_Z16sort_keys_kernelI22helper_blocked_stripediLj64ELj1ELj10EEvPKT0_PS1_: ; @_Z16sort_keys_kernelI22helper_blocked_stripediLj64ELj1ELj10EEvPKT0_PS1_
; %bb.0:
	s_clause 0x1
	s_load_b128 s[16:19], s[0:1], 0x0
	s_load_b32 s9, s[0:1], 0x1c
	s_mov_b32 s21, 0
	s_lshl_b32 s20, s15, 6
	v_mbcnt_lo_u32_b32 v3, -1, 0
	s_lshl_b64 s[14:15], s[20:21], 2
	s_mov_b32 s20, s21
	s_mov_b32 s13, 10
	s_delay_alu instid0(VALU_DEP_1) | instskip(SKIP_3) | instid1(VALU_DEP_4)
	v_dual_mov_b32 v11, s20 :: v_dual_add_nc_u32 v6, -1, v3
	v_and_b32_e32 v4, 15, v3
	v_dual_mov_b32 v12, s21 :: v_dual_and_b32 v5, 16, v3
	v_and_b32_e32 v7, 1, v3
	v_cmp_gt_i32_e64 s7, 0, v6
	s_delay_alu instid0(VALU_DEP_4)
	v_cmp_lt_u32_e64 s2, 3, v4
	v_cmp_lt_u32_e64 s3, 7, v4
	v_cmp_eq_u32_e64 s4, 0, v5
	v_cmp_eq_u32_e32 vcc_lo, 0, v3
	v_cndmask_b32_e64 v5, v6, v3, s7
	s_waitcnt lgkmcnt(0)
	s_add_u32 s0, s16, s14
	s_addc_u32 s1, s17, s15
	s_mov_b32 s16, s21
	s_mov_b32 s17, s21
	v_dual_mov_b32 v9, s16 :: v_dual_and_b32 v8, 0x3ff, v0
	v_mov_b32_e32 v10, s17
	s_lshr_b32 s8, s9, 16
	s_and_b32 s9, s9, 0xffff
	s_delay_alu instid0(VALU_DEP_2)
	v_lshlrev_b32_e32 v1, 2, v8
	v_lshrrev_b32_e32 v6, 3, v8
	v_lshlrev_b32_e32 v13, 5, v8
	v_mul_i32_i24_e32 v20, 0xffffffe4, v8
	v_cmp_gt_u32_e64 s5, 2, v8
	global_load_b32 v2, v1, s[0:1]
	v_bfe_u32 v1, v0, 10, 10
	v_bfe_u32 v0, v0, 20, 10
	v_cmp_eq_u32_e64 s0, 0, v4
	v_cmp_lt_u32_e64 s1, 1, v4
	v_and_b32_e32 v4, 32, v8
	v_cmp_lt_u32_e64 s6, 31, v8
	v_mad_u32_u24 v14, v0, s8, v1
	v_cmp_eq_u32_e64 s8, 0, v7
	v_cmp_eq_u32_e64 s7, 0, v8
	v_or_b32_e32 v7, 31, v4
	v_or_b32_e32 v15, 8, v13
	v_mad_u64_u32 v[0:1], null, v14, s9, v[8:9]
	v_and_b32_e32 v14, 4, v6
	v_or_b32_e32 v1, v3, v4
	v_lshlrev_b32_e32 v16, 2, v5
	v_cmp_eq_u32_e64 s9, v7, v8
	v_add_nc_u32_e32 v20, v13, v20
	v_add_nc_u32_e32 v17, -4, v14
	v_lshlrev_b32_e32 v18, 2, v1
	v_lshrrev_b32_e32 v19, 5, v0
	s_waitcnt vmcnt(0)
	v_xor_b32_e32 v21, 0x80000000, v2
	s_branch .LBB192_2
.LBB192_1:                              ;   in Loop: Header=BB192_2 Depth=1
	s_or_b32 exec_lo, exec_lo, s10
	s_waitcnt lgkmcnt(0)
	v_add_nc_u32_e32 v3, v24, v3
	s_add_i32 s13, s13, -1
	s_delay_alu instid0(SALU_CYCLE_1) | instskip(SKIP_3) | instid1(VALU_DEP_1)
	s_cmp_eq_u32 s13, 0
	ds_bpermute_b32 v3, v16, v3
	s_waitcnt lgkmcnt(0)
	v_cndmask_b32_e32 v3, v3, v24, vcc_lo
	v_cndmask_b32_e64 v3, v3, 0, s7
	s_delay_alu instid0(VALU_DEP_1) | instskip(NEXT) | instid1(VALU_DEP_1)
	v_add_nc_u32_e32 v4, v3, v4
	v_add_nc_u32_e32 v5, v4, v5
	s_delay_alu instid0(VALU_DEP_1) | instskip(NEXT) | instid1(VALU_DEP_1)
	v_add_nc_u32_e32 v6, v5, v6
	v_add_nc_u32_e32 v24, v6, v7
	;; [unrolled: 3-line block ×3, first 2 shown]
	s_delay_alu instid0(VALU_DEP_1)
	v_add_nc_u32_e32 v1, v0, v2
	ds_store_2addr_b64 v13, v[3:4], v[5:6] offset0:1 offset1:2
	ds_store_2addr_b64 v15, v[24:25], v[0:1] offset0:2 offset1:3
	s_waitcnt lgkmcnt(0)
	s_barrier
	buffer_gl0_inv
	ds_load_b32 v0, v23
	v_lshlrev_b32_e32 v1, 2, v22
	s_waitcnt lgkmcnt(0)
	s_barrier
	buffer_gl0_inv
	v_lshl_add_u32 v0, v0, 2, v1
	ds_store_b32 v0, v21
	s_waitcnt lgkmcnt(0)
	s_barrier
	buffer_gl0_inv
	ds_load_b32 v21, v20
	s_cbranch_scc1 .LBB192_34
.LBB192_2:                              ; =>This Inner Loop Header: Depth=1
	s_waitcnt lgkmcnt(0)
	s_delay_alu instid0(VALU_DEP_1)
	v_and_b32_e32 v0, 1, v21
	v_lshlrev_b32_e32 v1, 30, v21
	v_lshlrev_b32_e32 v2, 29, v21
	;; [unrolled: 1-line block ×4, first 2 shown]
	v_add_co_u32 v0, s10, v0, -1
	s_delay_alu instid0(VALU_DEP_1)
	v_cndmask_b32_e64 v3, 0, 1, s10
	v_not_b32_e32 v7, v1
	v_cmp_gt_i32_e64 s11, 0, v1
	v_not_b32_e32 v1, v2
	v_lshlrev_b32_e32 v6, 26, v21
	v_cmp_ne_u32_e64 s10, 0, v3
	v_ashrrev_i32_e32 v7, 31, v7
	v_lshlrev_b32_e32 v3, 25, v21
	v_ashrrev_i32_e32 v1, 31, v1
	v_cmp_gt_i32_e64 s12, 0, v5
	v_xor_b32_e32 v0, s10, v0
	v_cmp_gt_i32_e64 s10, 0, v2
	v_not_b32_e32 v2, v4
	v_xor_b32_e32 v7, s11, v7
	v_cmp_gt_i32_e64 s11, 0, v4
	v_and_b32_e32 v0, exec_lo, v0
	v_xor_b32_e32 v1, s10, v1
	v_ashrrev_i32_e32 v2, 31, v2
	v_not_b32_e32 v4, v5
	v_not_b32_e32 v5, v6
	v_and_b32_e32 v0, v0, v7
	v_cmp_gt_i32_e64 s10, 0, v6
	v_xor_b32_e32 v2, s11, v2
	v_not_b32_e32 v6, v3
	ds_store_2addr_b64 v13, v[11:12], v[9:10] offset0:1 offset1:2
	ds_store_2addr_b64 v15, v[11:12], v[9:10] offset0:2 offset1:3
	v_and_b32_e32 v0, v0, v1
	v_ashrrev_i32_e32 v1, 31, v4
	v_ashrrev_i32_e32 v4, 31, v5
	v_lshlrev_b32_e32 v5, 24, v21
	s_waitcnt lgkmcnt(0)
	v_and_b32_e32 v0, v0, v2
	v_xor_b32_e32 v1, s12, v1
	v_xor_b32_e32 v2, s10, v4
	v_cmp_gt_i32_e64 s10, 0, v3
	v_not_b32_e32 v3, v5
	v_ashrrev_i32_e32 v4, 31, v6
	v_and_b32_e32 v0, v0, v1
	v_cmp_gt_i32_e64 s11, 0, v5
	s_barrier
	v_ashrrev_i32_e32 v1, 31, v3
	v_xor_b32_e32 v3, s10, v4
	v_and_b32_e32 v0, v0, v2
	buffer_gl0_inv
	v_xor_b32_e32 v1, s11, v1
	; wave barrier
	v_and_b32_e32 v0, v0, v3
	s_delay_alu instid0(VALU_DEP_1) | instskip(SKIP_1) | instid1(VALU_DEP_2)
	v_and_b32_e32 v0, v0, v1
	v_and_b32_e32 v1, 0xff, v21
	v_mbcnt_lo_u32_b32 v22, v0, 0
	s_delay_alu instid0(VALU_DEP_2) | instskip(SKIP_1) | instid1(VALU_DEP_3)
	v_lshl_add_u32 v1, v1, 1, v19
	v_cmp_ne_u32_e64 s11, 0, v0
	v_cmp_eq_u32_e64 s10, 0, v22
	s_delay_alu instid0(VALU_DEP_3) | instskip(NEXT) | instid1(VALU_DEP_2)
	v_lshl_add_u32 v23, v1, 2, 8
	s_and_b32 s11, s11, s10
	s_delay_alu instid0(SALU_CYCLE_1)
	s_and_saveexec_b32 s10, s11
	s_cbranch_execz .LBB192_4
; %bb.3:                                ;   in Loop: Header=BB192_2 Depth=1
	v_bcnt_u32_b32 v0, v0, 0
	ds_store_b32 v23, v0
.LBB192_4:                              ;   in Loop: Header=BB192_2 Depth=1
	s_or_b32 exec_lo, exec_lo, s10
	; wave barrier
	s_waitcnt lgkmcnt(0)
	s_barrier
	buffer_gl0_inv
	ds_load_2addr_b64 v[4:7], v13 offset0:1 offset1:2
	ds_load_2addr_b64 v[0:3], v15 offset0:2 offset1:3
	s_waitcnt lgkmcnt(1)
	v_add_nc_u32_e32 v24, v5, v4
	s_delay_alu instid0(VALU_DEP_1) | instskip(SKIP_1) | instid1(VALU_DEP_1)
	v_add3_u32 v24, v24, v6, v7
	s_waitcnt lgkmcnt(0)
	v_add3_u32 v24, v24, v0, v1
	s_delay_alu instid0(VALU_DEP_1) | instskip(NEXT) | instid1(VALU_DEP_1)
	v_add3_u32 v3, v24, v2, v3
	v_mov_b32_dpp v24, v3 row_shr:1 row_mask:0xf bank_mask:0xf
	s_delay_alu instid0(VALU_DEP_1) | instskip(NEXT) | instid1(VALU_DEP_1)
	v_cndmask_b32_e64 v24, v24, 0, s0
	v_add_nc_u32_e32 v3, v24, v3
	s_delay_alu instid0(VALU_DEP_1) | instskip(NEXT) | instid1(VALU_DEP_1)
	v_mov_b32_dpp v24, v3 row_shr:2 row_mask:0xf bank_mask:0xf
	v_cndmask_b32_e64 v24, 0, v24, s1
	s_delay_alu instid0(VALU_DEP_1) | instskip(NEXT) | instid1(VALU_DEP_1)
	v_add_nc_u32_e32 v3, v3, v24
	v_mov_b32_dpp v24, v3 row_shr:4 row_mask:0xf bank_mask:0xf
	s_delay_alu instid0(VALU_DEP_1) | instskip(NEXT) | instid1(VALU_DEP_1)
	v_cndmask_b32_e64 v24, 0, v24, s2
	v_add_nc_u32_e32 v3, v3, v24
	s_delay_alu instid0(VALU_DEP_1) | instskip(NEXT) | instid1(VALU_DEP_1)
	v_mov_b32_dpp v24, v3 row_shr:8 row_mask:0xf bank_mask:0xf
	v_cndmask_b32_e64 v24, 0, v24, s3
	s_delay_alu instid0(VALU_DEP_1) | instskip(SKIP_3) | instid1(VALU_DEP_1)
	v_add_nc_u32_e32 v3, v3, v24
	ds_swizzle_b32 v24, v3 offset:swizzle(BROADCAST,32,15)
	s_waitcnt lgkmcnt(0)
	v_cndmask_b32_e64 v24, v24, 0, s4
	v_add_nc_u32_e32 v3, v3, v24
	s_and_saveexec_b32 s10, s9
	s_cbranch_execz .LBB192_6
; %bb.5:                                ;   in Loop: Header=BB192_2 Depth=1
	ds_store_b32 v14, v3
.LBB192_6:                              ;   in Loop: Header=BB192_2 Depth=1
	s_or_b32 exec_lo, exec_lo, s10
	s_waitcnt lgkmcnt(0)
	s_barrier
	buffer_gl0_inv
	s_and_saveexec_b32 s10, s5
	s_cbranch_execz .LBB192_8
; %bb.7:                                ;   in Loop: Header=BB192_2 Depth=1
	ds_load_b32 v24, v20
	s_waitcnt lgkmcnt(0)
	v_mov_b32_dpp v25, v24 row_shr:1 row_mask:0xf bank_mask:0xf
	s_delay_alu instid0(VALU_DEP_1) | instskip(NEXT) | instid1(VALU_DEP_1)
	v_cndmask_b32_e64 v25, v25, 0, s8
	v_add_nc_u32_e32 v24, v25, v24
	ds_store_b32 v20, v24
.LBB192_8:                              ;   in Loop: Header=BB192_2 Depth=1
	s_or_b32 exec_lo, exec_lo, s10
	v_mov_b32_e32 v24, 0
	s_waitcnt lgkmcnt(0)
	s_barrier
	buffer_gl0_inv
	s_and_saveexec_b32 s10, s6
	s_cbranch_execz .LBB192_10
; %bb.9:                                ;   in Loop: Header=BB192_2 Depth=1
	ds_load_b32 v24, v17
.LBB192_10:                             ;   in Loop: Header=BB192_2 Depth=1
	s_or_b32 exec_lo, exec_lo, s10
	s_waitcnt lgkmcnt(0)
	v_add_nc_u32_e32 v3, v24, v3
	ds_bpermute_b32 v3, v16, v3
	s_waitcnt lgkmcnt(0)
	v_cndmask_b32_e32 v3, v3, v24, vcc_lo
	s_delay_alu instid0(VALU_DEP_1) | instskip(NEXT) | instid1(VALU_DEP_1)
	v_cndmask_b32_e64 v3, v3, 0, s7
	v_add_nc_u32_e32 v4, v3, v4
	s_delay_alu instid0(VALU_DEP_1) | instskip(NEXT) | instid1(VALU_DEP_1)
	v_add_nc_u32_e32 v5, v4, v5
	v_add_nc_u32_e32 v6, v5, v6
	s_delay_alu instid0(VALU_DEP_1) | instskip(NEXT) | instid1(VALU_DEP_1)
	v_add_nc_u32_e32 v24, v6, v7
	;; [unrolled: 3-line block ×3, first 2 shown]
	v_add_nc_u32_e32 v1, v0, v2
	ds_store_2addr_b64 v13, v[3:4], v[5:6] offset0:1 offset1:2
	ds_store_2addr_b64 v15, v[24:25], v[0:1] offset0:2 offset1:3
	s_waitcnt lgkmcnt(0)
	s_barrier
	buffer_gl0_inv
	ds_load_b32 v0, v23
	v_lshlrev_b32_e32 v1, 2, v22
	s_waitcnt lgkmcnt(0)
	s_barrier
	buffer_gl0_inv
	v_lshl_add_u32 v0, v0, 2, v1
	ds_store_b32 v0, v21
	s_waitcnt lgkmcnt(0)
	s_barrier
	buffer_gl0_inv
	ds_load_b32 v21, v18
	s_waitcnt lgkmcnt(0)
	s_barrier
	buffer_gl0_inv
	ds_store_2addr_b64 v13, v[11:12], v[9:10] offset0:1 offset1:2
	ds_store_2addr_b64 v15, v[11:12], v[9:10] offset0:2 offset1:3
	s_waitcnt lgkmcnt(0)
	s_barrier
	buffer_gl0_inv
	; wave barrier
	v_bfe_u32 v0, v21, 8, 1
	v_lshrrev_b32_e32 v1, 8, v21
	s_delay_alu instid0(VALU_DEP_2) | instskip(NEXT) | instid1(VALU_DEP_1)
	v_add_co_u32 v0, s10, v0, -1
	v_cndmask_b32_e64 v2, 0, 1, s10
	s_delay_alu instid0(VALU_DEP_3)
	v_lshlrev_b32_e32 v3, 30, v1
	v_lshlrev_b32_e32 v4, 29, v1
	;; [unrolled: 1-line block ×4, first 2 shown]
	v_cmp_ne_u32_e64 s10, 0, v2
	v_not_b32_e32 v2, v3
	v_cmp_gt_i32_e64 s11, 0, v3
	v_not_b32_e32 v3, v4
	v_lshlrev_b32_e32 v7, 26, v1
	v_xor_b32_e32 v0, s10, v0
	v_ashrrev_i32_e32 v2, 31, v2
	v_cmp_gt_i32_e64 s10, 0, v4
	v_not_b32_e32 v4, v5
	v_ashrrev_i32_e32 v3, 31, v3
	v_and_b32_e32 v0, exec_lo, v0
	v_xor_b32_e32 v2, s11, v2
	v_cmp_gt_i32_e64 s11, 0, v5
	v_not_b32_e32 v5, v6
	v_ashrrev_i32_e32 v4, 31, v4
	v_xor_b32_e32 v3, s10, v3
	v_and_b32_e32 v0, v0, v2
	v_lshlrev_b32_e32 v22, 25, v1
	v_cmp_gt_i32_e64 s10, 0, v6
	v_not_b32_e32 v2, v7
	v_ashrrev_i32_e32 v5, 31, v5
	v_xor_b32_e32 v4, s11, v4
	v_and_b32_e32 v0, v0, v3
	v_lshlrev_b32_e32 v1, 24, v1
	v_cmp_gt_i32_e64 s11, 0, v7
	v_not_b32_e32 v3, v22
	v_ashrrev_i32_e32 v2, 31, v2
	v_xor_b32_e32 v5, s10, v5
	v_and_b32_e32 v0, v0, v4
	v_cmp_gt_i32_e64 s10, 0, v22
	v_not_b32_e32 v4, v1
	v_ashrrev_i32_e32 v3, 31, v3
	v_xor_b32_e32 v2, s11, v2
	v_and_b32_e32 v0, v0, v5
	v_cmp_gt_i32_e64 s11, 0, v1
	v_ashrrev_i32_e32 v1, 31, v4
	v_xor_b32_e32 v3, s10, v3
	s_delay_alu instid0(VALU_DEP_4) | instskip(SKIP_1) | instid1(VALU_DEP_4)
	v_and_b32_e32 v0, v0, v2
	v_lshrrev_b32_e32 v2, 7, v21
	v_xor_b32_e32 v1, s11, v1
	s_delay_alu instid0(VALU_DEP_3) | instskip(NEXT) | instid1(VALU_DEP_1)
	v_and_b32_e32 v0, v0, v3
	v_and_b32_e32 v0, v0, v1
	s_delay_alu instid0(VALU_DEP_4) | instskip(NEXT) | instid1(VALU_DEP_2)
	v_and_b32_e32 v1, 0x1fe, v2
	v_mbcnt_lo_u32_b32 v22, v0, 0
	s_delay_alu instid0(VALU_DEP_2) | instskip(SKIP_1) | instid1(VALU_DEP_3)
	v_add_nc_u32_e32 v1, v1, v19
	v_cmp_ne_u32_e64 s11, 0, v0
	v_cmp_eq_u32_e64 s10, 0, v22
	s_delay_alu instid0(VALU_DEP_3) | instskip(NEXT) | instid1(VALU_DEP_2)
	v_lshl_add_u32 v23, v1, 2, 8
	s_and_b32 s11, s11, s10
	s_delay_alu instid0(SALU_CYCLE_1)
	s_and_saveexec_b32 s10, s11
	s_cbranch_execz .LBB192_12
; %bb.11:                               ;   in Loop: Header=BB192_2 Depth=1
	v_bcnt_u32_b32 v0, v0, 0
	ds_store_b32 v23, v0
.LBB192_12:                             ;   in Loop: Header=BB192_2 Depth=1
	s_or_b32 exec_lo, exec_lo, s10
	; wave barrier
	s_waitcnt lgkmcnt(0)
	s_barrier
	buffer_gl0_inv
	ds_load_2addr_b64 v[4:7], v13 offset0:1 offset1:2
	ds_load_2addr_b64 v[0:3], v15 offset0:2 offset1:3
	s_waitcnt lgkmcnt(1)
	v_add_nc_u32_e32 v24, v5, v4
	s_delay_alu instid0(VALU_DEP_1) | instskip(SKIP_1) | instid1(VALU_DEP_1)
	v_add3_u32 v24, v24, v6, v7
	s_waitcnt lgkmcnt(0)
	v_add3_u32 v24, v24, v0, v1
	s_delay_alu instid0(VALU_DEP_1) | instskip(NEXT) | instid1(VALU_DEP_1)
	v_add3_u32 v3, v24, v2, v3
	v_mov_b32_dpp v24, v3 row_shr:1 row_mask:0xf bank_mask:0xf
	s_delay_alu instid0(VALU_DEP_1) | instskip(NEXT) | instid1(VALU_DEP_1)
	v_cndmask_b32_e64 v24, v24, 0, s0
	v_add_nc_u32_e32 v3, v24, v3
	s_delay_alu instid0(VALU_DEP_1) | instskip(NEXT) | instid1(VALU_DEP_1)
	v_mov_b32_dpp v24, v3 row_shr:2 row_mask:0xf bank_mask:0xf
	v_cndmask_b32_e64 v24, 0, v24, s1
	s_delay_alu instid0(VALU_DEP_1) | instskip(NEXT) | instid1(VALU_DEP_1)
	v_add_nc_u32_e32 v3, v3, v24
	v_mov_b32_dpp v24, v3 row_shr:4 row_mask:0xf bank_mask:0xf
	s_delay_alu instid0(VALU_DEP_1) | instskip(NEXT) | instid1(VALU_DEP_1)
	v_cndmask_b32_e64 v24, 0, v24, s2
	v_add_nc_u32_e32 v3, v3, v24
	s_delay_alu instid0(VALU_DEP_1) | instskip(NEXT) | instid1(VALU_DEP_1)
	v_mov_b32_dpp v24, v3 row_shr:8 row_mask:0xf bank_mask:0xf
	v_cndmask_b32_e64 v24, 0, v24, s3
	s_delay_alu instid0(VALU_DEP_1) | instskip(SKIP_3) | instid1(VALU_DEP_1)
	v_add_nc_u32_e32 v3, v3, v24
	ds_swizzle_b32 v24, v3 offset:swizzle(BROADCAST,32,15)
	s_waitcnt lgkmcnt(0)
	v_cndmask_b32_e64 v24, v24, 0, s4
	v_add_nc_u32_e32 v3, v3, v24
	s_and_saveexec_b32 s10, s9
	s_cbranch_execz .LBB192_14
; %bb.13:                               ;   in Loop: Header=BB192_2 Depth=1
	ds_store_b32 v14, v3
.LBB192_14:                             ;   in Loop: Header=BB192_2 Depth=1
	s_or_b32 exec_lo, exec_lo, s10
	s_waitcnt lgkmcnt(0)
	s_barrier
	buffer_gl0_inv
	s_and_saveexec_b32 s10, s5
	s_cbranch_execz .LBB192_16
; %bb.15:                               ;   in Loop: Header=BB192_2 Depth=1
	ds_load_b32 v24, v20
	s_waitcnt lgkmcnt(0)
	v_mov_b32_dpp v25, v24 row_shr:1 row_mask:0xf bank_mask:0xf
	s_delay_alu instid0(VALU_DEP_1) | instskip(NEXT) | instid1(VALU_DEP_1)
	v_cndmask_b32_e64 v25, v25, 0, s8
	v_add_nc_u32_e32 v24, v25, v24
	ds_store_b32 v20, v24
.LBB192_16:                             ;   in Loop: Header=BB192_2 Depth=1
	s_or_b32 exec_lo, exec_lo, s10
	v_mov_b32_e32 v24, 0
	s_waitcnt lgkmcnt(0)
	s_barrier
	buffer_gl0_inv
	s_and_saveexec_b32 s10, s6
	s_cbranch_execz .LBB192_18
; %bb.17:                               ;   in Loop: Header=BB192_2 Depth=1
	ds_load_b32 v24, v17
.LBB192_18:                             ;   in Loop: Header=BB192_2 Depth=1
	s_or_b32 exec_lo, exec_lo, s10
	s_waitcnt lgkmcnt(0)
	v_add_nc_u32_e32 v3, v24, v3
	ds_bpermute_b32 v3, v16, v3
	s_waitcnt lgkmcnt(0)
	v_cndmask_b32_e32 v3, v3, v24, vcc_lo
	s_delay_alu instid0(VALU_DEP_1) | instskip(NEXT) | instid1(VALU_DEP_1)
	v_cndmask_b32_e64 v3, v3, 0, s7
	v_add_nc_u32_e32 v4, v3, v4
	s_delay_alu instid0(VALU_DEP_1) | instskip(NEXT) | instid1(VALU_DEP_1)
	v_add_nc_u32_e32 v5, v4, v5
	v_add_nc_u32_e32 v6, v5, v6
	s_delay_alu instid0(VALU_DEP_1) | instskip(NEXT) | instid1(VALU_DEP_1)
	v_add_nc_u32_e32 v24, v6, v7
	;; [unrolled: 3-line block ×3, first 2 shown]
	v_add_nc_u32_e32 v1, v0, v2
	ds_store_2addr_b64 v13, v[3:4], v[5:6] offset0:1 offset1:2
	ds_store_2addr_b64 v15, v[24:25], v[0:1] offset0:2 offset1:3
	s_waitcnt lgkmcnt(0)
	s_barrier
	buffer_gl0_inv
	ds_load_b32 v0, v23
	v_lshlrev_b32_e32 v1, 2, v22
	s_waitcnt lgkmcnt(0)
	s_barrier
	buffer_gl0_inv
	v_lshl_add_u32 v0, v0, 2, v1
	ds_store_b32 v0, v21
	s_waitcnt lgkmcnt(0)
	s_barrier
	buffer_gl0_inv
	ds_load_b32 v21, v18
	s_waitcnt lgkmcnt(0)
	s_barrier
	buffer_gl0_inv
	v_bfe_u32 v0, v21, 16, 1
	v_lshrrev_b32_e32 v1, 16, v21
	s_delay_alu instid0(VALU_DEP_2) | instskip(NEXT) | instid1(VALU_DEP_1)
	v_add_co_u32 v0, s10, v0, -1
	v_cndmask_b32_e64 v2, 0, 1, s10
	s_delay_alu instid0(VALU_DEP_3)
	v_lshlrev_b32_e32 v3, 30, v1
	v_lshlrev_b32_e32 v4, 29, v1
	v_lshlrev_b32_e32 v5, 28, v1
	v_lshlrev_b32_e32 v6, 27, v1
	v_cmp_ne_u32_e64 s10, 0, v2
	v_not_b32_e32 v2, v3
	v_cmp_gt_i32_e64 s11, 0, v3
	v_not_b32_e32 v3, v4
	v_lshlrev_b32_e32 v7, 26, v1
	v_xor_b32_e32 v0, s10, v0
	v_ashrrev_i32_e32 v2, 31, v2
	v_cmp_gt_i32_e64 s10, 0, v4
	v_not_b32_e32 v4, v5
	v_ashrrev_i32_e32 v3, 31, v3
	v_and_b32_e32 v0, exec_lo, v0
	v_xor_b32_e32 v2, s11, v2
	v_cmp_gt_i32_e64 s11, 0, v5
	v_not_b32_e32 v5, v6
	v_ashrrev_i32_e32 v4, 31, v4
	v_xor_b32_e32 v3, s10, v3
	v_and_b32_e32 v0, v0, v2
	v_lshlrev_b32_e32 v22, 25, v1
	v_cmp_gt_i32_e64 s10, 0, v6
	v_not_b32_e32 v2, v7
	v_ashrrev_i32_e32 v5, 31, v5
	v_xor_b32_e32 v4, s11, v4
	v_and_b32_e32 v0, v0, v3
	v_lshlrev_b32_e32 v1, 24, v1
	v_cmp_gt_i32_e64 s11, 0, v7
	v_not_b32_e32 v3, v22
	v_ashrrev_i32_e32 v2, 31, v2
	v_xor_b32_e32 v5, s10, v5
	v_and_b32_e32 v0, v0, v4
	v_cmp_gt_i32_e64 s10, 0, v22
	v_not_b32_e32 v4, v1
	v_ashrrev_i32_e32 v3, 31, v3
	v_xor_b32_e32 v2, s11, v2
	v_and_b32_e32 v0, v0, v5
	v_cmp_gt_i32_e64 s11, 0, v1
	v_ashrrev_i32_e32 v1, 31, v4
	v_xor_b32_e32 v3, s10, v3
	v_lshrrev_b32_e32 v6, 15, v21
	v_and_b32_e32 v0, v0, v2
	s_delay_alu instid0(VALU_DEP_4) | instskip(SKIP_1) | instid1(VALU_DEP_3)
	v_xor_b32_e32 v5, s11, v1
	v_dual_mov_b32 v1, s20 :: v_dual_mov_b32 v2, s21
	v_dual_mov_b32 v3, s16 :: v_dual_and_b32 v0, v0, v3
	v_mov_b32_e32 v4, s17
	ds_store_2addr_b64 v13, v[1:2], v[3:4] offset0:1 offset1:2
	ds_store_2addr_b64 v15, v[1:2], v[3:4] offset0:2 offset1:3
	v_and_b32_e32 v0, v0, v5
	v_and_b32_e32 v5, 0x1fe, v6
	s_waitcnt lgkmcnt(0)
	s_barrier
	buffer_gl0_inv
	v_mbcnt_lo_u32_b32 v22, v0, 0
	v_add_nc_u32_e32 v1, v5, v19
	v_cmp_ne_u32_e64 s11, 0, v0
	; wave barrier
	s_delay_alu instid0(VALU_DEP_3) | instskip(NEXT) | instid1(VALU_DEP_3)
	v_cmp_eq_u32_e64 s10, 0, v22
	v_lshl_add_u32 v23, v1, 2, 8
	s_delay_alu instid0(VALU_DEP_2) | instskip(NEXT) | instid1(SALU_CYCLE_1)
	s_and_b32 s11, s11, s10
	s_and_saveexec_b32 s10, s11
	s_cbranch_execz .LBB192_20
; %bb.19:                               ;   in Loop: Header=BB192_2 Depth=1
	v_bcnt_u32_b32 v0, v0, 0
	ds_store_b32 v23, v0
.LBB192_20:                             ;   in Loop: Header=BB192_2 Depth=1
	s_or_b32 exec_lo, exec_lo, s10
	; wave barrier
	s_waitcnt lgkmcnt(0)
	s_barrier
	buffer_gl0_inv
	ds_load_2addr_b64 v[4:7], v13 offset0:1 offset1:2
	ds_load_2addr_b64 v[0:3], v15 offset0:2 offset1:3
	s_waitcnt lgkmcnt(1)
	v_add_nc_u32_e32 v24, v5, v4
	s_delay_alu instid0(VALU_DEP_1) | instskip(SKIP_1) | instid1(VALU_DEP_1)
	v_add3_u32 v24, v24, v6, v7
	s_waitcnt lgkmcnt(0)
	v_add3_u32 v24, v24, v0, v1
	s_delay_alu instid0(VALU_DEP_1) | instskip(NEXT) | instid1(VALU_DEP_1)
	v_add3_u32 v3, v24, v2, v3
	v_mov_b32_dpp v24, v3 row_shr:1 row_mask:0xf bank_mask:0xf
	s_delay_alu instid0(VALU_DEP_1) | instskip(NEXT) | instid1(VALU_DEP_1)
	v_cndmask_b32_e64 v24, v24, 0, s0
	v_add_nc_u32_e32 v3, v24, v3
	s_delay_alu instid0(VALU_DEP_1) | instskip(NEXT) | instid1(VALU_DEP_1)
	v_mov_b32_dpp v24, v3 row_shr:2 row_mask:0xf bank_mask:0xf
	v_cndmask_b32_e64 v24, 0, v24, s1
	s_delay_alu instid0(VALU_DEP_1) | instskip(NEXT) | instid1(VALU_DEP_1)
	v_add_nc_u32_e32 v3, v3, v24
	v_mov_b32_dpp v24, v3 row_shr:4 row_mask:0xf bank_mask:0xf
	s_delay_alu instid0(VALU_DEP_1) | instskip(NEXT) | instid1(VALU_DEP_1)
	v_cndmask_b32_e64 v24, 0, v24, s2
	v_add_nc_u32_e32 v3, v3, v24
	s_delay_alu instid0(VALU_DEP_1) | instskip(NEXT) | instid1(VALU_DEP_1)
	v_mov_b32_dpp v24, v3 row_shr:8 row_mask:0xf bank_mask:0xf
	v_cndmask_b32_e64 v24, 0, v24, s3
	s_delay_alu instid0(VALU_DEP_1) | instskip(SKIP_3) | instid1(VALU_DEP_1)
	v_add_nc_u32_e32 v3, v3, v24
	ds_swizzle_b32 v24, v3 offset:swizzle(BROADCAST,32,15)
	s_waitcnt lgkmcnt(0)
	v_cndmask_b32_e64 v24, v24, 0, s4
	v_add_nc_u32_e32 v3, v3, v24
	s_and_saveexec_b32 s10, s9
	s_cbranch_execz .LBB192_22
; %bb.21:                               ;   in Loop: Header=BB192_2 Depth=1
	ds_store_b32 v14, v3
.LBB192_22:                             ;   in Loop: Header=BB192_2 Depth=1
	s_or_b32 exec_lo, exec_lo, s10
	s_waitcnt lgkmcnt(0)
	s_barrier
	buffer_gl0_inv
	s_and_saveexec_b32 s10, s5
	s_cbranch_execz .LBB192_24
; %bb.23:                               ;   in Loop: Header=BB192_2 Depth=1
	ds_load_b32 v24, v20
	s_waitcnt lgkmcnt(0)
	v_mov_b32_dpp v25, v24 row_shr:1 row_mask:0xf bank_mask:0xf
	s_delay_alu instid0(VALU_DEP_1) | instskip(NEXT) | instid1(VALU_DEP_1)
	v_cndmask_b32_e64 v25, v25, 0, s8
	v_add_nc_u32_e32 v24, v25, v24
	ds_store_b32 v20, v24
.LBB192_24:                             ;   in Loop: Header=BB192_2 Depth=1
	s_or_b32 exec_lo, exec_lo, s10
	v_mov_b32_e32 v24, 0
	s_waitcnt lgkmcnt(0)
	s_barrier
	buffer_gl0_inv
	s_and_saveexec_b32 s10, s6
	s_cbranch_execz .LBB192_26
; %bb.25:                               ;   in Loop: Header=BB192_2 Depth=1
	ds_load_b32 v24, v17
.LBB192_26:                             ;   in Loop: Header=BB192_2 Depth=1
	s_or_b32 exec_lo, exec_lo, s10
	s_waitcnt lgkmcnt(0)
	v_add_nc_u32_e32 v3, v24, v3
	ds_bpermute_b32 v3, v16, v3
	s_waitcnt lgkmcnt(0)
	v_cndmask_b32_e32 v3, v3, v24, vcc_lo
	s_delay_alu instid0(VALU_DEP_1) | instskip(NEXT) | instid1(VALU_DEP_1)
	v_cndmask_b32_e64 v3, v3, 0, s7
	v_add_nc_u32_e32 v4, v3, v4
	s_delay_alu instid0(VALU_DEP_1) | instskip(NEXT) | instid1(VALU_DEP_1)
	v_add_nc_u32_e32 v5, v4, v5
	v_add_nc_u32_e32 v6, v5, v6
	s_delay_alu instid0(VALU_DEP_1) | instskip(NEXT) | instid1(VALU_DEP_1)
	v_add_nc_u32_e32 v24, v6, v7
	;; [unrolled: 3-line block ×3, first 2 shown]
	v_add_nc_u32_e32 v1, v0, v2
	ds_store_2addr_b64 v13, v[3:4], v[5:6] offset0:1 offset1:2
	ds_store_2addr_b64 v15, v[24:25], v[0:1] offset0:2 offset1:3
	s_waitcnt lgkmcnt(0)
	s_barrier
	buffer_gl0_inv
	ds_load_b32 v0, v23
	v_lshlrev_b32_e32 v1, 2, v22
	s_waitcnt lgkmcnt(0)
	s_barrier
	buffer_gl0_inv
	v_lshl_add_u32 v0, v0, 2, v1
	ds_store_b32 v0, v21
	s_waitcnt lgkmcnt(0)
	s_barrier
	buffer_gl0_inv
	ds_load_b32 v21, v18
	s_waitcnt lgkmcnt(0)
	s_barrier
	buffer_gl0_inv
	v_bfe_u32 v0, v21, 24, 1
	v_lshrrev_b32_e32 v5, 24, v21
	s_delay_alu instid0(VALU_DEP_2) | instskip(NEXT) | instid1(VALU_DEP_1)
	v_add_co_u32 v0, s10, v0, -1
	v_cndmask_b32_e64 v1, 0, 1, s10
	s_delay_alu instid0(VALU_DEP_3)
	v_lshlrev_b32_e32 v2, 30, v5
	v_lshlrev_b32_e32 v3, 29, v5
	;; [unrolled: 1-line block ×4, first 2 shown]
	v_cmp_ne_u32_e64 s10, 0, v1
	v_not_b32_e32 v1, v2
	v_cmp_gt_i32_e64 s11, 0, v2
	v_not_b32_e32 v2, v3
	v_lshlrev_b32_e32 v7, 26, v5
	v_xor_b32_e32 v0, s10, v0
	v_ashrrev_i32_e32 v1, 31, v1
	v_cmp_gt_i32_e64 s10, 0, v3
	v_not_b32_e32 v3, v4
	v_ashrrev_i32_e32 v2, 31, v2
	v_and_b32_e32 v0, exec_lo, v0
	v_xor_b32_e32 v1, s11, v1
	v_cmp_gt_i32_e64 s11, 0, v4
	v_not_b32_e32 v4, v6
	v_ashrrev_i32_e32 v3, 31, v3
	v_xor_b32_e32 v2, s10, v2
	v_and_b32_e32 v0, v0, v1
	v_lshlrev_b32_e32 v22, 25, v5
	v_cmp_gt_i32_e64 s10, 0, v6
	v_not_b32_e32 v1, v7
	v_ashrrev_i32_e32 v4, 31, v4
	v_xor_b32_e32 v3, s11, v3
	v_and_b32_e32 v0, v0, v2
	v_cmp_gt_i32_e64 s11, 0, v7
	v_not_b32_e32 v2, v22
	v_ashrrev_i32_e32 v1, 31, v1
	v_xor_b32_e32 v4, s10, v4
	v_and_b32_e32 v0, v0, v3
	v_not_b32_e32 v3, v21
	v_cmp_gt_i32_e64 s10, 0, v22
	v_ashrrev_i32_e32 v2, 31, v2
	v_xor_b32_e32 v1, s11, v1
	v_and_b32_e32 v0, v0, v4
	v_cmp_gt_i32_e64 s11, 0, v21
	v_ashrrev_i32_e32 v3, 31, v3
	v_xor_b32_e32 v2, s10, v2
	s_delay_alu instid0(VALU_DEP_4) | instskip(NEXT) | instid1(VALU_DEP_3)
	v_and_b32_e32 v0, v0, v1
	v_xor_b32_e32 v3, s11, v3
	s_delay_alu instid0(VALU_DEP_2) | instskip(SKIP_1) | instid1(VALU_DEP_2)
	v_dual_mov_b32 v1, s20 :: v_dual_and_b32 v0, v0, v2
	v_mov_b32_e32 v2, s21
	v_dual_mov_b32 v3, s16 :: v_dual_and_b32 v0, v0, v3
	v_mov_b32_e32 v4, s17
	ds_store_2addr_b64 v13, v[1:2], v[3:4] offset0:1 offset1:2
	ds_store_2addr_b64 v15, v[1:2], v[3:4] offset0:2 offset1:3
	v_mbcnt_lo_u32_b32 v22, v0, 0
	v_lshl_add_u32 v1, v5, 1, v19
	v_cmp_ne_u32_e64 s11, 0, v0
	s_waitcnt lgkmcnt(0)
	s_barrier
	v_cmp_eq_u32_e64 s10, 0, v22
	v_lshl_add_u32 v23, v1, 2, 8
	buffer_gl0_inv
	; wave barrier
	s_and_b32 s11, s11, s10
	s_delay_alu instid0(SALU_CYCLE_1)
	s_and_saveexec_b32 s10, s11
	s_cbranch_execz .LBB192_28
; %bb.27:                               ;   in Loop: Header=BB192_2 Depth=1
	v_bcnt_u32_b32 v0, v0, 0
	ds_store_b32 v23, v0
.LBB192_28:                             ;   in Loop: Header=BB192_2 Depth=1
	s_or_b32 exec_lo, exec_lo, s10
	; wave barrier
	s_waitcnt lgkmcnt(0)
	s_barrier
	buffer_gl0_inv
	ds_load_2addr_b64 v[4:7], v13 offset0:1 offset1:2
	ds_load_2addr_b64 v[0:3], v15 offset0:2 offset1:3
	s_waitcnt lgkmcnt(1)
	v_add_nc_u32_e32 v24, v5, v4
	s_delay_alu instid0(VALU_DEP_1) | instskip(SKIP_1) | instid1(VALU_DEP_1)
	v_add3_u32 v24, v24, v6, v7
	s_waitcnt lgkmcnt(0)
	v_add3_u32 v24, v24, v0, v1
	s_delay_alu instid0(VALU_DEP_1) | instskip(NEXT) | instid1(VALU_DEP_1)
	v_add3_u32 v3, v24, v2, v3
	v_mov_b32_dpp v24, v3 row_shr:1 row_mask:0xf bank_mask:0xf
	s_delay_alu instid0(VALU_DEP_1) | instskip(NEXT) | instid1(VALU_DEP_1)
	v_cndmask_b32_e64 v24, v24, 0, s0
	v_add_nc_u32_e32 v3, v24, v3
	s_delay_alu instid0(VALU_DEP_1) | instskip(NEXT) | instid1(VALU_DEP_1)
	v_mov_b32_dpp v24, v3 row_shr:2 row_mask:0xf bank_mask:0xf
	v_cndmask_b32_e64 v24, 0, v24, s1
	s_delay_alu instid0(VALU_DEP_1) | instskip(NEXT) | instid1(VALU_DEP_1)
	v_add_nc_u32_e32 v3, v3, v24
	v_mov_b32_dpp v24, v3 row_shr:4 row_mask:0xf bank_mask:0xf
	s_delay_alu instid0(VALU_DEP_1) | instskip(NEXT) | instid1(VALU_DEP_1)
	v_cndmask_b32_e64 v24, 0, v24, s2
	v_add_nc_u32_e32 v3, v3, v24
	s_delay_alu instid0(VALU_DEP_1) | instskip(NEXT) | instid1(VALU_DEP_1)
	v_mov_b32_dpp v24, v3 row_shr:8 row_mask:0xf bank_mask:0xf
	v_cndmask_b32_e64 v24, 0, v24, s3
	s_delay_alu instid0(VALU_DEP_1) | instskip(SKIP_3) | instid1(VALU_DEP_1)
	v_add_nc_u32_e32 v3, v3, v24
	ds_swizzle_b32 v24, v3 offset:swizzle(BROADCAST,32,15)
	s_waitcnt lgkmcnt(0)
	v_cndmask_b32_e64 v24, v24, 0, s4
	v_add_nc_u32_e32 v3, v3, v24
	s_and_saveexec_b32 s10, s9
	s_cbranch_execz .LBB192_30
; %bb.29:                               ;   in Loop: Header=BB192_2 Depth=1
	ds_store_b32 v14, v3
.LBB192_30:                             ;   in Loop: Header=BB192_2 Depth=1
	s_or_b32 exec_lo, exec_lo, s10
	s_waitcnt lgkmcnt(0)
	s_barrier
	buffer_gl0_inv
	s_and_saveexec_b32 s10, s5
	s_cbranch_execz .LBB192_32
; %bb.31:                               ;   in Loop: Header=BB192_2 Depth=1
	ds_load_b32 v24, v20
	s_waitcnt lgkmcnt(0)
	v_mov_b32_dpp v25, v24 row_shr:1 row_mask:0xf bank_mask:0xf
	s_delay_alu instid0(VALU_DEP_1) | instskip(NEXT) | instid1(VALU_DEP_1)
	v_cndmask_b32_e64 v25, v25, 0, s8
	v_add_nc_u32_e32 v24, v25, v24
	ds_store_b32 v20, v24
.LBB192_32:                             ;   in Loop: Header=BB192_2 Depth=1
	s_or_b32 exec_lo, exec_lo, s10
	v_mov_b32_e32 v24, 0
	s_waitcnt lgkmcnt(0)
	s_barrier
	buffer_gl0_inv
	s_and_saveexec_b32 s10, s6
	s_cbranch_execz .LBB192_1
; %bb.33:                               ;   in Loop: Header=BB192_2 Depth=1
	ds_load_b32 v24, v17
	s_branch .LBB192_1
.LBB192_34:
	s_waitcnt lgkmcnt(0)
	v_xor_b32_e32 v0, 0x80000000, v21
	v_lshlrev_b32_e32 v1, 2, v8
	s_add_u32 s0, s18, s14
	s_addc_u32 s1, s19, s15
	global_store_b32 v1, v0, s[0:1]
	s_nop 0
	s_sendmsg sendmsg(MSG_DEALLOC_VGPRS)
	s_endpgm
	.section	.rodata,"a",@progbits
	.p2align	6, 0x0
	.amdhsa_kernel _Z16sort_keys_kernelI22helper_blocked_stripediLj64ELj1ELj10EEvPKT0_PS1_
		.amdhsa_group_segment_fixed_size 2064
		.amdhsa_private_segment_fixed_size 0
		.amdhsa_kernarg_size 272
		.amdhsa_user_sgpr_count 15
		.amdhsa_user_sgpr_dispatch_ptr 0
		.amdhsa_user_sgpr_queue_ptr 0
		.amdhsa_user_sgpr_kernarg_segment_ptr 1
		.amdhsa_user_sgpr_dispatch_id 0
		.amdhsa_user_sgpr_private_segment_size 0
		.amdhsa_wavefront_size32 1
		.amdhsa_uses_dynamic_stack 0
		.amdhsa_enable_private_segment 0
		.amdhsa_system_sgpr_workgroup_id_x 1
		.amdhsa_system_sgpr_workgroup_id_y 0
		.amdhsa_system_sgpr_workgroup_id_z 0
		.amdhsa_system_sgpr_workgroup_info 0
		.amdhsa_system_vgpr_workitem_id 2
		.amdhsa_next_free_vgpr 26
		.amdhsa_next_free_sgpr 22
		.amdhsa_reserve_vcc 1
		.amdhsa_float_round_mode_32 0
		.amdhsa_float_round_mode_16_64 0
		.amdhsa_float_denorm_mode_32 3
		.amdhsa_float_denorm_mode_16_64 3
		.amdhsa_dx10_clamp 1
		.amdhsa_ieee_mode 1
		.amdhsa_fp16_overflow 0
		.amdhsa_workgroup_processor_mode 1
		.amdhsa_memory_ordered 1
		.amdhsa_forward_progress 0
		.amdhsa_shared_vgpr_count 0
		.amdhsa_exception_fp_ieee_invalid_op 0
		.amdhsa_exception_fp_denorm_src 0
		.amdhsa_exception_fp_ieee_div_zero 0
		.amdhsa_exception_fp_ieee_overflow 0
		.amdhsa_exception_fp_ieee_underflow 0
		.amdhsa_exception_fp_ieee_inexact 0
		.amdhsa_exception_int_div_zero 0
	.end_amdhsa_kernel
	.section	.text._Z16sort_keys_kernelI22helper_blocked_stripediLj64ELj1ELj10EEvPKT0_PS1_,"axG",@progbits,_Z16sort_keys_kernelI22helper_blocked_stripediLj64ELj1ELj10EEvPKT0_PS1_,comdat
.Lfunc_end192:
	.size	_Z16sort_keys_kernelI22helper_blocked_stripediLj64ELj1ELj10EEvPKT0_PS1_, .Lfunc_end192-_Z16sort_keys_kernelI22helper_blocked_stripediLj64ELj1ELj10EEvPKT0_PS1_
                                        ; -- End function
	.section	.AMDGPU.csdata,"",@progbits
; Kernel info:
; codeLenInByte = 4028
; NumSgprs: 24
; NumVgprs: 26
; ScratchSize: 0
; MemoryBound: 0
; FloatMode: 240
; IeeeMode: 1
; LDSByteSize: 2064 bytes/workgroup (compile time only)
; SGPRBlocks: 2
; VGPRBlocks: 3
; NumSGPRsForWavesPerEU: 24
; NumVGPRsForWavesPerEU: 26
; Occupancy: 16
; WaveLimiterHint : 0
; COMPUTE_PGM_RSRC2:SCRATCH_EN: 0
; COMPUTE_PGM_RSRC2:USER_SGPR: 15
; COMPUTE_PGM_RSRC2:TRAP_HANDLER: 0
; COMPUTE_PGM_RSRC2:TGID_X_EN: 1
; COMPUTE_PGM_RSRC2:TGID_Y_EN: 0
; COMPUTE_PGM_RSRC2:TGID_Z_EN: 0
; COMPUTE_PGM_RSRC2:TIDIG_COMP_CNT: 2
	.section	.text._Z17sort_pairs_kernelI22helper_blocked_stripediLj64ELj1ELj10EEvPKT0_PS1_,"axG",@progbits,_Z17sort_pairs_kernelI22helper_blocked_stripediLj64ELj1ELj10EEvPKT0_PS1_,comdat
	.protected	_Z17sort_pairs_kernelI22helper_blocked_stripediLj64ELj1ELj10EEvPKT0_PS1_ ; -- Begin function _Z17sort_pairs_kernelI22helper_blocked_stripediLj64ELj1ELj10EEvPKT0_PS1_
	.globl	_Z17sort_pairs_kernelI22helper_blocked_stripediLj64ELj1ELj10EEvPKT0_PS1_
	.p2align	8
	.type	_Z17sort_pairs_kernelI22helper_blocked_stripediLj64ELj1ELj10EEvPKT0_PS1_,@function
_Z17sort_pairs_kernelI22helper_blocked_stripediLj64ELj1ELj10EEvPKT0_PS1_: ; @_Z17sort_pairs_kernelI22helper_blocked_stripediLj64ELj1ELj10EEvPKT0_PS1_
; %bb.0:
	s_clause 0x1
	s_load_b128 s[16:19], s[0:1], 0x0
	s_load_b32 s9, s[0:1], 0x1c
	s_mov_b32 s21, 0
	s_lshl_b32 s20, s15, 6
	v_mbcnt_lo_u32_b32 v3, -1, 0
	s_lshl_b64 s[14:15], s[20:21], 2
	s_mov_b32 s20, s21
	s_mov_b32 s13, 10
	s_delay_alu instid0(VALU_DEP_1) | instskip(SKIP_3) | instid1(VALU_DEP_4)
	v_dual_mov_b32 v11, s20 :: v_dual_add_nc_u32 v6, -1, v3
	v_and_b32_e32 v4, 15, v3
	v_dual_mov_b32 v12, s21 :: v_dual_and_b32 v5, 16, v3
	v_and_b32_e32 v7, 1, v3
	v_cmp_gt_i32_e64 s7, 0, v6
	s_delay_alu instid0(VALU_DEP_4)
	v_cmp_lt_u32_e64 s2, 3, v4
	v_cmp_lt_u32_e64 s3, 7, v4
	v_cmp_eq_u32_e64 s4, 0, v5
	v_cmp_eq_u32_e32 vcc_lo, 0, v3
	v_cndmask_b32_e64 v5, v6, v3, s7
	s_waitcnt lgkmcnt(0)
	s_add_u32 s0, s16, s14
	s_addc_u32 s1, s17, s15
	s_mov_b32 s16, s21
	s_mov_b32 s17, s21
	v_dual_mov_b32 v9, s16 :: v_dual_and_b32 v8, 0x3ff, v0
	v_mov_b32_e32 v10, s17
	s_lshr_b32 s8, s9, 16
	s_and_b32 s9, s9, 0xffff
	s_delay_alu instid0(VALU_DEP_2)
	v_lshlrev_b32_e32 v1, 2, v8
	v_lshrrev_b32_e32 v6, 3, v8
	v_lshlrev_b32_e32 v13, 5, v8
	v_mul_i32_i24_e32 v20, 0xffffffe4, v8
	v_cmp_gt_u32_e64 s5, 2, v8
	global_load_b32 v2, v1, s[0:1]
	v_bfe_u32 v1, v0, 10, 10
	v_bfe_u32 v0, v0, 20, 10
	v_cmp_eq_u32_e64 s0, 0, v4
	v_cmp_lt_u32_e64 s1, 1, v4
	v_and_b32_e32 v4, 32, v8
	v_cmp_lt_u32_e64 s6, 31, v8
	v_mad_u32_u24 v14, v0, s8, v1
	v_cmp_eq_u32_e64 s8, 0, v7
	v_cmp_eq_u32_e64 s7, 0, v8
	v_or_b32_e32 v7, 31, v4
	v_or_b32_e32 v15, 8, v13
	v_mad_u64_u32 v[0:1], null, v14, s9, v[8:9]
	v_and_b32_e32 v14, 4, v6
	v_or_b32_e32 v1, v3, v4
	v_lshlrev_b32_e32 v16, 2, v5
	v_cmp_eq_u32_e64 s9, v7, v8
	v_add_nc_u32_e32 v20, v13, v20
	v_add_nc_u32_e32 v17, -4, v14
	v_lshlrev_b32_e32 v18, 2, v1
	v_lshrrev_b32_e32 v19, 5, v0
	s_waitcnt vmcnt(0)
	v_add_nc_u32_e32 v21, 1, v2
	v_xor_b32_e32 v22, 0x80000000, v2
	s_branch .LBB193_2
.LBB193_1:                              ;   in Loop: Header=BB193_2 Depth=1
	s_or_b32 exec_lo, exec_lo, s10
	s_waitcnt lgkmcnt(0)
	v_add_nc_u32_e32 v3, v25, v3
	s_add_i32 s13, s13, -1
	s_delay_alu instid0(SALU_CYCLE_1) | instskip(SKIP_3) | instid1(VALU_DEP_1)
	s_cmp_lg_u32 s13, 0
	ds_bpermute_b32 v3, v16, v3
	s_waitcnt lgkmcnt(0)
	v_cndmask_b32_e32 v3, v3, v25, vcc_lo
	v_cndmask_b32_e64 v3, v3, 0, s7
	s_delay_alu instid0(VALU_DEP_1) | instskip(NEXT) | instid1(VALU_DEP_1)
	v_add_nc_u32_e32 v4, v3, v4
	v_add_nc_u32_e32 v5, v4, v5
	s_delay_alu instid0(VALU_DEP_1) | instskip(NEXT) | instid1(VALU_DEP_1)
	v_add_nc_u32_e32 v6, v5, v6
	v_add_nc_u32_e32 v25, v6, v7
	;; [unrolled: 3-line block ×3, first 2 shown]
	s_delay_alu instid0(VALU_DEP_1)
	v_add_nc_u32_e32 v1, v0, v2
	ds_store_2addr_b64 v13, v[3:4], v[5:6] offset0:1 offset1:2
	ds_store_2addr_b64 v15, v[25:26], v[0:1] offset0:2 offset1:3
	s_waitcnt lgkmcnt(0)
	s_barrier
	buffer_gl0_inv
	ds_load_b32 v0, v24
	v_lshlrev_b32_e32 v1, 2, v22
	s_waitcnt lgkmcnt(0)
	s_barrier
	buffer_gl0_inv
	v_lshl_add_u32 v0, v0, 2, v1
	ds_store_b32 v0, v21
	s_waitcnt lgkmcnt(0)
	s_barrier
	buffer_gl0_inv
	ds_load_b32 v22, v20
	s_waitcnt lgkmcnt(0)
	s_barrier
	buffer_gl0_inv
	ds_store_b32 v0, v23
	s_waitcnt lgkmcnt(0)
	s_barrier
	buffer_gl0_inv
	ds_load_b32 v21, v20
	s_cbranch_scc0 .LBB193_34
.LBB193_2:                              ; =>This Inner Loop Header: Depth=1
	s_delay_alu instid0(VALU_DEP_1)
	v_and_b32_e32 v0, 1, v22
	v_lshlrev_b32_e32 v1, 30, v22
	v_lshlrev_b32_e32 v2, 29, v22
	;; [unrolled: 1-line block ×4, first 2 shown]
	v_add_co_u32 v0, s10, v0, -1
	s_delay_alu instid0(VALU_DEP_1)
	v_cndmask_b32_e64 v3, 0, 1, s10
	v_not_b32_e32 v7, v1
	v_cmp_gt_i32_e64 s11, 0, v1
	v_not_b32_e32 v1, v2
	v_lshlrev_b32_e32 v6, 26, v22
	v_cmp_ne_u32_e64 s10, 0, v3
	v_ashrrev_i32_e32 v7, 31, v7
	v_lshlrev_b32_e32 v3, 25, v22
	v_ashrrev_i32_e32 v1, 31, v1
	v_cmp_gt_i32_e64 s12, 0, v5
	v_xor_b32_e32 v0, s10, v0
	v_cmp_gt_i32_e64 s10, 0, v2
	v_not_b32_e32 v2, v4
	v_xor_b32_e32 v7, s11, v7
	v_cmp_gt_i32_e64 s11, 0, v4
	v_and_b32_e32 v0, exec_lo, v0
	v_xor_b32_e32 v1, s10, v1
	v_ashrrev_i32_e32 v2, 31, v2
	v_not_b32_e32 v4, v5
	v_not_b32_e32 v5, v6
	v_and_b32_e32 v0, v0, v7
	v_cmp_gt_i32_e64 s10, 0, v6
	v_xor_b32_e32 v2, s11, v2
	v_not_b32_e32 v6, v3
	ds_store_2addr_b64 v13, v[11:12], v[9:10] offset0:1 offset1:2
	ds_store_2addr_b64 v15, v[11:12], v[9:10] offset0:2 offset1:3
	v_and_b32_e32 v0, v0, v1
	v_ashrrev_i32_e32 v1, 31, v4
	v_ashrrev_i32_e32 v4, 31, v5
	v_lshlrev_b32_e32 v5, 24, v22
	s_waitcnt lgkmcnt(0)
	v_and_b32_e32 v0, v0, v2
	v_xor_b32_e32 v1, s12, v1
	v_xor_b32_e32 v2, s10, v4
	v_cmp_gt_i32_e64 s10, 0, v3
	v_not_b32_e32 v3, v5
	v_ashrrev_i32_e32 v4, 31, v6
	v_and_b32_e32 v0, v0, v1
	v_cmp_gt_i32_e64 s11, 0, v5
	s_barrier
	v_ashrrev_i32_e32 v1, 31, v3
	v_xor_b32_e32 v3, s10, v4
	v_and_b32_e32 v0, v0, v2
	buffer_gl0_inv
	v_xor_b32_e32 v1, s11, v1
	; wave barrier
	v_and_b32_e32 v0, v0, v3
	s_delay_alu instid0(VALU_DEP_1) | instskip(SKIP_1) | instid1(VALU_DEP_2)
	v_and_b32_e32 v0, v0, v1
	v_and_b32_e32 v1, 0xff, v22
	v_mbcnt_lo_u32_b32 v23, v0, 0
	s_delay_alu instid0(VALU_DEP_2) | instskip(SKIP_1) | instid1(VALU_DEP_3)
	v_lshl_add_u32 v1, v1, 1, v19
	v_cmp_ne_u32_e64 s11, 0, v0
	v_cmp_eq_u32_e64 s10, 0, v23
	s_delay_alu instid0(VALU_DEP_3) | instskip(NEXT) | instid1(VALU_DEP_2)
	v_lshl_add_u32 v24, v1, 2, 8
	s_and_b32 s11, s11, s10
	s_delay_alu instid0(SALU_CYCLE_1)
	s_and_saveexec_b32 s10, s11
	s_cbranch_execz .LBB193_4
; %bb.3:                                ;   in Loop: Header=BB193_2 Depth=1
	v_bcnt_u32_b32 v0, v0, 0
	ds_store_b32 v24, v0
.LBB193_4:                              ;   in Loop: Header=BB193_2 Depth=1
	s_or_b32 exec_lo, exec_lo, s10
	; wave barrier
	s_waitcnt lgkmcnt(0)
	s_barrier
	buffer_gl0_inv
	ds_load_2addr_b64 v[4:7], v13 offset0:1 offset1:2
	ds_load_2addr_b64 v[0:3], v15 offset0:2 offset1:3
	s_waitcnt lgkmcnt(1)
	v_add_nc_u32_e32 v25, v5, v4
	s_delay_alu instid0(VALU_DEP_1) | instskip(SKIP_1) | instid1(VALU_DEP_1)
	v_add3_u32 v25, v25, v6, v7
	s_waitcnt lgkmcnt(0)
	v_add3_u32 v25, v25, v0, v1
	s_delay_alu instid0(VALU_DEP_1) | instskip(NEXT) | instid1(VALU_DEP_1)
	v_add3_u32 v3, v25, v2, v3
	v_mov_b32_dpp v25, v3 row_shr:1 row_mask:0xf bank_mask:0xf
	s_delay_alu instid0(VALU_DEP_1) | instskip(NEXT) | instid1(VALU_DEP_1)
	v_cndmask_b32_e64 v25, v25, 0, s0
	v_add_nc_u32_e32 v3, v25, v3
	s_delay_alu instid0(VALU_DEP_1) | instskip(NEXT) | instid1(VALU_DEP_1)
	v_mov_b32_dpp v25, v3 row_shr:2 row_mask:0xf bank_mask:0xf
	v_cndmask_b32_e64 v25, 0, v25, s1
	s_delay_alu instid0(VALU_DEP_1) | instskip(NEXT) | instid1(VALU_DEP_1)
	v_add_nc_u32_e32 v3, v3, v25
	v_mov_b32_dpp v25, v3 row_shr:4 row_mask:0xf bank_mask:0xf
	s_delay_alu instid0(VALU_DEP_1) | instskip(NEXT) | instid1(VALU_DEP_1)
	v_cndmask_b32_e64 v25, 0, v25, s2
	v_add_nc_u32_e32 v3, v3, v25
	s_delay_alu instid0(VALU_DEP_1) | instskip(NEXT) | instid1(VALU_DEP_1)
	v_mov_b32_dpp v25, v3 row_shr:8 row_mask:0xf bank_mask:0xf
	v_cndmask_b32_e64 v25, 0, v25, s3
	s_delay_alu instid0(VALU_DEP_1) | instskip(SKIP_3) | instid1(VALU_DEP_1)
	v_add_nc_u32_e32 v3, v3, v25
	ds_swizzle_b32 v25, v3 offset:swizzle(BROADCAST,32,15)
	s_waitcnt lgkmcnt(0)
	v_cndmask_b32_e64 v25, v25, 0, s4
	v_add_nc_u32_e32 v3, v3, v25
	s_and_saveexec_b32 s10, s9
	s_cbranch_execz .LBB193_6
; %bb.5:                                ;   in Loop: Header=BB193_2 Depth=1
	ds_store_b32 v14, v3
.LBB193_6:                              ;   in Loop: Header=BB193_2 Depth=1
	s_or_b32 exec_lo, exec_lo, s10
	s_waitcnt lgkmcnt(0)
	s_barrier
	buffer_gl0_inv
	s_and_saveexec_b32 s10, s5
	s_cbranch_execz .LBB193_8
; %bb.7:                                ;   in Loop: Header=BB193_2 Depth=1
	ds_load_b32 v25, v20
	s_waitcnt lgkmcnt(0)
	v_mov_b32_dpp v26, v25 row_shr:1 row_mask:0xf bank_mask:0xf
	s_delay_alu instid0(VALU_DEP_1) | instskip(NEXT) | instid1(VALU_DEP_1)
	v_cndmask_b32_e64 v26, v26, 0, s8
	v_add_nc_u32_e32 v25, v26, v25
	ds_store_b32 v20, v25
.LBB193_8:                              ;   in Loop: Header=BB193_2 Depth=1
	s_or_b32 exec_lo, exec_lo, s10
	v_mov_b32_e32 v25, 0
	s_waitcnt lgkmcnt(0)
	s_barrier
	buffer_gl0_inv
	s_and_saveexec_b32 s10, s6
	s_cbranch_execz .LBB193_10
; %bb.9:                                ;   in Loop: Header=BB193_2 Depth=1
	ds_load_b32 v25, v17
.LBB193_10:                             ;   in Loop: Header=BB193_2 Depth=1
	s_or_b32 exec_lo, exec_lo, s10
	s_waitcnt lgkmcnt(0)
	v_add_nc_u32_e32 v3, v25, v3
	ds_bpermute_b32 v3, v16, v3
	s_waitcnt lgkmcnt(0)
	v_cndmask_b32_e32 v3, v3, v25, vcc_lo
	s_delay_alu instid0(VALU_DEP_1) | instskip(NEXT) | instid1(VALU_DEP_1)
	v_cndmask_b32_e64 v3, v3, 0, s7
	v_add_nc_u32_e32 v4, v3, v4
	s_delay_alu instid0(VALU_DEP_1) | instskip(NEXT) | instid1(VALU_DEP_1)
	v_add_nc_u32_e32 v5, v4, v5
	v_add_nc_u32_e32 v6, v5, v6
	s_delay_alu instid0(VALU_DEP_1) | instskip(NEXT) | instid1(VALU_DEP_1)
	v_add_nc_u32_e32 v25, v6, v7
	v_add_nc_u32_e32 v26, v25, v0
	s_delay_alu instid0(VALU_DEP_1) | instskip(NEXT) | instid1(VALU_DEP_1)
	v_add_nc_u32_e32 v0, v26, v1
	v_add_nc_u32_e32 v1, v0, v2
	ds_store_2addr_b64 v13, v[3:4], v[5:6] offset0:1 offset1:2
	ds_store_2addr_b64 v15, v[25:26], v[0:1] offset0:2 offset1:3
	s_waitcnt lgkmcnt(0)
	s_barrier
	buffer_gl0_inv
	ds_load_b32 v0, v24
	v_lshlrev_b32_e32 v1, 2, v23
	s_waitcnt lgkmcnt(0)
	s_barrier
	buffer_gl0_inv
	v_lshl_add_u32 v0, v0, 2, v1
	ds_store_b32 v0, v22
	s_waitcnt lgkmcnt(0)
	s_barrier
	buffer_gl0_inv
	ds_load_b32 v22, v18
	s_waitcnt lgkmcnt(0)
	s_barrier
	buffer_gl0_inv
	ds_store_b32 v0, v21
	s_waitcnt lgkmcnt(0)
	s_barrier
	buffer_gl0_inv
	v_bfe_u32 v1, v22, 8, 1
	v_lshrrev_b32_e32 v2, 8, v22
	s_delay_alu instid0(VALU_DEP_2) | instskip(NEXT) | instid1(VALU_DEP_1)
	v_add_co_u32 v1, s10, v1, -1
	v_cndmask_b32_e64 v3, 0, 1, s10
	s_delay_alu instid0(VALU_DEP_3)
	v_lshlrev_b32_e32 v4, 30, v2
	v_lshlrev_b32_e32 v5, 29, v2
	;; [unrolled: 1-line block ×4, first 2 shown]
	v_cmp_ne_u32_e64 s10, 0, v3
	v_not_b32_e32 v3, v4
	v_cmp_gt_i32_e64 s11, 0, v4
	v_not_b32_e32 v4, v5
	v_lshlrev_b32_e32 v23, 26, v2
	v_xor_b32_e32 v1, s10, v1
	v_ashrrev_i32_e32 v3, 31, v3
	v_cmp_gt_i32_e64 s10, 0, v5
	v_not_b32_e32 v5, v6
	v_ashrrev_i32_e32 v4, 31, v4
	v_and_b32_e32 v1, exec_lo, v1
	v_xor_b32_e32 v3, s11, v3
	v_cmp_gt_i32_e64 s11, 0, v6
	v_not_b32_e32 v6, v7
	v_ashrrev_i32_e32 v5, 31, v5
	v_xor_b32_e32 v4, s10, v4
	v_and_b32_e32 v1, v1, v3
	v_lshlrev_b32_e32 v24, 25, v2
	v_cmp_gt_i32_e64 s10, 0, v7
	v_not_b32_e32 v3, v23
	v_ashrrev_i32_e32 v6, 31, v6
	v_xor_b32_e32 v5, s11, v5
	v_and_b32_e32 v1, v1, v4
	v_lshlrev_b32_e32 v2, 24, v2
	v_cmp_gt_i32_e64 s11, 0, v23
	v_not_b32_e32 v4, v24
	v_ashrrev_i32_e32 v3, 31, v3
	v_xor_b32_e32 v6, s10, v6
	v_and_b32_e32 v1, v1, v5
	v_cmp_gt_i32_e64 s10, 0, v24
	v_not_b32_e32 v5, v2
	v_ashrrev_i32_e32 v4, 31, v4
	v_xor_b32_e32 v3, s11, v3
	v_and_b32_e32 v1, v1, v6
	v_cmp_gt_i32_e64 s11, 0, v2
	v_ashrrev_i32_e32 v2, 31, v5
	v_xor_b32_e32 v4, s10, v4
	ds_load_b32 v23, v18
	v_and_b32_e32 v1, v1, v3
	s_waitcnt lgkmcnt(0)
	v_xor_b32_e32 v0, s11, v2
	v_lshrrev_b32_e32 v2, 7, v22
	s_barrier
	v_and_b32_e32 v1, v1, v4
	buffer_gl0_inv
	ds_store_2addr_b64 v13, v[11:12], v[9:10] offset0:1 offset1:2
	ds_store_2addr_b64 v15, v[11:12], v[9:10] offset0:2 offset1:3
	s_waitcnt lgkmcnt(0)
	s_barrier
	v_and_b32_e32 v0, v1, v0
	v_and_b32_e32 v1, 0x1fe, v2
	buffer_gl0_inv
	; wave barrier
	v_mbcnt_lo_u32_b32 v21, v0, 0
	v_add_nc_u32_e32 v1, v1, v19
	v_cmp_ne_u32_e64 s11, 0, v0
	s_delay_alu instid0(VALU_DEP_3) | instskip(NEXT) | instid1(VALU_DEP_3)
	v_cmp_eq_u32_e64 s10, 0, v21
	v_lshl_add_u32 v24, v1, 2, 8
	s_delay_alu instid0(VALU_DEP_2) | instskip(NEXT) | instid1(SALU_CYCLE_1)
	s_and_b32 s11, s11, s10
	s_and_saveexec_b32 s10, s11
	s_cbranch_execz .LBB193_12
; %bb.11:                               ;   in Loop: Header=BB193_2 Depth=1
	v_bcnt_u32_b32 v0, v0, 0
	ds_store_b32 v24, v0
.LBB193_12:                             ;   in Loop: Header=BB193_2 Depth=1
	s_or_b32 exec_lo, exec_lo, s10
	; wave barrier
	s_waitcnt lgkmcnt(0)
	s_barrier
	buffer_gl0_inv
	ds_load_2addr_b64 v[4:7], v13 offset0:1 offset1:2
	ds_load_2addr_b64 v[0:3], v15 offset0:2 offset1:3
	s_waitcnt lgkmcnt(1)
	v_add_nc_u32_e32 v25, v5, v4
	s_delay_alu instid0(VALU_DEP_1) | instskip(SKIP_1) | instid1(VALU_DEP_1)
	v_add3_u32 v25, v25, v6, v7
	s_waitcnt lgkmcnt(0)
	v_add3_u32 v25, v25, v0, v1
	s_delay_alu instid0(VALU_DEP_1) | instskip(NEXT) | instid1(VALU_DEP_1)
	v_add3_u32 v3, v25, v2, v3
	v_mov_b32_dpp v25, v3 row_shr:1 row_mask:0xf bank_mask:0xf
	s_delay_alu instid0(VALU_DEP_1) | instskip(NEXT) | instid1(VALU_DEP_1)
	v_cndmask_b32_e64 v25, v25, 0, s0
	v_add_nc_u32_e32 v3, v25, v3
	s_delay_alu instid0(VALU_DEP_1) | instskip(NEXT) | instid1(VALU_DEP_1)
	v_mov_b32_dpp v25, v3 row_shr:2 row_mask:0xf bank_mask:0xf
	v_cndmask_b32_e64 v25, 0, v25, s1
	s_delay_alu instid0(VALU_DEP_1) | instskip(NEXT) | instid1(VALU_DEP_1)
	v_add_nc_u32_e32 v3, v3, v25
	v_mov_b32_dpp v25, v3 row_shr:4 row_mask:0xf bank_mask:0xf
	s_delay_alu instid0(VALU_DEP_1) | instskip(NEXT) | instid1(VALU_DEP_1)
	v_cndmask_b32_e64 v25, 0, v25, s2
	v_add_nc_u32_e32 v3, v3, v25
	s_delay_alu instid0(VALU_DEP_1) | instskip(NEXT) | instid1(VALU_DEP_1)
	v_mov_b32_dpp v25, v3 row_shr:8 row_mask:0xf bank_mask:0xf
	v_cndmask_b32_e64 v25, 0, v25, s3
	s_delay_alu instid0(VALU_DEP_1) | instskip(SKIP_3) | instid1(VALU_DEP_1)
	v_add_nc_u32_e32 v3, v3, v25
	ds_swizzle_b32 v25, v3 offset:swizzle(BROADCAST,32,15)
	s_waitcnt lgkmcnt(0)
	v_cndmask_b32_e64 v25, v25, 0, s4
	v_add_nc_u32_e32 v3, v3, v25
	s_and_saveexec_b32 s10, s9
	s_cbranch_execz .LBB193_14
; %bb.13:                               ;   in Loop: Header=BB193_2 Depth=1
	ds_store_b32 v14, v3
.LBB193_14:                             ;   in Loop: Header=BB193_2 Depth=1
	s_or_b32 exec_lo, exec_lo, s10
	s_waitcnt lgkmcnt(0)
	s_barrier
	buffer_gl0_inv
	s_and_saveexec_b32 s10, s5
	s_cbranch_execz .LBB193_16
; %bb.15:                               ;   in Loop: Header=BB193_2 Depth=1
	ds_load_b32 v25, v20
	s_waitcnt lgkmcnt(0)
	v_mov_b32_dpp v26, v25 row_shr:1 row_mask:0xf bank_mask:0xf
	s_delay_alu instid0(VALU_DEP_1) | instskip(NEXT) | instid1(VALU_DEP_1)
	v_cndmask_b32_e64 v26, v26, 0, s8
	v_add_nc_u32_e32 v25, v26, v25
	ds_store_b32 v20, v25
.LBB193_16:                             ;   in Loop: Header=BB193_2 Depth=1
	s_or_b32 exec_lo, exec_lo, s10
	v_mov_b32_e32 v25, 0
	s_waitcnt lgkmcnt(0)
	s_barrier
	buffer_gl0_inv
	s_and_saveexec_b32 s10, s6
	s_cbranch_execz .LBB193_18
; %bb.17:                               ;   in Loop: Header=BB193_2 Depth=1
	ds_load_b32 v25, v17
.LBB193_18:                             ;   in Loop: Header=BB193_2 Depth=1
	s_or_b32 exec_lo, exec_lo, s10
	s_waitcnt lgkmcnt(0)
	v_add_nc_u32_e32 v3, v25, v3
	ds_bpermute_b32 v3, v16, v3
	s_waitcnt lgkmcnt(0)
	v_cndmask_b32_e32 v3, v3, v25, vcc_lo
	s_delay_alu instid0(VALU_DEP_1) | instskip(NEXT) | instid1(VALU_DEP_1)
	v_cndmask_b32_e64 v3, v3, 0, s7
	v_add_nc_u32_e32 v4, v3, v4
	s_delay_alu instid0(VALU_DEP_1) | instskip(NEXT) | instid1(VALU_DEP_1)
	v_add_nc_u32_e32 v5, v4, v5
	v_add_nc_u32_e32 v6, v5, v6
	s_delay_alu instid0(VALU_DEP_1) | instskip(NEXT) | instid1(VALU_DEP_1)
	v_add_nc_u32_e32 v25, v6, v7
	;; [unrolled: 3-line block ×3, first 2 shown]
	v_add_nc_u32_e32 v1, v0, v2
	ds_store_2addr_b64 v13, v[3:4], v[5:6] offset0:1 offset1:2
	ds_store_2addr_b64 v15, v[25:26], v[0:1] offset0:2 offset1:3
	s_waitcnt lgkmcnt(0)
	s_barrier
	buffer_gl0_inv
	ds_load_b32 v0, v24
	v_lshlrev_b32_e32 v1, 2, v21
	s_waitcnt lgkmcnt(0)
	s_barrier
	buffer_gl0_inv
	v_lshl_add_u32 v0, v0, 2, v1
	v_dual_mov_b32 v1, s20 :: v_dual_mov_b32 v2, s21
	ds_store_b32 v0, v22
	s_waitcnt lgkmcnt(0)
	s_barrier
	buffer_gl0_inv
	ds_load_b32 v21, v18
	s_waitcnt lgkmcnt(0)
	s_barrier
	buffer_gl0_inv
	ds_store_b32 v0, v23
	s_waitcnt lgkmcnt(0)
	s_barrier
	buffer_gl0_inv
	v_bfe_u32 v3, v21, 16, 1
	v_lshrrev_b32_e32 v4, 16, v21
	s_delay_alu instid0(VALU_DEP_2) | instskip(NEXT) | instid1(VALU_DEP_1)
	v_add_co_u32 v3, s10, v3, -1
	v_cndmask_b32_e64 v5, 0, 1, s10
	s_delay_alu instid0(VALU_DEP_3)
	v_lshlrev_b32_e32 v6, 30, v4
	v_lshlrev_b32_e32 v7, 29, v4
	;; [unrolled: 1-line block ×4, first 2 shown]
	v_cmp_ne_u32_e64 s10, 0, v5
	v_not_b32_e32 v5, v6
	v_cmp_gt_i32_e64 s11, 0, v6
	v_not_b32_e32 v6, v7
	v_lshlrev_b32_e32 v25, 26, v4
	v_xor_b32_e32 v3, s10, v3
	v_ashrrev_i32_e32 v5, 31, v5
	v_cmp_gt_i32_e64 s10, 0, v7
	v_not_b32_e32 v7, v22
	v_ashrrev_i32_e32 v6, 31, v6
	v_and_b32_e32 v3, exec_lo, v3
	v_xor_b32_e32 v5, s11, v5
	v_cmp_gt_i32_e64 s11, 0, v22
	v_not_b32_e32 v22, v24
	v_ashrrev_i32_e32 v7, 31, v7
	v_xor_b32_e32 v6, s10, v6
	v_and_b32_e32 v3, v3, v5
	v_lshlrev_b32_e32 v26, 25, v4
	v_cmp_gt_i32_e64 s10, 0, v24
	v_not_b32_e32 v5, v25
	v_ashrrev_i32_e32 v22, 31, v22
	v_xor_b32_e32 v7, s11, v7
	v_and_b32_e32 v3, v3, v6
	v_lshlrev_b32_e32 v4, 24, v4
	v_cmp_gt_i32_e64 s11, 0, v25
	v_not_b32_e32 v6, v26
	v_ashrrev_i32_e32 v5, 31, v5
	v_xor_b32_e32 v22, s10, v22
	v_and_b32_e32 v3, v3, v7
	v_cmp_gt_i32_e64 s10, 0, v26
	v_not_b32_e32 v7, v4
	v_ashrrev_i32_e32 v6, 31, v6
	v_xor_b32_e32 v5, s11, v5
	v_and_b32_e32 v3, v3, v22
	v_cmp_gt_i32_e64 s11, 0, v4
	v_ashrrev_i32_e32 v4, 31, v7
	v_xor_b32_e32 v6, s10, v6
	ds_load_b32 v22, v18
	v_and_b32_e32 v3, v3, v5
	s_waitcnt lgkmcnt(0)
	v_xor_b32_e32 v0, s11, v4
	s_barrier
	buffer_gl0_inv
	v_and_b32_e32 v5, v3, v6
	v_mov_b32_e32 v3, s16
	v_lshrrev_b32_e32 v6, 15, v21
	v_mov_b32_e32 v4, s17
	ds_store_2addr_b64 v13, v[1:2], v[3:4] offset0:1 offset1:2
	ds_store_2addr_b64 v15, v[1:2], v[3:4] offset0:2 offset1:3
	v_and_b32_e32 v0, v5, v0
	v_and_b32_e32 v5, 0x1fe, v6
	s_waitcnt lgkmcnt(0)
	s_barrier
	buffer_gl0_inv
	v_mbcnt_lo_u32_b32 v23, v0, 0
	v_add_nc_u32_e32 v1, v5, v19
	v_cmp_ne_u32_e64 s11, 0, v0
	; wave barrier
	s_delay_alu instid0(VALU_DEP_3) | instskip(NEXT) | instid1(VALU_DEP_3)
	v_cmp_eq_u32_e64 s10, 0, v23
	v_lshl_add_u32 v24, v1, 2, 8
	s_delay_alu instid0(VALU_DEP_2) | instskip(NEXT) | instid1(SALU_CYCLE_1)
	s_and_b32 s11, s11, s10
	s_and_saveexec_b32 s10, s11
	s_cbranch_execz .LBB193_20
; %bb.19:                               ;   in Loop: Header=BB193_2 Depth=1
	v_bcnt_u32_b32 v0, v0, 0
	ds_store_b32 v24, v0
.LBB193_20:                             ;   in Loop: Header=BB193_2 Depth=1
	s_or_b32 exec_lo, exec_lo, s10
	; wave barrier
	s_waitcnt lgkmcnt(0)
	s_barrier
	buffer_gl0_inv
	ds_load_2addr_b64 v[4:7], v13 offset0:1 offset1:2
	ds_load_2addr_b64 v[0:3], v15 offset0:2 offset1:3
	s_waitcnt lgkmcnt(1)
	v_add_nc_u32_e32 v25, v5, v4
	s_delay_alu instid0(VALU_DEP_1) | instskip(SKIP_1) | instid1(VALU_DEP_1)
	v_add3_u32 v25, v25, v6, v7
	s_waitcnt lgkmcnt(0)
	v_add3_u32 v25, v25, v0, v1
	s_delay_alu instid0(VALU_DEP_1) | instskip(NEXT) | instid1(VALU_DEP_1)
	v_add3_u32 v3, v25, v2, v3
	v_mov_b32_dpp v25, v3 row_shr:1 row_mask:0xf bank_mask:0xf
	s_delay_alu instid0(VALU_DEP_1) | instskip(NEXT) | instid1(VALU_DEP_1)
	v_cndmask_b32_e64 v25, v25, 0, s0
	v_add_nc_u32_e32 v3, v25, v3
	s_delay_alu instid0(VALU_DEP_1) | instskip(NEXT) | instid1(VALU_DEP_1)
	v_mov_b32_dpp v25, v3 row_shr:2 row_mask:0xf bank_mask:0xf
	v_cndmask_b32_e64 v25, 0, v25, s1
	s_delay_alu instid0(VALU_DEP_1) | instskip(NEXT) | instid1(VALU_DEP_1)
	v_add_nc_u32_e32 v3, v3, v25
	v_mov_b32_dpp v25, v3 row_shr:4 row_mask:0xf bank_mask:0xf
	s_delay_alu instid0(VALU_DEP_1) | instskip(NEXT) | instid1(VALU_DEP_1)
	v_cndmask_b32_e64 v25, 0, v25, s2
	v_add_nc_u32_e32 v3, v3, v25
	s_delay_alu instid0(VALU_DEP_1) | instskip(NEXT) | instid1(VALU_DEP_1)
	v_mov_b32_dpp v25, v3 row_shr:8 row_mask:0xf bank_mask:0xf
	v_cndmask_b32_e64 v25, 0, v25, s3
	s_delay_alu instid0(VALU_DEP_1) | instskip(SKIP_3) | instid1(VALU_DEP_1)
	v_add_nc_u32_e32 v3, v3, v25
	ds_swizzle_b32 v25, v3 offset:swizzle(BROADCAST,32,15)
	s_waitcnt lgkmcnt(0)
	v_cndmask_b32_e64 v25, v25, 0, s4
	v_add_nc_u32_e32 v3, v3, v25
	s_and_saveexec_b32 s10, s9
	s_cbranch_execz .LBB193_22
; %bb.21:                               ;   in Loop: Header=BB193_2 Depth=1
	ds_store_b32 v14, v3
.LBB193_22:                             ;   in Loop: Header=BB193_2 Depth=1
	s_or_b32 exec_lo, exec_lo, s10
	s_waitcnt lgkmcnt(0)
	s_barrier
	buffer_gl0_inv
	s_and_saveexec_b32 s10, s5
	s_cbranch_execz .LBB193_24
; %bb.23:                               ;   in Loop: Header=BB193_2 Depth=1
	ds_load_b32 v25, v20
	s_waitcnt lgkmcnt(0)
	v_mov_b32_dpp v26, v25 row_shr:1 row_mask:0xf bank_mask:0xf
	s_delay_alu instid0(VALU_DEP_1) | instskip(NEXT) | instid1(VALU_DEP_1)
	v_cndmask_b32_e64 v26, v26, 0, s8
	v_add_nc_u32_e32 v25, v26, v25
	ds_store_b32 v20, v25
.LBB193_24:                             ;   in Loop: Header=BB193_2 Depth=1
	s_or_b32 exec_lo, exec_lo, s10
	v_mov_b32_e32 v25, 0
	s_waitcnt lgkmcnt(0)
	s_barrier
	buffer_gl0_inv
	s_and_saveexec_b32 s10, s6
	s_cbranch_execz .LBB193_26
; %bb.25:                               ;   in Loop: Header=BB193_2 Depth=1
	ds_load_b32 v25, v17
.LBB193_26:                             ;   in Loop: Header=BB193_2 Depth=1
	s_or_b32 exec_lo, exec_lo, s10
	s_waitcnt lgkmcnt(0)
	v_add_nc_u32_e32 v3, v25, v3
	ds_bpermute_b32 v3, v16, v3
	s_waitcnt lgkmcnt(0)
	v_cndmask_b32_e32 v3, v3, v25, vcc_lo
	s_delay_alu instid0(VALU_DEP_1) | instskip(NEXT) | instid1(VALU_DEP_1)
	v_cndmask_b32_e64 v3, v3, 0, s7
	v_add_nc_u32_e32 v4, v3, v4
	s_delay_alu instid0(VALU_DEP_1) | instskip(NEXT) | instid1(VALU_DEP_1)
	v_add_nc_u32_e32 v5, v4, v5
	v_add_nc_u32_e32 v6, v5, v6
	s_delay_alu instid0(VALU_DEP_1) | instskip(NEXT) | instid1(VALU_DEP_1)
	v_add_nc_u32_e32 v25, v6, v7
	;; [unrolled: 3-line block ×3, first 2 shown]
	v_add_nc_u32_e32 v1, v0, v2
	ds_store_2addr_b64 v13, v[3:4], v[5:6] offset0:1 offset1:2
	ds_store_2addr_b64 v15, v[25:26], v[0:1] offset0:2 offset1:3
	s_waitcnt lgkmcnt(0)
	s_barrier
	buffer_gl0_inv
	ds_load_b32 v0, v24
	v_lshlrev_b32_e32 v1, 2, v23
	s_waitcnt lgkmcnt(0)
	s_barrier
	buffer_gl0_inv
	v_lshl_add_u32 v0, v0, 2, v1
	ds_store_b32 v0, v21
	s_waitcnt lgkmcnt(0)
	s_barrier
	buffer_gl0_inv
	ds_load_b32 v21, v18
	s_waitcnt lgkmcnt(0)
	s_barrier
	buffer_gl0_inv
	ds_store_b32 v0, v22
	s_waitcnt lgkmcnt(0)
	s_barrier
	buffer_gl0_inv
	v_bfe_u32 v1, v21, 24, 1
	v_lshrrev_b32_e32 v5, 24, v21
	s_delay_alu instid0(VALU_DEP_2) | instskip(NEXT) | instid1(VALU_DEP_1)
	v_add_co_u32 v1, s10, v1, -1
	v_cndmask_b32_e64 v2, 0, 1, s10
	s_delay_alu instid0(VALU_DEP_3)
	v_lshlrev_b32_e32 v3, 30, v5
	v_lshlrev_b32_e32 v4, 29, v5
	;; [unrolled: 1-line block ×4, first 2 shown]
	v_cmp_ne_u32_e64 s10, 0, v2
	v_not_b32_e32 v2, v3
	v_cmp_gt_i32_e64 s11, 0, v3
	v_not_b32_e32 v3, v4
	v_lshlrev_b32_e32 v23, 26, v5
	v_xor_b32_e32 v1, s10, v1
	v_ashrrev_i32_e32 v2, 31, v2
	v_cmp_gt_i32_e64 s10, 0, v4
	v_not_b32_e32 v4, v6
	v_ashrrev_i32_e32 v3, 31, v3
	v_and_b32_e32 v1, exec_lo, v1
	v_xor_b32_e32 v2, s11, v2
	v_cmp_gt_i32_e64 s11, 0, v6
	v_not_b32_e32 v6, v7
	v_ashrrev_i32_e32 v4, 31, v4
	v_xor_b32_e32 v3, s10, v3
	v_and_b32_e32 v1, v1, v2
	v_lshlrev_b32_e32 v24, 25, v5
	v_cmp_gt_i32_e64 s10, 0, v7
	v_not_b32_e32 v2, v23
	v_ashrrev_i32_e32 v6, 31, v6
	v_xor_b32_e32 v4, s11, v4
	v_and_b32_e32 v1, v1, v3
	v_cmp_gt_i32_e64 s11, 0, v23
	v_not_b32_e32 v3, v24
	v_ashrrev_i32_e32 v2, 31, v2
	v_xor_b32_e32 v6, s10, v6
	v_and_b32_e32 v1, v1, v4
	v_not_b32_e32 v4, v21
	v_cmp_gt_i32_e64 s10, 0, v24
	v_ashrrev_i32_e32 v3, 31, v3
	v_xor_b32_e32 v2, s11, v2
	v_and_b32_e32 v1, v1, v6
	v_cmp_gt_i32_e64 s11, 0, v21
	v_ashrrev_i32_e32 v4, 31, v4
	v_xor_b32_e32 v3, s10, v3
	ds_load_b32 v23, v18
	v_and_b32_e32 v1, v1, v2
	s_waitcnt lgkmcnt(0)
	v_xor_b32_e32 v0, s11, v4
	s_barrier
	buffer_gl0_inv
	v_and_b32_e32 v3, v1, v3
	v_dual_mov_b32 v1, s20 :: v_dual_mov_b32 v2, s21
	s_delay_alu instid0(VALU_DEP_2)
	v_dual_mov_b32 v3, s16 :: v_dual_and_b32 v0, v3, v0
	v_mov_b32_e32 v4, s17
	ds_store_2addr_b64 v13, v[1:2], v[3:4] offset0:1 offset1:2
	ds_store_2addr_b64 v15, v[1:2], v[3:4] offset0:2 offset1:3
	v_mbcnt_lo_u32_b32 v22, v0, 0
	v_lshl_add_u32 v1, v5, 1, v19
	v_cmp_ne_u32_e64 s11, 0, v0
	s_waitcnt lgkmcnt(0)
	s_barrier
	v_cmp_eq_u32_e64 s10, 0, v22
	v_lshl_add_u32 v24, v1, 2, 8
	buffer_gl0_inv
	; wave barrier
	s_and_b32 s11, s11, s10
	s_delay_alu instid0(SALU_CYCLE_1)
	s_and_saveexec_b32 s10, s11
	s_cbranch_execz .LBB193_28
; %bb.27:                               ;   in Loop: Header=BB193_2 Depth=1
	v_bcnt_u32_b32 v0, v0, 0
	ds_store_b32 v24, v0
.LBB193_28:                             ;   in Loop: Header=BB193_2 Depth=1
	s_or_b32 exec_lo, exec_lo, s10
	; wave barrier
	s_waitcnt lgkmcnt(0)
	s_barrier
	buffer_gl0_inv
	ds_load_2addr_b64 v[4:7], v13 offset0:1 offset1:2
	ds_load_2addr_b64 v[0:3], v15 offset0:2 offset1:3
	s_waitcnt lgkmcnt(1)
	v_add_nc_u32_e32 v25, v5, v4
	s_delay_alu instid0(VALU_DEP_1) | instskip(SKIP_1) | instid1(VALU_DEP_1)
	v_add3_u32 v25, v25, v6, v7
	s_waitcnt lgkmcnt(0)
	v_add3_u32 v25, v25, v0, v1
	s_delay_alu instid0(VALU_DEP_1) | instskip(NEXT) | instid1(VALU_DEP_1)
	v_add3_u32 v3, v25, v2, v3
	v_mov_b32_dpp v25, v3 row_shr:1 row_mask:0xf bank_mask:0xf
	s_delay_alu instid0(VALU_DEP_1) | instskip(NEXT) | instid1(VALU_DEP_1)
	v_cndmask_b32_e64 v25, v25, 0, s0
	v_add_nc_u32_e32 v3, v25, v3
	s_delay_alu instid0(VALU_DEP_1) | instskip(NEXT) | instid1(VALU_DEP_1)
	v_mov_b32_dpp v25, v3 row_shr:2 row_mask:0xf bank_mask:0xf
	v_cndmask_b32_e64 v25, 0, v25, s1
	s_delay_alu instid0(VALU_DEP_1) | instskip(NEXT) | instid1(VALU_DEP_1)
	v_add_nc_u32_e32 v3, v3, v25
	v_mov_b32_dpp v25, v3 row_shr:4 row_mask:0xf bank_mask:0xf
	s_delay_alu instid0(VALU_DEP_1) | instskip(NEXT) | instid1(VALU_DEP_1)
	v_cndmask_b32_e64 v25, 0, v25, s2
	v_add_nc_u32_e32 v3, v3, v25
	s_delay_alu instid0(VALU_DEP_1) | instskip(NEXT) | instid1(VALU_DEP_1)
	v_mov_b32_dpp v25, v3 row_shr:8 row_mask:0xf bank_mask:0xf
	v_cndmask_b32_e64 v25, 0, v25, s3
	s_delay_alu instid0(VALU_DEP_1) | instskip(SKIP_3) | instid1(VALU_DEP_1)
	v_add_nc_u32_e32 v3, v3, v25
	ds_swizzle_b32 v25, v3 offset:swizzle(BROADCAST,32,15)
	s_waitcnt lgkmcnt(0)
	v_cndmask_b32_e64 v25, v25, 0, s4
	v_add_nc_u32_e32 v3, v3, v25
	s_and_saveexec_b32 s10, s9
	s_cbranch_execz .LBB193_30
; %bb.29:                               ;   in Loop: Header=BB193_2 Depth=1
	ds_store_b32 v14, v3
.LBB193_30:                             ;   in Loop: Header=BB193_2 Depth=1
	s_or_b32 exec_lo, exec_lo, s10
	s_waitcnt lgkmcnt(0)
	s_barrier
	buffer_gl0_inv
	s_and_saveexec_b32 s10, s5
	s_cbranch_execz .LBB193_32
; %bb.31:                               ;   in Loop: Header=BB193_2 Depth=1
	ds_load_b32 v25, v20
	s_waitcnt lgkmcnt(0)
	v_mov_b32_dpp v26, v25 row_shr:1 row_mask:0xf bank_mask:0xf
	s_delay_alu instid0(VALU_DEP_1) | instskip(NEXT) | instid1(VALU_DEP_1)
	v_cndmask_b32_e64 v26, v26, 0, s8
	v_add_nc_u32_e32 v25, v26, v25
	ds_store_b32 v20, v25
.LBB193_32:                             ;   in Loop: Header=BB193_2 Depth=1
	s_or_b32 exec_lo, exec_lo, s10
	v_mov_b32_e32 v25, 0
	s_waitcnt lgkmcnt(0)
	s_barrier
	buffer_gl0_inv
	s_and_saveexec_b32 s10, s6
	s_cbranch_execz .LBB193_1
; %bb.33:                               ;   in Loop: Header=BB193_2 Depth=1
	ds_load_b32 v25, v17
	s_branch .LBB193_1
.LBB193_34:
	s_waitcnt lgkmcnt(0)
	v_add3_u32 v0, v21, v22, 0x80000000
	v_lshlrev_b32_e32 v1, 2, v8
	s_add_u32 s0, s18, s14
	s_addc_u32 s1, s19, s15
	global_store_b32 v1, v0, s[0:1]
	s_nop 0
	s_sendmsg sendmsg(MSG_DEALLOC_VGPRS)
	s_endpgm
	.section	.rodata,"a",@progbits
	.p2align	6, 0x0
	.amdhsa_kernel _Z17sort_pairs_kernelI22helper_blocked_stripediLj64ELj1ELj10EEvPKT0_PS1_
		.amdhsa_group_segment_fixed_size 2064
		.amdhsa_private_segment_fixed_size 0
		.amdhsa_kernarg_size 272
		.amdhsa_user_sgpr_count 15
		.amdhsa_user_sgpr_dispatch_ptr 0
		.amdhsa_user_sgpr_queue_ptr 0
		.amdhsa_user_sgpr_kernarg_segment_ptr 1
		.amdhsa_user_sgpr_dispatch_id 0
		.amdhsa_user_sgpr_private_segment_size 0
		.amdhsa_wavefront_size32 1
		.amdhsa_uses_dynamic_stack 0
		.amdhsa_enable_private_segment 0
		.amdhsa_system_sgpr_workgroup_id_x 1
		.amdhsa_system_sgpr_workgroup_id_y 0
		.amdhsa_system_sgpr_workgroup_id_z 0
		.amdhsa_system_sgpr_workgroup_info 0
		.amdhsa_system_vgpr_workitem_id 2
		.amdhsa_next_free_vgpr 27
		.amdhsa_next_free_sgpr 22
		.amdhsa_reserve_vcc 1
		.amdhsa_float_round_mode_32 0
		.amdhsa_float_round_mode_16_64 0
		.amdhsa_float_denorm_mode_32 3
		.amdhsa_float_denorm_mode_16_64 3
		.amdhsa_dx10_clamp 1
		.amdhsa_ieee_mode 1
		.amdhsa_fp16_overflow 0
		.amdhsa_workgroup_processor_mode 1
		.amdhsa_memory_ordered 1
		.amdhsa_forward_progress 0
		.amdhsa_shared_vgpr_count 0
		.amdhsa_exception_fp_ieee_invalid_op 0
		.amdhsa_exception_fp_denorm_src 0
		.amdhsa_exception_fp_ieee_div_zero 0
		.amdhsa_exception_fp_ieee_overflow 0
		.amdhsa_exception_fp_ieee_underflow 0
		.amdhsa_exception_fp_ieee_inexact 0
		.amdhsa_exception_int_div_zero 0
	.end_amdhsa_kernel
	.section	.text._Z17sort_pairs_kernelI22helper_blocked_stripediLj64ELj1ELj10EEvPKT0_PS1_,"axG",@progbits,_Z17sort_pairs_kernelI22helper_blocked_stripediLj64ELj1ELj10EEvPKT0_PS1_,comdat
.Lfunc_end193:
	.size	_Z17sort_pairs_kernelI22helper_blocked_stripediLj64ELj1ELj10EEvPKT0_PS1_, .Lfunc_end193-_Z17sort_pairs_kernelI22helper_blocked_stripediLj64ELj1ELj10EEvPKT0_PS1_
                                        ; -- End function
	.section	.AMDGPU.csdata,"",@progbits
; Kernel info:
; codeLenInByte = 4200
; NumSgprs: 24
; NumVgprs: 27
; ScratchSize: 0
; MemoryBound: 0
; FloatMode: 240
; IeeeMode: 1
; LDSByteSize: 2064 bytes/workgroup (compile time only)
; SGPRBlocks: 2
; VGPRBlocks: 3
; NumSGPRsForWavesPerEU: 24
; NumVGPRsForWavesPerEU: 27
; Occupancy: 16
; WaveLimiterHint : 0
; COMPUTE_PGM_RSRC2:SCRATCH_EN: 0
; COMPUTE_PGM_RSRC2:USER_SGPR: 15
; COMPUTE_PGM_RSRC2:TRAP_HANDLER: 0
; COMPUTE_PGM_RSRC2:TGID_X_EN: 1
; COMPUTE_PGM_RSRC2:TGID_Y_EN: 0
; COMPUTE_PGM_RSRC2:TGID_Z_EN: 0
; COMPUTE_PGM_RSRC2:TIDIG_COMP_CNT: 2
	.section	.text._Z16sort_keys_kernelI22helper_blocked_stripediLj64ELj3ELj10EEvPKT0_PS1_,"axG",@progbits,_Z16sort_keys_kernelI22helper_blocked_stripediLj64ELj3ELj10EEvPKT0_PS1_,comdat
	.protected	_Z16sort_keys_kernelI22helper_blocked_stripediLj64ELj3ELj10EEvPKT0_PS1_ ; -- Begin function _Z16sort_keys_kernelI22helper_blocked_stripediLj64ELj3ELj10EEvPKT0_PS1_
	.globl	_Z16sort_keys_kernelI22helper_blocked_stripediLj64ELj3ELj10EEvPKT0_PS1_
	.p2align	8
	.type	_Z16sort_keys_kernelI22helper_blocked_stripediLj64ELj3ELj10EEvPKT0_PS1_,@function
_Z16sort_keys_kernelI22helper_blocked_stripediLj64ELj3ELj10EEvPKT0_PS1_: ; @_Z16sort_keys_kernelI22helper_blocked_stripediLj64ELj3ELj10EEvPKT0_PS1_
; %bb.0:
	s_clause 0x1
	s_load_b128 s[16:19], s[0:1], 0x0
	s_load_b32 s2, s[0:1], 0x1c
	s_mul_i32 s14, s15, 0xc0
	s_mov_b32 s15, 0
	v_bfe_u32 v4, v0, 10, 10
	s_lshl_b64 s[12:13], s[14:15], 2
	s_mov_b32 s14, s15
	v_and_b32_e32 v8, 0x3ff, v0
	v_bfe_u32 v0, v0, 20, 10
	v_mbcnt_lo_u32_b32 v9, -1, 0
	s_delay_alu instid0(VALU_DEP_3) | instskip(SKIP_1) | instid1(VALU_DEP_3)
	v_mul_u32_u24_e32 v1, 3, v8
	v_lshrrev_b32_e32 v6, 5, v8
	v_cmp_eq_u32_e64 s8, 0, v9
	s_delay_alu instid0(VALU_DEP_3) | instskip(NEXT) | instid1(VALU_DEP_3)
	v_lshlrev_b32_e32 v1, 2, v1
	v_mul_u32_u24_e32 v7, 0x60, v6
	v_lshlrev_b32_e32 v19, 2, v6
	s_waitcnt lgkmcnt(0)
	s_add_u32 s0, s16, s12
	s_addc_u32 s1, s17, s13
	s_mov_b32 s16, s15
	global_load_b96 v[1:3], v1, s[0:1]
	s_lshr_b32 s0, s2, 16
	s_mov_b32 s17, s15
	v_mad_u32_u24 v0, v0, s0, v4
	s_and_b32 s0, s2, 0xffff
	v_dual_mov_b32 v11, s16 :: v_dual_lshlrev_b32 v10, 2, v7
	v_add_nc_u32_e32 v20, -4, v19
	s_delay_alu instid0(VALU_DEP_3)
	v_mad_u64_u32 v[4:5], null, v0, s0, v[8:9]
	v_or_b32_e32 v0, v9, v7
	v_add_nc_u32_e32 v7, -1, v9
	v_and_b32_e32 v5, 15, v9
	v_mad_u32_u24 v14, v9, 12, v10
	v_mov_b32_e32 v12, s17
	v_lshrrev_b32_e32 v17, 5, v4
	v_and_b32_e32 v4, 16, v9
	v_cmp_gt_i32_e32 vcc_lo, 0, v7
	v_lshlrev_b32_e32 v15, 2, v0
	v_and_b32_e32 v0, 32, v8
	v_cmp_eq_u32_e64 s0, 0, v5
	v_cmp_eq_u32_e64 s4, 0, v4
	v_cndmask_b32_e32 v4, v7, v9, vcc_lo
	v_cmp_lt_u32_e64 s1, 1, v5
	v_or_b32_e32 v10, 31, v0
	v_mul_u32_u24_e32 v0, 3, v0
	v_cmp_lt_u32_e64 s2, 3, v5
	v_cmp_lt_u32_e64 s3, 7, v5
	v_lshlrev_b32_e32 v18, 2, v4
	v_cmp_eq_u32_e64 s5, v10, v8
	v_and_b32_e32 v4, 1, v9
	v_or_b32_e32 v0, v9, v0
	v_mov_b32_e32 v9, s14
	v_lshlrev_b32_e32 v13, 5, v8
	v_mul_i32_i24_e32 v5, 0xffffffe4, v8
	v_cmp_gt_u32_e64 s6, 2, v8
	v_cmp_lt_u32_e64 s7, 31, v8
	v_cmp_eq_u32_e64 s9, 0, v8
	v_or_b32_e32 v16, 8, v13
	v_cmp_eq_u32_e64 s10, 0, v4
	v_dual_mov_b32 v10, s15 :: v_dual_lshlrev_b32 v21, 2, v0
	v_add_nc_u32_e32 v22, v13, v5
	s_branch .LBB194_2
.LBB194_1:                              ;   in Loop: Header=BB194_2 Depth=1
	v_lshlrev_b32_e32 v0, 2, v5
	v_lshlrev_b32_e32 v1, 2, v4
	;; [unrolled: 1-line block ×3, first 2 shown]
	s_barrier
	buffer_gl0_inv
	ds_store_b32 v0, v23
	ds_store_b32 v1, v25
	;; [unrolled: 1-line block ×3, first 2 shown]
	s_waitcnt lgkmcnt(0)
	s_barrier
	buffer_gl0_inv
	ds_load_2addr_stride64_b32 v[1:2], v22 offset1:1
	ds_load_b32 v0, v22 offset:512
	s_add_i32 s15, s15, 1
	s_delay_alu instid0(SALU_CYCLE_1)
	s_cmp_eq_u32 s15, 10
	s_waitcnt lgkmcnt(1)
	v_xor_b32_e32 v1, 0x80000000, v1
	v_xor_b32_e32 v2, 0x80000000, v2
	s_waitcnt lgkmcnt(0)
	v_xor_b32_e32 v3, 0x80000000, v0
	s_cbranch_scc1 .LBB194_18
.LBB194_2:                              ; =>This Loop Header: Depth=1
                                        ;     Child Loop BB194_4 Depth 2
	s_waitcnt vmcnt(0)
	v_xor_b32_e32 v0, 0x80000000, v1
	v_xor_b32_e32 v1, 0x80000000, v2
	;; [unrolled: 1-line block ×3, first 2 shown]
	s_mov_b32 s14, 0
	ds_store_2addr_b32 v14, v0, v1 offset1:1
	ds_store_b32 v14, v2 offset:8
	; wave barrier
	ds_load_2addr_b32 v[0:1], v15 offset1:32
	ds_load_b32 v2, v15 offset:256
	s_waitcnt lgkmcnt(0)
	s_barrier
	buffer_gl0_inv
	; wave barrier
	s_barrier
	s_branch .LBB194_4
.LBB194_3:                              ;   in Loop: Header=BB194_4 Depth=2
	v_lshlrev_b32_e32 v0, 2, v5
	v_lshlrev_b32_e32 v1, 2, v4
	s_delay_alu instid0(VALU_DEP_3)
	v_lshlrev_b32_e32 v2, 2, v3
	s_barrier
	buffer_gl0_inv
	ds_store_b32 v0, v23
	ds_store_b32 v1, v25
	;; [unrolled: 1-line block ×3, first 2 shown]
	s_waitcnt lgkmcnt(0)
	s_barrier
	buffer_gl0_inv
	ds_load_2addr_b32 v[0:1], v21 offset1:32
	ds_load_b32 v2, v21 offset:256
	s_add_i32 s14, s14, 8
	s_waitcnt lgkmcnt(0)
	s_barrier
	s_cbranch_execz .LBB194_1
.LBB194_4:                              ;   Parent Loop BB194_2 Depth=1
                                        ; =>  This Inner Loop Header: Depth=2
	v_mov_b32_e32 v23, v0
	buffer_gl0_inv
	ds_store_2addr_b64 v13, v[9:10], v[11:12] offset0:1 offset1:2
	ds_store_2addr_b64 v16, v[9:10], v[11:12] offset0:2 offset1:3
	s_waitcnt lgkmcnt(0)
	s_barrier
	v_lshrrev_b32_e32 v3, s14, v23
	buffer_gl0_inv
	; wave barrier
	v_lshlrev_b32_e32 v6, 29, v3
	v_bfe_u32 v0, v23, s14, 1
	v_lshlrev_b32_e32 v5, 30, v3
	v_lshlrev_b32_e32 v7, 28, v3
	;; [unrolled: 1-line block ×4, first 2 shown]
	v_add_co_u32 v0, s11, v0, -1
	s_delay_alu instid0(VALU_DEP_1) | instskip(SKIP_3) | instid1(VALU_DEP_4)
	v_cndmask_b32_e64 v4, 0, 1, s11
	v_cmp_gt_i32_e64 s11, 0, v5
	v_lshlrev_b32_e32 v26, 25, v3
	v_lshlrev_b32_e32 v3, 24, v3
	v_cmp_ne_u32_e32 vcc_lo, 0, v4
	v_not_b32_e32 v4, v5
	v_not_b32_e32 v5, v6
	v_xor_b32_e32 v0, vcc_lo, v0
	s_delay_alu instid0(VALU_DEP_3)
	v_ashrrev_i32_e32 v4, 31, v4
	v_cmp_gt_i32_e32 vcc_lo, 0, v6
	v_not_b32_e32 v6, v7
	v_ashrrev_i32_e32 v5, 31, v5
	v_and_b32_e32 v0, exec_lo, v0
	v_xor_b32_e32 v4, s11, v4
	v_cmp_gt_i32_e64 s11, 0, v7
	v_ashrrev_i32_e32 v6, 31, v6
	v_xor_b32_e32 v5, vcc_lo, v5
	s_delay_alu instid0(VALU_DEP_4) | instskip(SKIP_1) | instid1(VALU_DEP_4)
	v_and_b32_e32 v0, v0, v4
	v_not_b32_e32 v4, v25
	v_xor_b32_e32 v6, s11, v6
	v_cmp_gt_i32_e64 s11, 0, v25
	v_mov_b32_e32 v25, v1
	v_not_b32_e32 v7, v24
	v_cmp_gt_i32_e32 vcc_lo, 0, v24
	v_and_b32_e32 v0, v0, v5
	v_not_b32_e32 v5, v26
	v_ashrrev_i32_e32 v4, 31, v4
	v_ashrrev_i32_e32 v7, 31, v7
	v_bfe_u32 v1, v23, s14, 8
	v_and_b32_e32 v0, v0, v6
	v_not_b32_e32 v6, v3
	v_ashrrev_i32_e32 v5, 31, v5
	v_xor_b32_e32 v7, vcc_lo, v7
	v_cmp_gt_i32_e32 vcc_lo, 0, v26
	v_xor_b32_e32 v4, s11, v4
	v_cmp_gt_i32_e64 s11, 0, v3
	v_ashrrev_i32_e32 v3, 31, v6
	v_and_b32_e32 v0, v0, v7
	v_xor_b32_e32 v5, vcc_lo, v5
	v_lshl_add_u32 v1, v1, 1, v17
	v_mov_b32_e32 v24, v2
	v_xor_b32_e32 v3, s11, v3
	v_and_b32_e32 v0, v0, v4
	s_delay_alu instid0(VALU_DEP_4) | instskip(NEXT) | instid1(VALU_DEP_2)
	v_lshl_add_u32 v27, v1, 2, 8
	v_and_b32_e32 v0, v0, v5
	s_delay_alu instid0(VALU_DEP_1) | instskip(NEXT) | instid1(VALU_DEP_1)
	v_and_b32_e32 v0, v0, v3
	v_mbcnt_lo_u32_b32 v26, v0, 0
	v_cmp_ne_u32_e64 s11, 0, v0
	s_delay_alu instid0(VALU_DEP_2) | instskip(NEXT) | instid1(VALU_DEP_2)
	v_cmp_eq_u32_e32 vcc_lo, 0, v26
	s_and_b32 s16, s11, vcc_lo
	s_delay_alu instid0(SALU_CYCLE_1)
	s_and_saveexec_b32 s11, s16
	s_cbranch_execz .LBB194_6
; %bb.5:                                ;   in Loop: Header=BB194_4 Depth=2
	v_bcnt_u32_b32 v0, v0, 0
	ds_store_b32 v27, v0
.LBB194_6:                              ;   in Loop: Header=BB194_4 Depth=2
	s_or_b32 exec_lo, exec_lo, s11
	v_bfe_u32 v0, v25, s14, 1
	v_lshrrev_b32_e32 v1, s14, v25
	; wave barrier
	s_delay_alu instid0(VALU_DEP_2) | instskip(NEXT) | instid1(VALU_DEP_1)
	v_add_co_u32 v0, s11, v0, -1
	v_cndmask_b32_e64 v2, 0, 1, s11
	s_delay_alu instid0(VALU_DEP_3)
	v_lshlrev_b32_e32 v3, 30, v1
	v_lshlrev_b32_e32 v4, 29, v1
	;; [unrolled: 1-line block ×4, first 2 shown]
	v_cmp_ne_u32_e32 vcc_lo, 0, v2
	v_not_b32_e32 v2, v3
	v_cmp_gt_i32_e64 s11, 0, v3
	v_not_b32_e32 v3, v4
	v_lshlrev_b32_e32 v7, 26, v1
	v_xor_b32_e32 v0, vcc_lo, v0
	v_ashrrev_i32_e32 v2, 31, v2
	v_cmp_gt_i32_e32 vcc_lo, 0, v4
	v_not_b32_e32 v4, v5
	v_ashrrev_i32_e32 v3, 31, v3
	v_and_b32_e32 v0, exec_lo, v0
	v_xor_b32_e32 v2, s11, v2
	v_cmp_gt_i32_e64 s11, 0, v5
	v_not_b32_e32 v5, v6
	v_ashrrev_i32_e32 v4, 31, v4
	v_xor_b32_e32 v3, vcc_lo, v3
	v_and_b32_e32 v0, v0, v2
	v_cmp_gt_i32_e32 vcc_lo, 0, v6
	v_not_b32_e32 v2, v7
	v_ashrrev_i32_e32 v5, 31, v5
	v_xor_b32_e32 v4, s11, v4
	v_and_b32_e32 v0, v0, v3
	v_lshlrev_b32_e32 v3, 25, v1
	v_cmp_gt_i32_e64 s11, 0, v7
	v_ashrrev_i32_e32 v2, 31, v2
	v_xor_b32_e32 v5, vcc_lo, v5
	v_and_b32_e32 v0, v0, v4
	v_not_b32_e32 v6, v3
	v_lshlrev_b32_e32 v1, 24, v1
	v_bfe_u32 v4, v25, s14, 8
	v_xor_b32_e32 v2, s11, v2
	v_and_b32_e32 v0, v0, v5
	v_cmp_gt_i32_e32 vcc_lo, 0, v3
	v_ashrrev_i32_e32 v3, 31, v6
	v_not_b32_e32 v5, v1
	v_lshlrev_b32_e32 v4, 1, v4
	v_and_b32_e32 v0, v0, v2
	s_delay_alu instid0(VALU_DEP_4) | instskip(SKIP_3) | instid1(VALU_DEP_4)
	v_xor_b32_e32 v2, vcc_lo, v3
	v_cmp_gt_i32_e32 vcc_lo, 0, v1
	v_ashrrev_i32_e32 v1, 31, v5
	v_add_lshl_u32 v3, v4, v17, 2
	v_and_b32_e32 v0, v0, v2
	s_delay_alu instid0(VALU_DEP_3) | instskip(SKIP_3) | instid1(VALU_DEP_1)
	v_xor_b32_e32 v1, vcc_lo, v1
	ds_load_b32 v28, v3 offset:8
	v_add_nc_u32_e32 v30, 8, v3
	; wave barrier
	v_and_b32_e32 v0, v0, v1
	v_mbcnt_lo_u32_b32 v29, v0, 0
	v_cmp_ne_u32_e64 s11, 0, v0
	s_delay_alu instid0(VALU_DEP_2) | instskip(NEXT) | instid1(VALU_DEP_2)
	v_cmp_eq_u32_e32 vcc_lo, 0, v29
	s_and_b32 s16, s11, vcc_lo
	s_delay_alu instid0(SALU_CYCLE_1)
	s_and_saveexec_b32 s11, s16
	s_cbranch_execz .LBB194_8
; %bb.7:                                ;   in Loop: Header=BB194_4 Depth=2
	s_waitcnt lgkmcnt(0)
	v_bcnt_u32_b32 v0, v0, v28
	ds_store_b32 v30, v0
.LBB194_8:                              ;   in Loop: Header=BB194_4 Depth=2
	s_or_b32 exec_lo, exec_lo, s11
	v_bfe_u32 v0, v24, s14, 1
	v_lshrrev_b32_e32 v1, s14, v24
	; wave barrier
	s_delay_alu instid0(VALU_DEP_2) | instskip(NEXT) | instid1(VALU_DEP_1)
	v_add_co_u32 v0, s11, v0, -1
	v_cndmask_b32_e64 v2, 0, 1, s11
	s_delay_alu instid0(VALU_DEP_3)
	v_lshlrev_b32_e32 v3, 30, v1
	v_lshlrev_b32_e32 v4, 29, v1
	;; [unrolled: 1-line block ×4, first 2 shown]
	v_cmp_ne_u32_e32 vcc_lo, 0, v2
	v_not_b32_e32 v2, v3
	v_cmp_gt_i32_e64 s11, 0, v3
	v_not_b32_e32 v3, v4
	v_lshlrev_b32_e32 v7, 26, v1
	v_xor_b32_e32 v0, vcc_lo, v0
	v_ashrrev_i32_e32 v2, 31, v2
	v_cmp_gt_i32_e32 vcc_lo, 0, v4
	v_not_b32_e32 v4, v5
	v_ashrrev_i32_e32 v3, 31, v3
	v_and_b32_e32 v0, exec_lo, v0
	v_xor_b32_e32 v2, s11, v2
	v_cmp_gt_i32_e64 s11, 0, v5
	v_not_b32_e32 v5, v6
	v_ashrrev_i32_e32 v4, 31, v4
	v_xor_b32_e32 v3, vcc_lo, v3
	v_and_b32_e32 v0, v0, v2
	v_cmp_gt_i32_e32 vcc_lo, 0, v6
	v_not_b32_e32 v2, v7
	v_ashrrev_i32_e32 v5, 31, v5
	v_xor_b32_e32 v4, s11, v4
	v_and_b32_e32 v0, v0, v3
	v_lshlrev_b32_e32 v3, 25, v1
	v_cmp_gt_i32_e64 s11, 0, v7
	v_ashrrev_i32_e32 v2, 31, v2
	v_xor_b32_e32 v5, vcc_lo, v5
	v_and_b32_e32 v0, v0, v4
	v_not_b32_e32 v6, v3
	v_lshlrev_b32_e32 v1, 24, v1
	v_bfe_u32 v4, v24, s14, 8
	v_xor_b32_e32 v2, s11, v2
	v_and_b32_e32 v0, v0, v5
	v_cmp_gt_i32_e32 vcc_lo, 0, v3
	v_ashrrev_i32_e32 v3, 31, v6
	v_not_b32_e32 v5, v1
	v_lshlrev_b32_e32 v4, 1, v4
	v_and_b32_e32 v0, v0, v2
	s_delay_alu instid0(VALU_DEP_4) | instskip(SKIP_3) | instid1(VALU_DEP_4)
	v_xor_b32_e32 v2, vcc_lo, v3
	v_cmp_gt_i32_e32 vcc_lo, 0, v1
	v_ashrrev_i32_e32 v1, 31, v5
	v_add_lshl_u32 v3, v4, v17, 2
	v_and_b32_e32 v0, v0, v2
	s_delay_alu instid0(VALU_DEP_3) | instskip(SKIP_3) | instid1(VALU_DEP_1)
	v_xor_b32_e32 v1, vcc_lo, v1
	ds_load_b32 v31, v3 offset:8
	v_add_nc_u32_e32 v33, 8, v3
	; wave barrier
	v_and_b32_e32 v0, v0, v1
	v_mbcnt_lo_u32_b32 v32, v0, 0
	v_cmp_ne_u32_e64 s11, 0, v0
	s_delay_alu instid0(VALU_DEP_2) | instskip(NEXT) | instid1(VALU_DEP_2)
	v_cmp_eq_u32_e32 vcc_lo, 0, v32
	s_and_b32 s16, s11, vcc_lo
	s_delay_alu instid0(SALU_CYCLE_1)
	s_and_saveexec_b32 s11, s16
	s_cbranch_execz .LBB194_10
; %bb.9:                                ;   in Loop: Header=BB194_4 Depth=2
	s_waitcnt lgkmcnt(0)
	v_bcnt_u32_b32 v0, v0, v31
	ds_store_b32 v33, v0
.LBB194_10:                             ;   in Loop: Header=BB194_4 Depth=2
	s_or_b32 exec_lo, exec_lo, s11
	; wave barrier
	s_waitcnt lgkmcnt(0)
	s_barrier
	buffer_gl0_inv
	ds_load_2addr_b64 v[4:7], v13 offset0:1 offset1:2
	ds_load_2addr_b64 v[0:3], v16 offset0:2 offset1:3
	s_waitcnt lgkmcnt(1)
	v_add_nc_u32_e32 v34, v5, v4
	s_delay_alu instid0(VALU_DEP_1) | instskip(SKIP_1) | instid1(VALU_DEP_1)
	v_add3_u32 v34, v34, v6, v7
	s_waitcnt lgkmcnt(0)
	v_add3_u32 v34, v34, v0, v1
	s_delay_alu instid0(VALU_DEP_1) | instskip(NEXT) | instid1(VALU_DEP_1)
	v_add3_u32 v3, v34, v2, v3
	v_mov_b32_dpp v34, v3 row_shr:1 row_mask:0xf bank_mask:0xf
	s_delay_alu instid0(VALU_DEP_1) | instskip(NEXT) | instid1(VALU_DEP_1)
	v_cndmask_b32_e64 v34, v34, 0, s0
	v_add_nc_u32_e32 v3, v34, v3
	s_delay_alu instid0(VALU_DEP_1) | instskip(NEXT) | instid1(VALU_DEP_1)
	v_mov_b32_dpp v34, v3 row_shr:2 row_mask:0xf bank_mask:0xf
	v_cndmask_b32_e64 v34, 0, v34, s1
	s_delay_alu instid0(VALU_DEP_1) | instskip(NEXT) | instid1(VALU_DEP_1)
	v_add_nc_u32_e32 v3, v3, v34
	v_mov_b32_dpp v34, v3 row_shr:4 row_mask:0xf bank_mask:0xf
	s_delay_alu instid0(VALU_DEP_1) | instskip(NEXT) | instid1(VALU_DEP_1)
	v_cndmask_b32_e64 v34, 0, v34, s2
	v_add_nc_u32_e32 v3, v3, v34
	s_delay_alu instid0(VALU_DEP_1) | instskip(NEXT) | instid1(VALU_DEP_1)
	v_mov_b32_dpp v34, v3 row_shr:8 row_mask:0xf bank_mask:0xf
	v_cndmask_b32_e64 v34, 0, v34, s3
	s_delay_alu instid0(VALU_DEP_1) | instskip(SKIP_3) | instid1(VALU_DEP_1)
	v_add_nc_u32_e32 v3, v3, v34
	ds_swizzle_b32 v34, v3 offset:swizzle(BROADCAST,32,15)
	s_waitcnt lgkmcnt(0)
	v_cndmask_b32_e64 v34, v34, 0, s4
	v_add_nc_u32_e32 v3, v3, v34
	s_and_saveexec_b32 s11, s5
	s_cbranch_execz .LBB194_12
; %bb.11:                               ;   in Loop: Header=BB194_4 Depth=2
	ds_store_b32 v19, v3
.LBB194_12:                             ;   in Loop: Header=BB194_4 Depth=2
	s_or_b32 exec_lo, exec_lo, s11
	s_waitcnt lgkmcnt(0)
	s_barrier
	buffer_gl0_inv
	s_and_saveexec_b32 s11, s6
	s_cbranch_execz .LBB194_14
; %bb.13:                               ;   in Loop: Header=BB194_4 Depth=2
	ds_load_b32 v34, v22
	s_waitcnt lgkmcnt(0)
	v_mov_b32_dpp v35, v34 row_shr:1 row_mask:0xf bank_mask:0xf
	s_delay_alu instid0(VALU_DEP_1) | instskip(NEXT) | instid1(VALU_DEP_1)
	v_cndmask_b32_e64 v35, v35, 0, s10
	v_add_nc_u32_e32 v34, v35, v34
	ds_store_b32 v22, v34
.LBB194_14:                             ;   in Loop: Header=BB194_4 Depth=2
	s_or_b32 exec_lo, exec_lo, s11
	v_mov_b32_e32 v34, 0
	s_waitcnt lgkmcnt(0)
	s_barrier
	buffer_gl0_inv
	s_and_saveexec_b32 s11, s7
	s_cbranch_execz .LBB194_16
; %bb.15:                               ;   in Loop: Header=BB194_4 Depth=2
	ds_load_b32 v34, v20
.LBB194_16:                             ;   in Loop: Header=BB194_4 Depth=2
	s_or_b32 exec_lo, exec_lo, s11
	s_waitcnt lgkmcnt(0)
	v_add_nc_u32_e32 v3, v34, v3
	s_cmp_gt_u32 s14, 23
	ds_bpermute_b32 v3, v18, v3
	s_waitcnt lgkmcnt(0)
	v_cndmask_b32_e64 v3, v3, v34, s8
	s_delay_alu instid0(VALU_DEP_1) | instskip(NEXT) | instid1(VALU_DEP_1)
	v_cndmask_b32_e64 v3, v3, 0, s9
	v_add_nc_u32_e32 v4, v3, v4
	s_delay_alu instid0(VALU_DEP_1) | instskip(NEXT) | instid1(VALU_DEP_1)
	v_add_nc_u32_e32 v5, v4, v5
	v_add_nc_u32_e32 v6, v5, v6
	s_delay_alu instid0(VALU_DEP_1) | instskip(NEXT) | instid1(VALU_DEP_1)
	v_add_nc_u32_e32 v34, v6, v7
	;; [unrolled: 3-line block ×3, first 2 shown]
	v_add_nc_u32_e32 v1, v0, v2
	ds_store_2addr_b64 v13, v[3:4], v[5:6] offset0:1 offset1:2
	ds_store_2addr_b64 v16, v[34:35], v[0:1] offset0:2 offset1:3
	s_waitcnt lgkmcnt(0)
	s_barrier
	buffer_gl0_inv
	ds_load_b32 v0, v27
	ds_load_b32 v1, v30
	;; [unrolled: 1-line block ×3, first 2 shown]
	s_waitcnt lgkmcnt(2)
	v_add_nc_u32_e32 v5, v0, v26
	s_waitcnt lgkmcnt(1)
	v_add3_u32 v4, v29, v28, v1
	s_waitcnt lgkmcnt(0)
	v_add3_u32 v3, v32, v31, v2
	s_cbranch_scc0 .LBB194_3
; %bb.17:                               ;   in Loop: Header=BB194_2 Depth=1
                                        ; implicit-def: $vgpr2
                                        ; implicit-def: $vgpr1
                                        ; implicit-def: $sgpr14
	s_branch .LBB194_1
.LBB194_18:
	v_lshlrev_b32_e32 v0, 2, v8
	s_add_u32 s0, s18, s12
	s_addc_u32 s1, s19, s13
	s_clause 0x2
	global_store_b32 v0, v1, s[0:1]
	global_store_b32 v0, v2, s[0:1] offset:256
	global_store_b32 v0, v3, s[0:1] offset:512
	s_nop 0
	s_sendmsg sendmsg(MSG_DEALLOC_VGPRS)
	s_endpgm
	.section	.rodata,"a",@progbits
	.p2align	6, 0x0
	.amdhsa_kernel _Z16sort_keys_kernelI22helper_blocked_stripediLj64ELj3ELj10EEvPKT0_PS1_
		.amdhsa_group_segment_fixed_size 2064
		.amdhsa_private_segment_fixed_size 0
		.amdhsa_kernarg_size 272
		.amdhsa_user_sgpr_count 15
		.amdhsa_user_sgpr_dispatch_ptr 0
		.amdhsa_user_sgpr_queue_ptr 0
		.amdhsa_user_sgpr_kernarg_segment_ptr 1
		.amdhsa_user_sgpr_dispatch_id 0
		.amdhsa_user_sgpr_private_segment_size 0
		.amdhsa_wavefront_size32 1
		.amdhsa_uses_dynamic_stack 0
		.amdhsa_enable_private_segment 0
		.amdhsa_system_sgpr_workgroup_id_x 1
		.amdhsa_system_sgpr_workgroup_id_y 0
		.amdhsa_system_sgpr_workgroup_id_z 0
		.amdhsa_system_sgpr_workgroup_info 0
		.amdhsa_system_vgpr_workitem_id 2
		.amdhsa_next_free_vgpr 36
		.amdhsa_next_free_sgpr 20
		.amdhsa_reserve_vcc 1
		.amdhsa_float_round_mode_32 0
		.amdhsa_float_round_mode_16_64 0
		.amdhsa_float_denorm_mode_32 3
		.amdhsa_float_denorm_mode_16_64 3
		.amdhsa_dx10_clamp 1
		.amdhsa_ieee_mode 1
		.amdhsa_fp16_overflow 0
		.amdhsa_workgroup_processor_mode 1
		.amdhsa_memory_ordered 1
		.amdhsa_forward_progress 0
		.amdhsa_shared_vgpr_count 0
		.amdhsa_exception_fp_ieee_invalid_op 0
		.amdhsa_exception_fp_denorm_src 0
		.amdhsa_exception_fp_ieee_div_zero 0
		.amdhsa_exception_fp_ieee_overflow 0
		.amdhsa_exception_fp_ieee_underflow 0
		.amdhsa_exception_fp_ieee_inexact 0
		.amdhsa_exception_int_div_zero 0
	.end_amdhsa_kernel
	.section	.text._Z16sort_keys_kernelI22helper_blocked_stripediLj64ELj3ELj10EEvPKT0_PS1_,"axG",@progbits,_Z16sort_keys_kernelI22helper_blocked_stripediLj64ELj3ELj10EEvPKT0_PS1_,comdat
.Lfunc_end194:
	.size	_Z16sort_keys_kernelI22helper_blocked_stripediLj64ELj3ELj10EEvPKT0_PS1_, .Lfunc_end194-_Z16sort_keys_kernelI22helper_blocked_stripediLj64ELj3ELj10EEvPKT0_PS1_
                                        ; -- End function
	.section	.AMDGPU.csdata,"",@progbits
; Kernel info:
; codeLenInByte = 2296
; NumSgprs: 22
; NumVgprs: 36
; ScratchSize: 0
; MemoryBound: 0
; FloatMode: 240
; IeeeMode: 1
; LDSByteSize: 2064 bytes/workgroup (compile time only)
; SGPRBlocks: 2
; VGPRBlocks: 4
; NumSGPRsForWavesPerEU: 22
; NumVGPRsForWavesPerEU: 36
; Occupancy: 16
; WaveLimiterHint : 1
; COMPUTE_PGM_RSRC2:SCRATCH_EN: 0
; COMPUTE_PGM_RSRC2:USER_SGPR: 15
; COMPUTE_PGM_RSRC2:TRAP_HANDLER: 0
; COMPUTE_PGM_RSRC2:TGID_X_EN: 1
; COMPUTE_PGM_RSRC2:TGID_Y_EN: 0
; COMPUTE_PGM_RSRC2:TGID_Z_EN: 0
; COMPUTE_PGM_RSRC2:TIDIG_COMP_CNT: 2
	.section	.text._Z17sort_pairs_kernelI22helper_blocked_stripediLj64ELj3ELj10EEvPKT0_PS1_,"axG",@progbits,_Z17sort_pairs_kernelI22helper_blocked_stripediLj64ELj3ELj10EEvPKT0_PS1_,comdat
	.protected	_Z17sort_pairs_kernelI22helper_blocked_stripediLj64ELj3ELj10EEvPKT0_PS1_ ; -- Begin function _Z17sort_pairs_kernelI22helper_blocked_stripediLj64ELj3ELj10EEvPKT0_PS1_
	.globl	_Z17sort_pairs_kernelI22helper_blocked_stripediLj64ELj3ELj10EEvPKT0_PS1_
	.p2align	8
	.type	_Z17sort_pairs_kernelI22helper_blocked_stripediLj64ELj3ELj10EEvPKT0_PS1_,@function
_Z17sort_pairs_kernelI22helper_blocked_stripediLj64ELj3ELj10EEvPKT0_PS1_: ; @_Z17sort_pairs_kernelI22helper_blocked_stripediLj64ELj3ELj10EEvPKT0_PS1_
; %bb.0:
	s_clause 0x1
	s_load_b128 s[16:19], s[0:1], 0x0
	s_load_b32 s10, s[0:1], 0x1c
	s_mov_b32 s21, 0
	s_mul_i32 s20, s15, 0xc0
	v_mbcnt_lo_u32_b32 v6, -1, 0
	s_lshl_b64 s[12:13], s[20:21], 2
	s_mov_b32 s20, s21
	s_delay_alu instid0(SALU_CYCLE_1) | instskip(NEXT) | instid1(VALU_DEP_2)
	v_dual_mov_b32 v9, s20 :: v_dual_and_b32 v8, 0x3ff, v0
	v_add_nc_u32_e32 v11, -1, v6
	s_mov_b32 s14, s21
	s_mov_b32 s15, s21
	s_delay_alu instid0(VALU_DEP_2) | instskip(SKIP_3) | instid1(VALU_DEP_4)
	v_mul_u32_u24_e32 v1, 3, v8
	v_dual_mov_b32 v10, s21 :: v_dual_and_b32 v5, 15, v6
	v_and_b32_e32 v7, 16, v6
	v_lshrrev_b32_e32 v17, 5, v8
	v_lshlrev_b32_e32 v1, 2, v1
	v_cmp_gt_i32_e32 vcc_lo, 0, v11
	v_bfe_u32 v4, v0, 10, 10
	s_waitcnt lgkmcnt(0)
	s_add_u32 s0, s16, s12
	s_addc_u32 s1, s17, s13
	v_bfe_u32 v0, v0, 20, 10
	global_load_b96 v[1:3], v1, s[0:1]
	v_cmp_eq_u32_e64 s1, 0, v5
	v_cmp_lt_u32_e64 s2, 1, v5
	v_cmp_lt_u32_e64 s3, 3, v5
	;; [unrolled: 1-line block ×3, first 2 shown]
	v_cmp_eq_u32_e64 s5, 0, v7
	v_and_b32_e32 v5, 32, v8
	v_cndmask_b32_e32 v7, v11, v6, vcc_lo
	v_mul_u32_u24_e32 v11, 0x60, v17
	s_lshr_b32 s11, s10, 16
	v_lshlrev_b32_e32 v17, 2, v17
	v_and_b32_e32 v12, 1, v6
	v_mad_u32_u24 v0, v0, s11, v4
	s_and_b32 s10, s10, 0xffff
	v_lshlrev_b32_e32 v13, 5, v8
	v_add_nc_u32_e32 v18, -4, v17
	v_lshlrev_b32_e32 v16, 2, v7
	v_mul_u32_u24_e32 v7, 3, v5
	v_cmp_eq_u32_e64 s9, 0, v12
	v_or_b32_e32 v12, 31, v5
	v_mad_u64_u32 v[4:5], null, v0, s10, v[8:9]
	v_lshlrev_b32_e32 v19, 2, v11
	v_or_b32_e32 v0, v6, v11
	v_or_b32_e32 v5, v6, v7
	v_cmp_eq_u32_e64 s10, v12, v8
	v_mov_b32_e32 v11, s14
	v_cmp_eq_u32_e64 s0, 0, v6
	v_cmp_gt_u32_e64 s6, 2, v8
	v_cmp_lt_u32_e64 s7, 31, v8
	v_cmp_eq_u32_e64 s8, 0, v8
	v_mul_i32_i24_e32 v14, 0xffffffe4, v8
	v_or_b32_e32 v15, 8, v13
	v_mad_u32_u24 v19, v6, 12, v19
	v_lshlrev_b32_e32 v20, 2, v0
	v_lshlrev_b32_e32 v21, 2, v5
	v_lshrrev_b32_e32 v22, 5, v4
	v_mov_b32_e32 v12, s15
	s_waitcnt vmcnt(0)
	v_add_nc_u32_e32 v4, 1, v1
	v_add_nc_u32_e32 v5, 1, v2
	;; [unrolled: 1-line block ×3, first 2 shown]
	s_branch .LBB195_2
.LBB195_1:                              ;   in Loop: Header=BB195_2 Depth=1
	v_lshlrev_b32_e32 v0, 2, v29
	s_delay_alu instid0(VALU_DEP_2)
	v_lshlrev_b32_e32 v4, 2, v5
	v_add_nc_u32_e32 v6, v13, v14
	v_lshlrev_b32_e32 v3, 2, v7
	s_barrier
	buffer_gl0_inv
	ds_store_b32 v0, v23
	ds_store_b32 v3, v28
	;; [unrolled: 1-line block ×3, first 2 shown]
	s_waitcnt lgkmcnt(0)
	s_barrier
	buffer_gl0_inv
	ds_load_2addr_stride64_b32 v[1:2], v6 offset1:1
	ds_load_b32 v23, v6 offset:512
	s_waitcnt lgkmcnt(0)
	s_barrier
	buffer_gl0_inv
	ds_store_b32 v0, v26
	ds_store_b32 v3, v25
	;; [unrolled: 1-line block ×3, first 2 shown]
	s_waitcnt lgkmcnt(0)
	s_barrier
	buffer_gl0_inv
	ds_load_2addr_stride64_b32 v[4:5], v6 offset1:1
	ds_load_b32 v7, v6 offset:512
	s_add_i32 s21, s21, 1
	s_delay_alu instid0(SALU_CYCLE_1)
	s_cmp_eq_u32 s21, 10
	v_xor_b32_e32 v1, 0x80000000, v1
	v_xor_b32_e32 v2, 0x80000000, v2
	;; [unrolled: 1-line block ×3, first 2 shown]
	s_cbranch_scc1 .LBB195_18
.LBB195_2:                              ; =>This Loop Header: Depth=1
                                        ;     Child Loop BB195_4 Depth 2
	s_delay_alu instid0(VALU_DEP_3) | instskip(NEXT) | instid1(VALU_DEP_3)
	v_xor_b32_e32 v0, 0x80000000, v1
	v_xor_b32_e32 v1, 0x80000000, v2
	s_delay_alu instid0(VALU_DEP_3)
	v_xor_b32_e32 v2, 0x80000000, v3
	s_mov_b32 s14, 0
	ds_store_2addr_b32 v19, v0, v1 offset1:1
	ds_store_b32 v19, v2 offset:8
	; wave barrier
	ds_load_2addr_b32 v[0:1], v20 offset1:32
	ds_load_b32 v6, v20 offset:256
	; wave barrier
	s_waitcnt lgkmcnt(5)
	ds_store_2addr_b32 v19, v4, v5 offset1:1
	s_waitcnt lgkmcnt(5)
	ds_store_b32 v19, v7 offset:8
	; wave barrier
	ds_load_2addr_b32 v[2:3], v20 offset1:32
	ds_load_b32 v4, v20 offset:256
	s_waitcnt lgkmcnt(0)
	s_barrier
	s_branch .LBB195_4
.LBB195_3:                              ;   in Loop: Header=BB195_4 Depth=2
	v_lshlrev_b32_e32 v2, 2, v29
	v_lshlrev_b32_e32 v3, 2, v7
	s_delay_alu instid0(VALU_DEP_3)
	v_lshlrev_b32_e32 v4, 2, v5
	s_barrier
	buffer_gl0_inv
	ds_store_b32 v2, v23
	ds_store_b32 v3, v28
	;; [unrolled: 1-line block ×3, first 2 shown]
	s_waitcnt lgkmcnt(0)
	s_barrier
	buffer_gl0_inv
	ds_load_2addr_b32 v[0:1], v21 offset1:32
	ds_load_b32 v6, v21 offset:256
	s_waitcnt lgkmcnt(0)
	s_barrier
	buffer_gl0_inv
	ds_store_b32 v2, v26
	ds_store_b32 v3, v25
	;; [unrolled: 1-line block ×3, first 2 shown]
	s_waitcnt lgkmcnt(0)
	s_barrier
	buffer_gl0_inv
	ds_load_2addr_b32 v[2:3], v21 offset1:32
	ds_load_b32 v4, v21 offset:256
	s_add_i32 s14, s14, 8
	s_waitcnt lgkmcnt(0)
	s_barrier
	s_cbranch_execz .LBB195_1
.LBB195_4:                              ;   Parent Loop BB195_2 Depth=1
                                        ; =>  This Inner Loop Header: Depth=2
	v_mov_b32_e32 v23, v0
	buffer_gl0_inv
	ds_store_2addr_b64 v13, v[9:10], v[11:12] offset0:1 offset1:2
	ds_store_2addr_b64 v15, v[9:10], v[11:12] offset0:2 offset1:3
	s_waitcnt lgkmcnt(0)
	s_barrier
	v_lshrrev_b32_e32 v5, s14, v23
	buffer_gl0_inv
	; wave barrier
	v_lshlrev_b32_e32 v24, 30, v5
	v_bfe_u32 v0, v23, s14, 1
	v_lshlrev_b32_e32 v25, 29, v5
	v_lshlrev_b32_e32 v26, 28, v5
	;; [unrolled: 1-line block ×4, first 2 shown]
	v_add_co_u32 v0, s11, v0, -1
	s_delay_alu instid0(VALU_DEP_1) | instskip(SKIP_3) | instid1(VALU_DEP_4)
	v_cndmask_b32_e64 v7, 0, 1, s11
	v_cmp_gt_i32_e64 s11, 0, v24
	v_lshlrev_b32_e32 v29, 25, v5
	v_lshlrev_b32_e32 v5, 24, v5
	v_cmp_ne_u32_e32 vcc_lo, 0, v7
	v_not_b32_e32 v7, v24
	v_not_b32_e32 v24, v25
	v_xor_b32_e32 v0, vcc_lo, v0
	s_delay_alu instid0(VALU_DEP_3)
	v_ashrrev_i32_e32 v7, 31, v7
	v_cmp_gt_i32_e32 vcc_lo, 0, v25
	v_not_b32_e32 v25, v26
	v_ashrrev_i32_e32 v24, 31, v24
	v_and_b32_e32 v0, exec_lo, v0
	v_xor_b32_e32 v7, s11, v7
	v_cmp_gt_i32_e64 s11, 0, v26
	v_not_b32_e32 v26, v27
	v_ashrrev_i32_e32 v25, 31, v25
	v_xor_b32_e32 v24, vcc_lo, v24
	v_and_b32_e32 v0, v0, v7
	v_cmp_gt_i32_e32 vcc_lo, 0, v27
	v_ashrrev_i32_e32 v26, 31, v26
	v_xor_b32_e32 v25, s11, v25
	v_not_b32_e32 v7, v28
	v_and_b32_e32 v0, v0, v24
	v_cmp_gt_i32_e64 s11, 0, v28
	v_xor_b32_e32 v26, vcc_lo, v26
	v_mov_b32_e32 v28, v1
	v_ashrrev_i32_e32 v7, 31, v7
	v_and_b32_e32 v0, v0, v25
	v_not_b32_e32 v25, v5
	v_bfe_u32 v1, v23, s14, 8
	v_mov_b32_e32 v27, v6
	v_xor_b32_e32 v7, s11, v7
	v_and_b32_e32 v0, v0, v26
	v_mov_b32_e32 v26, v2
	v_not_b32_e32 v24, v29
	v_cmp_gt_i32_e32 vcc_lo, 0, v29
	v_cmp_gt_i32_e64 s11, 0, v5
	v_ashrrev_i32_e32 v5, 31, v25
	v_and_b32_e32 v0, v0, v7
	v_ashrrev_i32_e32 v24, 31, v24
	v_lshl_add_u32 v1, v1, 1, v22
	v_mov_b32_e32 v25, v3
	v_xor_b32_e32 v5, s11, v5
	s_delay_alu instid0(VALU_DEP_4) | instskip(NEXT) | instid1(VALU_DEP_4)
	v_xor_b32_e32 v24, vcc_lo, v24
	v_lshl_add_u32 v30, v1, 2, 8
	s_delay_alu instid0(VALU_DEP_2) | instskip(SKIP_1) | instid1(VALU_DEP_2)
	v_and_b32_e32 v0, v0, v24
	v_mov_b32_e32 v24, v4
	v_and_b32_e32 v0, v0, v5
	s_delay_alu instid0(VALU_DEP_1) | instskip(SKIP_1) | instid1(VALU_DEP_2)
	v_mbcnt_lo_u32_b32 v29, v0, 0
	v_cmp_ne_u32_e64 s11, 0, v0
	v_cmp_eq_u32_e32 vcc_lo, 0, v29
	s_delay_alu instid0(VALU_DEP_2) | instskip(NEXT) | instid1(SALU_CYCLE_1)
	s_and_b32 s15, s11, vcc_lo
	s_and_saveexec_b32 s11, s15
	s_cbranch_execz .LBB195_6
; %bb.5:                                ;   in Loop: Header=BB195_4 Depth=2
	v_bcnt_u32_b32 v0, v0, 0
	ds_store_b32 v30, v0
.LBB195_6:                              ;   in Loop: Header=BB195_4 Depth=2
	s_or_b32 exec_lo, exec_lo, s11
	v_bfe_u32 v0, v28, s14, 1
	v_lshrrev_b32_e32 v1, s14, v28
	; wave barrier
	s_delay_alu instid0(VALU_DEP_2) | instskip(NEXT) | instid1(VALU_DEP_1)
	v_add_co_u32 v0, s11, v0, -1
	v_cndmask_b32_e64 v2, 0, 1, s11
	s_delay_alu instid0(VALU_DEP_3)
	v_lshlrev_b32_e32 v3, 30, v1
	v_lshlrev_b32_e32 v4, 29, v1
	;; [unrolled: 1-line block ×4, first 2 shown]
	v_cmp_ne_u32_e32 vcc_lo, 0, v2
	v_not_b32_e32 v2, v3
	v_cmp_gt_i32_e64 s11, 0, v3
	v_not_b32_e32 v3, v4
	v_lshlrev_b32_e32 v7, 26, v1
	v_xor_b32_e32 v0, vcc_lo, v0
	v_ashrrev_i32_e32 v2, 31, v2
	v_cmp_gt_i32_e32 vcc_lo, 0, v4
	v_not_b32_e32 v4, v5
	v_ashrrev_i32_e32 v3, 31, v3
	v_and_b32_e32 v0, exec_lo, v0
	v_xor_b32_e32 v2, s11, v2
	v_cmp_gt_i32_e64 s11, 0, v5
	v_not_b32_e32 v5, v6
	v_ashrrev_i32_e32 v4, 31, v4
	v_xor_b32_e32 v3, vcc_lo, v3
	v_and_b32_e32 v0, v0, v2
	v_cmp_gt_i32_e32 vcc_lo, 0, v6
	v_not_b32_e32 v2, v7
	v_ashrrev_i32_e32 v5, 31, v5
	v_xor_b32_e32 v4, s11, v4
	v_and_b32_e32 v0, v0, v3
	v_lshlrev_b32_e32 v3, 25, v1
	v_cmp_gt_i32_e64 s11, 0, v7
	v_ashrrev_i32_e32 v2, 31, v2
	v_xor_b32_e32 v5, vcc_lo, v5
	v_and_b32_e32 v0, v0, v4
	v_not_b32_e32 v6, v3
	v_lshlrev_b32_e32 v1, 24, v1
	v_bfe_u32 v4, v28, s14, 8
	v_xor_b32_e32 v2, s11, v2
	v_and_b32_e32 v0, v0, v5
	v_cmp_gt_i32_e32 vcc_lo, 0, v3
	v_ashrrev_i32_e32 v3, 31, v6
	v_not_b32_e32 v5, v1
	v_lshlrev_b32_e32 v4, 1, v4
	v_and_b32_e32 v0, v0, v2
	s_delay_alu instid0(VALU_DEP_4) | instskip(SKIP_3) | instid1(VALU_DEP_4)
	v_xor_b32_e32 v2, vcc_lo, v3
	v_cmp_gt_i32_e32 vcc_lo, 0, v1
	v_ashrrev_i32_e32 v1, 31, v5
	v_add_lshl_u32 v3, v4, v22, 2
	v_and_b32_e32 v0, v0, v2
	s_delay_alu instid0(VALU_DEP_3) | instskip(SKIP_3) | instid1(VALU_DEP_1)
	v_xor_b32_e32 v1, vcc_lo, v1
	ds_load_b32 v31, v3 offset:8
	v_add_nc_u32_e32 v33, 8, v3
	; wave barrier
	v_and_b32_e32 v0, v0, v1
	v_mbcnt_lo_u32_b32 v32, v0, 0
	v_cmp_ne_u32_e64 s11, 0, v0
	s_delay_alu instid0(VALU_DEP_2) | instskip(NEXT) | instid1(VALU_DEP_2)
	v_cmp_eq_u32_e32 vcc_lo, 0, v32
	s_and_b32 s15, s11, vcc_lo
	s_delay_alu instid0(SALU_CYCLE_1)
	s_and_saveexec_b32 s11, s15
	s_cbranch_execz .LBB195_8
; %bb.7:                                ;   in Loop: Header=BB195_4 Depth=2
	s_waitcnt lgkmcnt(0)
	v_bcnt_u32_b32 v0, v0, v31
	ds_store_b32 v33, v0
.LBB195_8:                              ;   in Loop: Header=BB195_4 Depth=2
	s_or_b32 exec_lo, exec_lo, s11
	v_bfe_u32 v0, v27, s14, 1
	v_lshrrev_b32_e32 v1, s14, v27
	; wave barrier
	s_delay_alu instid0(VALU_DEP_2) | instskip(NEXT) | instid1(VALU_DEP_1)
	v_add_co_u32 v0, s11, v0, -1
	v_cndmask_b32_e64 v2, 0, 1, s11
	s_delay_alu instid0(VALU_DEP_3)
	v_lshlrev_b32_e32 v3, 30, v1
	v_lshlrev_b32_e32 v4, 29, v1
	;; [unrolled: 1-line block ×4, first 2 shown]
	v_cmp_ne_u32_e32 vcc_lo, 0, v2
	v_not_b32_e32 v2, v3
	v_cmp_gt_i32_e64 s11, 0, v3
	v_not_b32_e32 v3, v4
	v_lshlrev_b32_e32 v7, 26, v1
	v_xor_b32_e32 v0, vcc_lo, v0
	v_ashrrev_i32_e32 v2, 31, v2
	v_cmp_gt_i32_e32 vcc_lo, 0, v4
	v_not_b32_e32 v4, v5
	v_ashrrev_i32_e32 v3, 31, v3
	v_and_b32_e32 v0, exec_lo, v0
	v_xor_b32_e32 v2, s11, v2
	v_cmp_gt_i32_e64 s11, 0, v5
	v_not_b32_e32 v5, v6
	v_ashrrev_i32_e32 v4, 31, v4
	v_xor_b32_e32 v3, vcc_lo, v3
	v_and_b32_e32 v0, v0, v2
	v_cmp_gt_i32_e32 vcc_lo, 0, v6
	v_not_b32_e32 v2, v7
	v_ashrrev_i32_e32 v5, 31, v5
	v_xor_b32_e32 v4, s11, v4
	v_and_b32_e32 v0, v0, v3
	v_lshlrev_b32_e32 v3, 25, v1
	v_cmp_gt_i32_e64 s11, 0, v7
	v_ashrrev_i32_e32 v2, 31, v2
	v_xor_b32_e32 v5, vcc_lo, v5
	v_and_b32_e32 v0, v0, v4
	v_not_b32_e32 v6, v3
	v_lshlrev_b32_e32 v1, 24, v1
	v_bfe_u32 v4, v27, s14, 8
	v_xor_b32_e32 v2, s11, v2
	v_and_b32_e32 v0, v0, v5
	v_cmp_gt_i32_e32 vcc_lo, 0, v3
	v_ashrrev_i32_e32 v3, 31, v6
	v_not_b32_e32 v5, v1
	v_lshlrev_b32_e32 v4, 1, v4
	v_and_b32_e32 v0, v0, v2
	s_delay_alu instid0(VALU_DEP_4) | instskip(SKIP_3) | instid1(VALU_DEP_4)
	v_xor_b32_e32 v2, vcc_lo, v3
	v_cmp_gt_i32_e32 vcc_lo, 0, v1
	v_ashrrev_i32_e32 v1, 31, v5
	v_add_lshl_u32 v3, v4, v22, 2
	v_and_b32_e32 v0, v0, v2
	s_delay_alu instid0(VALU_DEP_3) | instskip(SKIP_3) | instid1(VALU_DEP_1)
	v_xor_b32_e32 v1, vcc_lo, v1
	ds_load_b32 v34, v3 offset:8
	v_add_nc_u32_e32 v36, 8, v3
	; wave barrier
	v_and_b32_e32 v0, v0, v1
	v_mbcnt_lo_u32_b32 v35, v0, 0
	v_cmp_ne_u32_e64 s11, 0, v0
	s_delay_alu instid0(VALU_DEP_2) | instskip(NEXT) | instid1(VALU_DEP_2)
	v_cmp_eq_u32_e32 vcc_lo, 0, v35
	s_and_b32 s15, s11, vcc_lo
	s_delay_alu instid0(SALU_CYCLE_1)
	s_and_saveexec_b32 s11, s15
	s_cbranch_execz .LBB195_10
; %bb.9:                                ;   in Loop: Header=BB195_4 Depth=2
	s_waitcnt lgkmcnt(0)
	v_bcnt_u32_b32 v0, v0, v34
	ds_store_b32 v36, v0
.LBB195_10:                             ;   in Loop: Header=BB195_4 Depth=2
	s_or_b32 exec_lo, exec_lo, s11
	; wave barrier
	s_waitcnt lgkmcnt(0)
	s_barrier
	buffer_gl0_inv
	ds_load_2addr_b64 v[4:7], v13 offset0:1 offset1:2
	ds_load_2addr_b64 v[0:3], v15 offset0:2 offset1:3
	s_waitcnt lgkmcnt(1)
	v_add_nc_u32_e32 v37, v5, v4
	s_delay_alu instid0(VALU_DEP_1) | instskip(SKIP_1) | instid1(VALU_DEP_1)
	v_add3_u32 v37, v37, v6, v7
	s_waitcnt lgkmcnt(0)
	v_add3_u32 v37, v37, v0, v1
	s_delay_alu instid0(VALU_DEP_1) | instskip(NEXT) | instid1(VALU_DEP_1)
	v_add3_u32 v3, v37, v2, v3
	v_mov_b32_dpp v37, v3 row_shr:1 row_mask:0xf bank_mask:0xf
	s_delay_alu instid0(VALU_DEP_1) | instskip(NEXT) | instid1(VALU_DEP_1)
	v_cndmask_b32_e64 v37, v37, 0, s1
	v_add_nc_u32_e32 v3, v37, v3
	s_delay_alu instid0(VALU_DEP_1) | instskip(NEXT) | instid1(VALU_DEP_1)
	v_mov_b32_dpp v37, v3 row_shr:2 row_mask:0xf bank_mask:0xf
	v_cndmask_b32_e64 v37, 0, v37, s2
	s_delay_alu instid0(VALU_DEP_1) | instskip(NEXT) | instid1(VALU_DEP_1)
	v_add_nc_u32_e32 v3, v3, v37
	v_mov_b32_dpp v37, v3 row_shr:4 row_mask:0xf bank_mask:0xf
	s_delay_alu instid0(VALU_DEP_1) | instskip(NEXT) | instid1(VALU_DEP_1)
	v_cndmask_b32_e64 v37, 0, v37, s3
	v_add_nc_u32_e32 v3, v3, v37
	s_delay_alu instid0(VALU_DEP_1) | instskip(NEXT) | instid1(VALU_DEP_1)
	v_mov_b32_dpp v37, v3 row_shr:8 row_mask:0xf bank_mask:0xf
	v_cndmask_b32_e64 v37, 0, v37, s4
	s_delay_alu instid0(VALU_DEP_1) | instskip(SKIP_3) | instid1(VALU_DEP_1)
	v_add_nc_u32_e32 v3, v3, v37
	ds_swizzle_b32 v37, v3 offset:swizzle(BROADCAST,32,15)
	s_waitcnt lgkmcnt(0)
	v_cndmask_b32_e64 v37, v37, 0, s5
	v_add_nc_u32_e32 v3, v3, v37
	s_and_saveexec_b32 s11, s10
	s_cbranch_execz .LBB195_12
; %bb.11:                               ;   in Loop: Header=BB195_4 Depth=2
	ds_store_b32 v17, v3
.LBB195_12:                             ;   in Loop: Header=BB195_4 Depth=2
	s_or_b32 exec_lo, exec_lo, s11
	s_waitcnt lgkmcnt(0)
	s_barrier
	buffer_gl0_inv
	s_and_saveexec_b32 s11, s6
	s_cbranch_execz .LBB195_14
; %bb.13:                               ;   in Loop: Header=BB195_4 Depth=2
	v_add_nc_u32_e32 v37, v13, v14
	ds_load_b32 v38, v37
	s_waitcnt lgkmcnt(0)
	v_mov_b32_dpp v39, v38 row_shr:1 row_mask:0xf bank_mask:0xf
	s_delay_alu instid0(VALU_DEP_1) | instskip(NEXT) | instid1(VALU_DEP_1)
	v_cndmask_b32_e64 v39, v39, 0, s9
	v_add_nc_u32_e32 v38, v39, v38
	ds_store_b32 v37, v38
.LBB195_14:                             ;   in Loop: Header=BB195_4 Depth=2
	s_or_b32 exec_lo, exec_lo, s11
	v_mov_b32_e32 v37, 0
	s_waitcnt lgkmcnt(0)
	s_barrier
	buffer_gl0_inv
	s_and_saveexec_b32 s11, s7
	s_cbranch_execz .LBB195_16
; %bb.15:                               ;   in Loop: Header=BB195_4 Depth=2
	ds_load_b32 v37, v18
.LBB195_16:                             ;   in Loop: Header=BB195_4 Depth=2
	s_or_b32 exec_lo, exec_lo, s11
	s_waitcnt lgkmcnt(0)
	v_add_nc_u32_e32 v3, v37, v3
	s_cmp_gt_u32 s14, 23
	ds_bpermute_b32 v3, v16, v3
	s_waitcnt lgkmcnt(0)
	v_cndmask_b32_e64 v3, v3, v37, s0
	s_delay_alu instid0(VALU_DEP_1) | instskip(NEXT) | instid1(VALU_DEP_1)
	v_cndmask_b32_e64 v3, v3, 0, s8
	v_add_nc_u32_e32 v4, v3, v4
	s_delay_alu instid0(VALU_DEP_1) | instskip(NEXT) | instid1(VALU_DEP_1)
	v_add_nc_u32_e32 v5, v4, v5
	v_add_nc_u32_e32 v6, v5, v6
	s_delay_alu instid0(VALU_DEP_1) | instskip(NEXT) | instid1(VALU_DEP_1)
	v_add_nc_u32_e32 v37, v6, v7
	;; [unrolled: 3-line block ×3, first 2 shown]
	v_add_nc_u32_e32 v1, v0, v2
	ds_store_2addr_b64 v13, v[3:4], v[5:6] offset0:1 offset1:2
	ds_store_2addr_b64 v15, v[37:38], v[0:1] offset0:2 offset1:3
	s_waitcnt lgkmcnt(0)
	s_barrier
	buffer_gl0_inv
	ds_load_b32 v0, v30
	ds_load_b32 v1, v33
	;; [unrolled: 1-line block ×3, first 2 shown]
	s_waitcnt lgkmcnt(2)
	v_add_nc_u32_e32 v29, v0, v29
	s_waitcnt lgkmcnt(1)
	v_add3_u32 v7, v32, v31, v1
	s_waitcnt lgkmcnt(0)
	v_add3_u32 v5, v35, v34, v2
	s_cbranch_scc0 .LBB195_3
; %bb.17:                               ;   in Loop: Header=BB195_2 Depth=1
                                        ; implicit-def: $vgpr6
                                        ; implicit-def: $vgpr1
                                        ; implicit-def: $vgpr4
                                        ; implicit-def: $vgpr3
                                        ; implicit-def: $sgpr14
	s_branch .LBB195_1
.LBB195_18:
	s_waitcnt lgkmcnt(1)
	v_add_nc_u32_e32 v0, v1, v4
	v_add_nc_u32_e32 v1, v2, v5
	v_lshlrev_b32_e32 v2, 2, v8
	s_waitcnt lgkmcnt(0)
	v_add_nc_u32_e32 v3, v3, v7
	s_add_u32 s0, s18, s12
	s_addc_u32 s1, s19, s13
	s_clause 0x2
	global_store_b32 v2, v0, s[0:1]
	global_store_b32 v2, v1, s[0:1] offset:256
	global_store_b32 v2, v3, s[0:1] offset:512
	s_nop 0
	s_sendmsg sendmsg(MSG_DEALLOC_VGPRS)
	s_endpgm
	.section	.rodata,"a",@progbits
	.p2align	6, 0x0
	.amdhsa_kernel _Z17sort_pairs_kernelI22helper_blocked_stripediLj64ELj3ELj10EEvPKT0_PS1_
		.amdhsa_group_segment_fixed_size 2064
		.amdhsa_private_segment_fixed_size 0
		.amdhsa_kernarg_size 272
		.amdhsa_user_sgpr_count 15
		.amdhsa_user_sgpr_dispatch_ptr 0
		.amdhsa_user_sgpr_queue_ptr 0
		.amdhsa_user_sgpr_kernarg_segment_ptr 1
		.amdhsa_user_sgpr_dispatch_id 0
		.amdhsa_user_sgpr_private_segment_size 0
		.amdhsa_wavefront_size32 1
		.amdhsa_uses_dynamic_stack 0
		.amdhsa_enable_private_segment 0
		.amdhsa_system_sgpr_workgroup_id_x 1
		.amdhsa_system_sgpr_workgroup_id_y 0
		.amdhsa_system_sgpr_workgroup_id_z 0
		.amdhsa_system_sgpr_workgroup_info 0
		.amdhsa_system_vgpr_workitem_id 2
		.amdhsa_next_free_vgpr 40
		.amdhsa_next_free_sgpr 22
		.amdhsa_reserve_vcc 1
		.amdhsa_float_round_mode_32 0
		.amdhsa_float_round_mode_16_64 0
		.amdhsa_float_denorm_mode_32 3
		.amdhsa_float_denorm_mode_16_64 3
		.amdhsa_dx10_clamp 1
		.amdhsa_ieee_mode 1
		.amdhsa_fp16_overflow 0
		.amdhsa_workgroup_processor_mode 1
		.amdhsa_memory_ordered 1
		.amdhsa_forward_progress 0
		.amdhsa_shared_vgpr_count 0
		.amdhsa_exception_fp_ieee_invalid_op 0
		.amdhsa_exception_fp_denorm_src 0
		.amdhsa_exception_fp_ieee_div_zero 0
		.amdhsa_exception_fp_ieee_overflow 0
		.amdhsa_exception_fp_ieee_underflow 0
		.amdhsa_exception_fp_ieee_inexact 0
		.amdhsa_exception_int_div_zero 0
	.end_amdhsa_kernel
	.section	.text._Z17sort_pairs_kernelI22helper_blocked_stripediLj64ELj3ELj10EEvPKT0_PS1_,"axG",@progbits,_Z17sort_pairs_kernelI22helper_blocked_stripediLj64ELj3ELj10EEvPKT0_PS1_,comdat
.Lfunc_end195:
	.size	_Z17sort_pairs_kernelI22helper_blocked_stripediLj64ELj3ELj10EEvPKT0_PS1_, .Lfunc_end195-_Z17sort_pairs_kernelI22helper_blocked_stripediLj64ELj3ELj10EEvPKT0_PS1_
                                        ; -- End function
	.section	.AMDGPU.csdata,"",@progbits
; Kernel info:
; codeLenInByte = 2512
; NumSgprs: 24
; NumVgprs: 40
; ScratchSize: 0
; MemoryBound: 0
; FloatMode: 240
; IeeeMode: 1
; LDSByteSize: 2064 bytes/workgroup (compile time only)
; SGPRBlocks: 2
; VGPRBlocks: 4
; NumSGPRsForWavesPerEU: 24
; NumVGPRsForWavesPerEU: 40
; Occupancy: 16
; WaveLimiterHint : 1
; COMPUTE_PGM_RSRC2:SCRATCH_EN: 0
; COMPUTE_PGM_RSRC2:USER_SGPR: 15
; COMPUTE_PGM_RSRC2:TRAP_HANDLER: 0
; COMPUTE_PGM_RSRC2:TGID_X_EN: 1
; COMPUTE_PGM_RSRC2:TGID_Y_EN: 0
; COMPUTE_PGM_RSRC2:TGID_Z_EN: 0
; COMPUTE_PGM_RSRC2:TIDIG_COMP_CNT: 2
	.section	.text._Z16sort_keys_kernelI22helper_blocked_stripediLj64ELj4ELj10EEvPKT0_PS1_,"axG",@progbits,_Z16sort_keys_kernelI22helper_blocked_stripediLj64ELj4ELj10EEvPKT0_PS1_,comdat
	.protected	_Z16sort_keys_kernelI22helper_blocked_stripediLj64ELj4ELj10EEvPKT0_PS1_ ; -- Begin function _Z16sort_keys_kernelI22helper_blocked_stripediLj64ELj4ELj10EEvPKT0_PS1_
	.globl	_Z16sort_keys_kernelI22helper_blocked_stripediLj64ELj4ELj10EEvPKT0_PS1_
	.p2align	8
	.type	_Z16sort_keys_kernelI22helper_blocked_stripediLj64ELj4ELj10EEvPKT0_PS1_,@function
_Z16sort_keys_kernelI22helper_blocked_stripediLj64ELj4ELj10EEvPKT0_PS1_: ; @_Z16sort_keys_kernelI22helper_blocked_stripediLj64ELj4ELj10EEvPKT0_PS1_
; %bb.0:
	s_clause 0x1
	s_load_b128 s[16:19], s[0:1], 0x0
	s_load_b32 s2, s[0:1], 0x1c
	s_lshl_b32 s14, s15, 8
	s_mov_b32 s15, 0
	v_mbcnt_lo_u32_b32 v8, -1, 0
	s_lshl_b64 s[20:21], s[14:15], 2
	s_mov_b32 s14, s15
	v_and_b32_e32 v5, 0x3ff, v0
	v_bfe_u32 v6, v0, 10, 10
	v_bfe_u32 v0, v0, 20, 10
	v_and_b32_e32 v13, 28, v8
	v_cmp_eq_u32_e64 s11, 0, v8
	v_lshlrev_b32_e32 v1, 4, v5
	v_lshlrev_b32_e32 v12, 2, v5
	s_delay_alu instid0(VALU_DEP_4)
	v_or_b32_e32 v15, 32, v13
	v_or_b32_e32 v16, 64, v13
	;; [unrolled: 1-line block ×3, first 2 shown]
	s_waitcnt lgkmcnt(0)
	s_add_u32 s0, s16, s20
	s_addc_u32 s1, s17, s21
	s_mov_b32 s16, s15
	global_load_b128 v[1:4], v1, s[0:1]
	s_lshr_b32 s1, s2, 16
	s_and_b32 s2, s2, 0xffff
	v_mad_u32_u24 v0, v0, s1, v6
	s_mov_b32 s17, s15
	v_dual_mov_b32 v10, s16 :: v_dual_and_b32 v9, 3, v8
	v_mov_b32_e32 v11, s17
	s_delay_alu instid0(VALU_DEP_3)
	v_mad_u64_u32 v[6:7], null, v0, s2, v[5:6]
	v_add_nc_u32_e32 v7, -1, v8
	v_and_b32_e32 v0, 15, v8
	v_cmp_eq_u32_e64 s0, 3, v9
	v_cmp_eq_u32_e64 s1, 2, v9
	;; [unrolled: 1-line block ×3, first 2 shown]
	v_cmp_gt_i32_e32 vcc_lo, 0, v7
	v_lshrrev_b32_e32 v19, 5, v6
	v_and_b32_e32 v6, 16, v8
	v_cmp_eq_u32_e64 s3, 0, v0
	v_cmp_lt_u32_e64 s4, 1, v0
	v_cmp_lt_u32_e64 s5, 3, v0
	v_or_b32_e32 v9, 31, v5
	v_cmp_lt_u32_e64 s6, 7, v0
	v_cmp_eq_u32_e64 s7, 0, v6
	v_cndmask_b32_e32 v0, v7, v8, vcc_lo
	v_lshrrev_b32_e32 v6, 3, v5
	v_cmp_eq_u32_e64 s8, v9, v5
	s_delay_alu instid0(VALU_DEP_3) | instskip(SKIP_1) | instid1(VALU_DEP_4)
	v_lshlrev_b32_e32 v20, 2, v0
	v_and_b32_e32 v0, 1, v8
	v_and_b32_e32 v21, 4, v6
	v_and_or_b32 v6, 0x80, v12, v8
	v_mov_b32_e32 v8, s14
	v_lshlrev_b32_e32 v14, 5, v5
	v_cmp_gt_u32_e64 s9, 2, v5
	v_cmp_lt_u32_e64 s10, 31, v5
	v_cmp_eq_u32_e64 s12, 0, v5
	v_mul_i32_i24_e32 v22, 0xffffffe4, v5
	v_or_b32_e32 v18, 8, v14
	v_cmp_eq_u32_e64 s13, 0, v0
	v_add_nc_u32_e32 v23, -4, v21
	v_dual_mov_b32 v9, s15 :: v_dual_lshlrev_b32 v24, 2, v6
	s_branch .LBB196_2
.LBB196_1:                              ;   in Loop: Header=BB196_2 Depth=1
	v_lshlrev_b32_e32 v0, 2, v7
	v_lshlrev_b32_e32 v1, 2, v6
	;; [unrolled: 1-line block ×3, first 2 shown]
	s_barrier
	buffer_gl0_inv
	v_lshlrev_b32_e32 v3, 2, v4
	ds_store_b32 v0, v25
	ds_store_b32 v1, v28
	;; [unrolled: 1-line block ×3, first 2 shown]
	v_add_nc_u32_e32 v0, v14, v22
	s_add_i32 s15, s15, 1
	ds_store_b32 v3, v26
	s_waitcnt lgkmcnt(0)
	s_barrier
	buffer_gl0_inv
	ds_load_2addr_stride64_b32 v[1:2], v0 offset1:1
	ds_load_2addr_stride64_b32 v[3:4], v0 offset0:2 offset1:3
	s_cmp_eq_u32 s15, 10
	s_waitcnt lgkmcnt(1)
	v_xor_b32_e32 v1, 0x80000000, v1
	v_xor_b32_e32 v2, 0x80000000, v2
	s_waitcnt lgkmcnt(0)
	v_xor_b32_e32 v3, 0x80000000, v3
	v_xor_b32_e32 v4, 0x80000000, v4
	s_cbranch_scc1 .LBB196_20
.LBB196_2:                              ; =>This Loop Header: Depth=1
                                        ;     Child Loop BB196_4 Depth 2
	s_waitcnt vmcnt(0)
	v_xor_b32_e32 v0, 0x80000000, v1
	v_xor_b32_e32 v1, 0x80000000, v2
	;; [unrolled: 1-line block ×4, first 2 shown]
	s_mov_b32 s16, 0
	ds_bpermute_b32 v3, v13, v0
	ds_bpermute_b32 v5, v13, v1
	;; [unrolled: 1-line block ×16, first 2 shown]
	s_waitcnt lgkmcnt(0)
	s_barrier
	v_cndmask_b32_e64 v3, v3, v5, s2
	v_cndmask_b32_e64 v5, v6, v7, s2
	;; [unrolled: 1-line block ×4, first 2 shown]
	s_delay_alu instid0(VALU_DEP_4) | instskip(NEXT) | instid1(VALU_DEP_4)
	v_cndmask_b32_e64 v1, v3, v27, s1
	v_cndmask_b32_e64 v3, v5, v28, s1
	s_delay_alu instid0(VALU_DEP_4) | instskip(NEXT) | instid1(VALU_DEP_4)
	v_cndmask_b32_e64 v5, v6, v29, s1
	v_cndmask_b32_e64 v6, v0, v2, s1
	;; [unrolled: 3-line block ×4, first 2 shown]
	s_branch .LBB196_4
.LBB196_3:                              ;   in Loop: Header=BB196_4 Depth=2
	v_lshlrev_b32_e32 v0, 2, v7
	v_lshlrev_b32_e32 v1, 2, v6
	;; [unrolled: 1-line block ×4, first 2 shown]
	s_barrier
	buffer_gl0_inv
	ds_store_b32 v0, v25
	ds_store_b32 v1, v28
	ds_store_b32 v2, v27
	ds_store_b32 v3, v26
	s_waitcnt lgkmcnt(0)
	s_barrier
	buffer_gl0_inv
	ds_load_2addr_b32 v[0:1], v24 offset1:32
	ds_load_2addr_b32 v[2:3], v24 offset0:64 offset1:96
	s_add_i32 s16, s16, 8
	s_waitcnt lgkmcnt(0)
	s_barrier
	s_cbranch_execz .LBB196_1
.LBB196_4:                              ;   Parent Loop BB196_2 Depth=1
                                        ; =>  This Inner Loop Header: Depth=2
	v_mov_b32_e32 v25, v0
	buffer_gl0_inv
	ds_store_2addr_b64 v14, v[8:9], v[10:11] offset0:1 offset1:2
	ds_store_2addr_b64 v18, v[8:9], v[10:11] offset0:2 offset1:3
	s_waitcnt lgkmcnt(0)
	s_barrier
	v_lshrrev_b32_e32 v4, s16, v25
	buffer_gl0_inv
	; wave barrier
	v_lshlrev_b32_e32 v6, 30, v4
	v_bfe_u32 v0, v25, s16, 1
	v_lshlrev_b32_e32 v7, 29, v4
	v_lshlrev_b32_e32 v26, 28, v4
	v_lshlrev_b32_e32 v27, 27, v4
	v_lshlrev_b32_e32 v28, 26, v4
	v_add_co_u32 v0, s14, v0, -1
	s_delay_alu instid0(VALU_DEP_1) | instskip(SKIP_3) | instid1(VALU_DEP_4)
	v_cndmask_b32_e64 v5, 0, 1, s14
	v_cmp_gt_i32_e64 s14, 0, v6
	v_lshlrev_b32_e32 v29, 25, v4
	v_lshlrev_b32_e32 v4, 24, v4
	v_cmp_ne_u32_e32 vcc_lo, 0, v5
	v_not_b32_e32 v5, v6
	v_not_b32_e32 v6, v7
	v_xor_b32_e32 v0, vcc_lo, v0
	s_delay_alu instid0(VALU_DEP_3)
	v_ashrrev_i32_e32 v5, 31, v5
	v_cmp_gt_i32_e32 vcc_lo, 0, v7
	v_not_b32_e32 v7, v26
	v_ashrrev_i32_e32 v6, 31, v6
	v_and_b32_e32 v0, exec_lo, v0
	v_xor_b32_e32 v5, s14, v5
	v_cmp_gt_i32_e64 s14, 0, v26
	v_ashrrev_i32_e32 v7, 31, v7
	v_xor_b32_e32 v6, vcc_lo, v6
	s_delay_alu instid0(VALU_DEP_4) | instskip(SKIP_1) | instid1(VALU_DEP_4)
	v_and_b32_e32 v0, v0, v5
	v_not_b32_e32 v5, v28
	v_xor_b32_e32 v7, s14, v7
	v_cmp_gt_i32_e64 s14, 0, v28
	v_mov_b32_e32 v28, v1
	v_not_b32_e32 v26, v27
	v_cmp_gt_i32_e32 vcc_lo, 0, v27
	v_and_b32_e32 v0, v0, v6
	v_not_b32_e32 v6, v29
	v_ashrrev_i32_e32 v5, 31, v5
	v_ashrrev_i32_e32 v26, 31, v26
	v_bfe_u32 v1, v25, s16, 8
	v_and_b32_e32 v0, v0, v7
	v_not_b32_e32 v7, v4
	v_ashrrev_i32_e32 v6, 31, v6
	v_xor_b32_e32 v26, vcc_lo, v26
	v_cmp_gt_i32_e32 vcc_lo, 0, v29
	v_xor_b32_e32 v5, s14, v5
	v_cmp_gt_i32_e64 s14, 0, v4
	v_ashrrev_i32_e32 v4, 31, v7
	v_and_b32_e32 v0, v0, v26
	v_xor_b32_e32 v6, vcc_lo, v6
	v_lshl_add_u32 v1, v1, 1, v19
	v_mov_b32_e32 v26, v3
	v_xor_b32_e32 v4, s14, v4
	v_dual_mov_b32 v27, v2 :: v_dual_and_b32 v0, v0, v5
	s_delay_alu instid0(VALU_DEP_4) | instskip(NEXT) | instid1(VALU_DEP_2)
	v_lshl_add_u32 v30, v1, 2, 8
	v_and_b32_e32 v0, v0, v6
	s_delay_alu instid0(VALU_DEP_1) | instskip(NEXT) | instid1(VALU_DEP_1)
	v_and_b32_e32 v0, v0, v4
	v_mbcnt_lo_u32_b32 v29, v0, 0
	v_cmp_ne_u32_e64 s14, 0, v0
	s_delay_alu instid0(VALU_DEP_2) | instskip(NEXT) | instid1(VALU_DEP_2)
	v_cmp_eq_u32_e32 vcc_lo, 0, v29
	s_and_b32 s17, s14, vcc_lo
	s_delay_alu instid0(SALU_CYCLE_1)
	s_and_saveexec_b32 s14, s17
	s_cbranch_execz .LBB196_6
; %bb.5:                                ;   in Loop: Header=BB196_4 Depth=2
	v_bcnt_u32_b32 v0, v0, 0
	ds_store_b32 v30, v0
.LBB196_6:                              ;   in Loop: Header=BB196_4 Depth=2
	s_or_b32 exec_lo, exec_lo, s14
	v_bfe_u32 v0, v28, s16, 1
	v_lshrrev_b32_e32 v1, s16, v28
	; wave barrier
	s_delay_alu instid0(VALU_DEP_2) | instskip(NEXT) | instid1(VALU_DEP_1)
	v_add_co_u32 v0, s14, v0, -1
	v_cndmask_b32_e64 v2, 0, 1, s14
	s_delay_alu instid0(VALU_DEP_3)
	v_lshlrev_b32_e32 v3, 30, v1
	v_lshlrev_b32_e32 v4, 29, v1
	;; [unrolled: 1-line block ×4, first 2 shown]
	v_cmp_ne_u32_e32 vcc_lo, 0, v2
	v_not_b32_e32 v2, v3
	v_cmp_gt_i32_e64 s14, 0, v3
	v_not_b32_e32 v3, v4
	v_lshlrev_b32_e32 v7, 26, v1
	v_xor_b32_e32 v0, vcc_lo, v0
	v_ashrrev_i32_e32 v2, 31, v2
	v_cmp_gt_i32_e32 vcc_lo, 0, v4
	v_not_b32_e32 v4, v5
	v_ashrrev_i32_e32 v3, 31, v3
	v_and_b32_e32 v0, exec_lo, v0
	v_xor_b32_e32 v2, s14, v2
	v_cmp_gt_i32_e64 s14, 0, v5
	v_not_b32_e32 v5, v6
	v_ashrrev_i32_e32 v4, 31, v4
	v_xor_b32_e32 v3, vcc_lo, v3
	v_and_b32_e32 v0, v0, v2
	v_cmp_gt_i32_e32 vcc_lo, 0, v6
	v_not_b32_e32 v2, v7
	v_ashrrev_i32_e32 v5, 31, v5
	v_xor_b32_e32 v4, s14, v4
	v_and_b32_e32 v0, v0, v3
	v_lshlrev_b32_e32 v3, 25, v1
	v_cmp_gt_i32_e64 s14, 0, v7
	v_ashrrev_i32_e32 v2, 31, v2
	v_xor_b32_e32 v5, vcc_lo, v5
	v_and_b32_e32 v0, v0, v4
	v_not_b32_e32 v6, v3
	v_lshlrev_b32_e32 v1, 24, v1
	v_bfe_u32 v4, v28, s16, 8
	v_xor_b32_e32 v2, s14, v2
	v_and_b32_e32 v0, v0, v5
	v_cmp_gt_i32_e32 vcc_lo, 0, v3
	v_ashrrev_i32_e32 v3, 31, v6
	v_not_b32_e32 v5, v1
	v_lshlrev_b32_e32 v4, 1, v4
	v_and_b32_e32 v0, v0, v2
	s_delay_alu instid0(VALU_DEP_4) | instskip(SKIP_3) | instid1(VALU_DEP_4)
	v_xor_b32_e32 v2, vcc_lo, v3
	v_cmp_gt_i32_e32 vcc_lo, 0, v1
	v_ashrrev_i32_e32 v1, 31, v5
	v_add_lshl_u32 v3, v4, v19, 2
	v_and_b32_e32 v0, v0, v2
	s_delay_alu instid0(VALU_DEP_3) | instskip(SKIP_3) | instid1(VALU_DEP_1)
	v_xor_b32_e32 v1, vcc_lo, v1
	ds_load_b32 v31, v3 offset:8
	v_add_nc_u32_e32 v33, 8, v3
	; wave barrier
	v_and_b32_e32 v0, v0, v1
	v_mbcnt_lo_u32_b32 v32, v0, 0
	v_cmp_ne_u32_e64 s14, 0, v0
	s_delay_alu instid0(VALU_DEP_2) | instskip(NEXT) | instid1(VALU_DEP_2)
	v_cmp_eq_u32_e32 vcc_lo, 0, v32
	s_and_b32 s17, s14, vcc_lo
	s_delay_alu instid0(SALU_CYCLE_1)
	s_and_saveexec_b32 s14, s17
	s_cbranch_execz .LBB196_8
; %bb.7:                                ;   in Loop: Header=BB196_4 Depth=2
	s_waitcnt lgkmcnt(0)
	v_bcnt_u32_b32 v0, v0, v31
	ds_store_b32 v33, v0
.LBB196_8:                              ;   in Loop: Header=BB196_4 Depth=2
	s_or_b32 exec_lo, exec_lo, s14
	v_bfe_u32 v0, v27, s16, 1
	v_lshrrev_b32_e32 v1, s16, v27
	; wave barrier
	s_delay_alu instid0(VALU_DEP_2) | instskip(NEXT) | instid1(VALU_DEP_1)
	v_add_co_u32 v0, s14, v0, -1
	v_cndmask_b32_e64 v2, 0, 1, s14
	s_delay_alu instid0(VALU_DEP_3)
	v_lshlrev_b32_e32 v3, 30, v1
	v_lshlrev_b32_e32 v4, 29, v1
	v_lshlrev_b32_e32 v5, 28, v1
	v_lshlrev_b32_e32 v6, 27, v1
	v_cmp_ne_u32_e32 vcc_lo, 0, v2
	v_not_b32_e32 v2, v3
	v_cmp_gt_i32_e64 s14, 0, v3
	v_not_b32_e32 v3, v4
	v_lshlrev_b32_e32 v7, 26, v1
	v_xor_b32_e32 v0, vcc_lo, v0
	v_ashrrev_i32_e32 v2, 31, v2
	v_cmp_gt_i32_e32 vcc_lo, 0, v4
	v_not_b32_e32 v4, v5
	v_ashrrev_i32_e32 v3, 31, v3
	v_and_b32_e32 v0, exec_lo, v0
	v_xor_b32_e32 v2, s14, v2
	v_cmp_gt_i32_e64 s14, 0, v5
	v_not_b32_e32 v5, v6
	v_ashrrev_i32_e32 v4, 31, v4
	v_xor_b32_e32 v3, vcc_lo, v3
	v_and_b32_e32 v0, v0, v2
	v_cmp_gt_i32_e32 vcc_lo, 0, v6
	v_not_b32_e32 v2, v7
	v_ashrrev_i32_e32 v5, 31, v5
	v_xor_b32_e32 v4, s14, v4
	v_and_b32_e32 v0, v0, v3
	v_lshlrev_b32_e32 v3, 25, v1
	v_cmp_gt_i32_e64 s14, 0, v7
	v_ashrrev_i32_e32 v2, 31, v2
	v_xor_b32_e32 v5, vcc_lo, v5
	v_and_b32_e32 v0, v0, v4
	v_not_b32_e32 v6, v3
	v_lshlrev_b32_e32 v1, 24, v1
	v_bfe_u32 v4, v27, s16, 8
	v_xor_b32_e32 v2, s14, v2
	v_and_b32_e32 v0, v0, v5
	v_cmp_gt_i32_e32 vcc_lo, 0, v3
	v_ashrrev_i32_e32 v3, 31, v6
	v_not_b32_e32 v5, v1
	v_lshlrev_b32_e32 v4, 1, v4
	v_and_b32_e32 v0, v0, v2
	s_delay_alu instid0(VALU_DEP_4) | instskip(SKIP_3) | instid1(VALU_DEP_4)
	v_xor_b32_e32 v2, vcc_lo, v3
	v_cmp_gt_i32_e32 vcc_lo, 0, v1
	v_ashrrev_i32_e32 v1, 31, v5
	v_add_lshl_u32 v3, v4, v19, 2
	v_and_b32_e32 v0, v0, v2
	s_delay_alu instid0(VALU_DEP_3) | instskip(SKIP_3) | instid1(VALU_DEP_1)
	v_xor_b32_e32 v1, vcc_lo, v1
	ds_load_b32 v34, v3 offset:8
	v_add_nc_u32_e32 v36, 8, v3
	; wave barrier
	v_and_b32_e32 v0, v0, v1
	v_mbcnt_lo_u32_b32 v35, v0, 0
	v_cmp_ne_u32_e64 s14, 0, v0
	s_delay_alu instid0(VALU_DEP_2) | instskip(NEXT) | instid1(VALU_DEP_2)
	v_cmp_eq_u32_e32 vcc_lo, 0, v35
	s_and_b32 s17, s14, vcc_lo
	s_delay_alu instid0(SALU_CYCLE_1)
	s_and_saveexec_b32 s14, s17
	s_cbranch_execz .LBB196_10
; %bb.9:                                ;   in Loop: Header=BB196_4 Depth=2
	s_waitcnt lgkmcnt(0)
	v_bcnt_u32_b32 v0, v0, v34
	ds_store_b32 v36, v0
.LBB196_10:                             ;   in Loop: Header=BB196_4 Depth=2
	s_or_b32 exec_lo, exec_lo, s14
	v_bfe_u32 v0, v26, s16, 1
	v_lshrrev_b32_e32 v1, s16, v26
	; wave barrier
	s_delay_alu instid0(VALU_DEP_2) | instskip(NEXT) | instid1(VALU_DEP_1)
	v_add_co_u32 v0, s14, v0, -1
	v_cndmask_b32_e64 v2, 0, 1, s14
	s_delay_alu instid0(VALU_DEP_3)
	v_lshlrev_b32_e32 v3, 30, v1
	v_lshlrev_b32_e32 v4, 29, v1
	;; [unrolled: 1-line block ×4, first 2 shown]
	v_cmp_ne_u32_e32 vcc_lo, 0, v2
	v_not_b32_e32 v2, v3
	v_cmp_gt_i32_e64 s14, 0, v3
	v_not_b32_e32 v3, v4
	v_lshlrev_b32_e32 v7, 26, v1
	v_xor_b32_e32 v0, vcc_lo, v0
	v_ashrrev_i32_e32 v2, 31, v2
	v_cmp_gt_i32_e32 vcc_lo, 0, v4
	v_not_b32_e32 v4, v5
	v_ashrrev_i32_e32 v3, 31, v3
	v_and_b32_e32 v0, exec_lo, v0
	v_xor_b32_e32 v2, s14, v2
	v_cmp_gt_i32_e64 s14, 0, v5
	v_not_b32_e32 v5, v6
	v_ashrrev_i32_e32 v4, 31, v4
	v_xor_b32_e32 v3, vcc_lo, v3
	v_and_b32_e32 v0, v0, v2
	v_cmp_gt_i32_e32 vcc_lo, 0, v6
	v_not_b32_e32 v2, v7
	v_ashrrev_i32_e32 v5, 31, v5
	v_xor_b32_e32 v4, s14, v4
	v_and_b32_e32 v0, v0, v3
	v_lshlrev_b32_e32 v3, 25, v1
	v_cmp_gt_i32_e64 s14, 0, v7
	v_ashrrev_i32_e32 v2, 31, v2
	v_xor_b32_e32 v5, vcc_lo, v5
	v_and_b32_e32 v0, v0, v4
	v_not_b32_e32 v6, v3
	v_lshlrev_b32_e32 v1, 24, v1
	v_bfe_u32 v4, v26, s16, 8
	v_xor_b32_e32 v2, s14, v2
	v_and_b32_e32 v0, v0, v5
	v_cmp_gt_i32_e32 vcc_lo, 0, v3
	v_ashrrev_i32_e32 v3, 31, v6
	v_not_b32_e32 v5, v1
	v_lshlrev_b32_e32 v4, 1, v4
	v_and_b32_e32 v0, v0, v2
	s_delay_alu instid0(VALU_DEP_4) | instskip(SKIP_3) | instid1(VALU_DEP_4)
	v_xor_b32_e32 v2, vcc_lo, v3
	v_cmp_gt_i32_e32 vcc_lo, 0, v1
	v_ashrrev_i32_e32 v1, 31, v5
	v_add_lshl_u32 v3, v4, v19, 2
	v_and_b32_e32 v0, v0, v2
	s_delay_alu instid0(VALU_DEP_3) | instskip(SKIP_3) | instid1(VALU_DEP_1)
	v_xor_b32_e32 v1, vcc_lo, v1
	ds_load_b32 v37, v3 offset:8
	v_add_nc_u32_e32 v39, 8, v3
	; wave barrier
	v_and_b32_e32 v0, v0, v1
	v_mbcnt_lo_u32_b32 v38, v0, 0
	v_cmp_ne_u32_e64 s14, 0, v0
	s_delay_alu instid0(VALU_DEP_2) | instskip(NEXT) | instid1(VALU_DEP_2)
	v_cmp_eq_u32_e32 vcc_lo, 0, v38
	s_and_b32 s17, s14, vcc_lo
	s_delay_alu instid0(SALU_CYCLE_1)
	s_and_saveexec_b32 s14, s17
	s_cbranch_execz .LBB196_12
; %bb.11:                               ;   in Loop: Header=BB196_4 Depth=2
	s_waitcnt lgkmcnt(0)
	v_bcnt_u32_b32 v0, v0, v37
	ds_store_b32 v39, v0
.LBB196_12:                             ;   in Loop: Header=BB196_4 Depth=2
	s_or_b32 exec_lo, exec_lo, s14
	; wave barrier
	s_waitcnt lgkmcnt(0)
	s_barrier
	buffer_gl0_inv
	ds_load_2addr_b64 v[4:7], v14 offset0:1 offset1:2
	ds_load_2addr_b64 v[0:3], v18 offset0:2 offset1:3
	s_waitcnt lgkmcnt(1)
	v_add_nc_u32_e32 v40, v5, v4
	s_delay_alu instid0(VALU_DEP_1) | instskip(SKIP_1) | instid1(VALU_DEP_1)
	v_add3_u32 v40, v40, v6, v7
	s_waitcnt lgkmcnt(0)
	v_add3_u32 v40, v40, v0, v1
	s_delay_alu instid0(VALU_DEP_1) | instskip(NEXT) | instid1(VALU_DEP_1)
	v_add3_u32 v3, v40, v2, v3
	v_mov_b32_dpp v40, v3 row_shr:1 row_mask:0xf bank_mask:0xf
	s_delay_alu instid0(VALU_DEP_1) | instskip(NEXT) | instid1(VALU_DEP_1)
	v_cndmask_b32_e64 v40, v40, 0, s3
	v_add_nc_u32_e32 v3, v40, v3
	s_delay_alu instid0(VALU_DEP_1) | instskip(NEXT) | instid1(VALU_DEP_1)
	v_mov_b32_dpp v40, v3 row_shr:2 row_mask:0xf bank_mask:0xf
	v_cndmask_b32_e64 v40, 0, v40, s4
	s_delay_alu instid0(VALU_DEP_1) | instskip(NEXT) | instid1(VALU_DEP_1)
	v_add_nc_u32_e32 v3, v3, v40
	v_mov_b32_dpp v40, v3 row_shr:4 row_mask:0xf bank_mask:0xf
	s_delay_alu instid0(VALU_DEP_1) | instskip(NEXT) | instid1(VALU_DEP_1)
	v_cndmask_b32_e64 v40, 0, v40, s5
	v_add_nc_u32_e32 v3, v3, v40
	s_delay_alu instid0(VALU_DEP_1) | instskip(NEXT) | instid1(VALU_DEP_1)
	v_mov_b32_dpp v40, v3 row_shr:8 row_mask:0xf bank_mask:0xf
	v_cndmask_b32_e64 v40, 0, v40, s6
	s_delay_alu instid0(VALU_DEP_1) | instskip(SKIP_3) | instid1(VALU_DEP_1)
	v_add_nc_u32_e32 v3, v3, v40
	ds_swizzle_b32 v40, v3 offset:swizzle(BROADCAST,32,15)
	s_waitcnt lgkmcnt(0)
	v_cndmask_b32_e64 v40, v40, 0, s7
	v_add_nc_u32_e32 v3, v3, v40
	s_and_saveexec_b32 s14, s8
	s_cbranch_execz .LBB196_14
; %bb.13:                               ;   in Loop: Header=BB196_4 Depth=2
	ds_store_b32 v21, v3
.LBB196_14:                             ;   in Loop: Header=BB196_4 Depth=2
	s_or_b32 exec_lo, exec_lo, s14
	s_waitcnt lgkmcnt(0)
	s_barrier
	buffer_gl0_inv
	s_and_saveexec_b32 s14, s9
	s_cbranch_execz .LBB196_16
; %bb.15:                               ;   in Loop: Header=BB196_4 Depth=2
	v_add_nc_u32_e32 v40, v14, v22
	ds_load_b32 v41, v40
	s_waitcnt lgkmcnt(0)
	v_mov_b32_dpp v42, v41 row_shr:1 row_mask:0xf bank_mask:0xf
	s_delay_alu instid0(VALU_DEP_1) | instskip(NEXT) | instid1(VALU_DEP_1)
	v_cndmask_b32_e64 v42, v42, 0, s13
	v_add_nc_u32_e32 v41, v42, v41
	ds_store_b32 v40, v41
.LBB196_16:                             ;   in Loop: Header=BB196_4 Depth=2
	s_or_b32 exec_lo, exec_lo, s14
	v_mov_b32_e32 v40, 0
	s_waitcnt lgkmcnt(0)
	s_barrier
	buffer_gl0_inv
	s_and_saveexec_b32 s14, s10
	s_cbranch_execz .LBB196_18
; %bb.17:                               ;   in Loop: Header=BB196_4 Depth=2
	ds_load_b32 v40, v23
.LBB196_18:                             ;   in Loop: Header=BB196_4 Depth=2
	s_or_b32 exec_lo, exec_lo, s14
	s_waitcnt lgkmcnt(0)
	v_add_nc_u32_e32 v3, v40, v3
	s_cmp_gt_u32 s16, 23
	ds_bpermute_b32 v3, v20, v3
	s_waitcnt lgkmcnt(0)
	v_cndmask_b32_e64 v3, v3, v40, s11
	s_delay_alu instid0(VALU_DEP_1) | instskip(NEXT) | instid1(VALU_DEP_1)
	v_cndmask_b32_e64 v3, v3, 0, s12
	v_add_nc_u32_e32 v4, v3, v4
	s_delay_alu instid0(VALU_DEP_1) | instskip(NEXT) | instid1(VALU_DEP_1)
	v_add_nc_u32_e32 v5, v4, v5
	v_add_nc_u32_e32 v6, v5, v6
	s_delay_alu instid0(VALU_DEP_1) | instskip(NEXT) | instid1(VALU_DEP_1)
	v_add_nc_u32_e32 v40, v6, v7
	;; [unrolled: 3-line block ×3, first 2 shown]
	v_add_nc_u32_e32 v1, v0, v2
	ds_store_2addr_b64 v14, v[3:4], v[5:6] offset0:1 offset1:2
	ds_store_2addr_b64 v18, v[40:41], v[0:1] offset0:2 offset1:3
	s_waitcnt lgkmcnt(0)
	s_barrier
	buffer_gl0_inv
	ds_load_b32 v0, v30
	ds_load_b32 v1, v33
	;; [unrolled: 1-line block ×4, first 2 shown]
	s_waitcnt lgkmcnt(3)
	v_add_nc_u32_e32 v7, v0, v29
	s_waitcnt lgkmcnt(2)
	v_add3_u32 v6, v32, v31, v1
	s_waitcnt lgkmcnt(1)
	v_add3_u32 v5, v35, v34, v2
	;; [unrolled: 2-line block ×3, first 2 shown]
	s_cbranch_scc0 .LBB196_3
; %bb.19:                               ;   in Loop: Header=BB196_2 Depth=1
                                        ; implicit-def: $vgpr3
                                        ; implicit-def: $vgpr1
                                        ; implicit-def: $sgpr16
	s_branch .LBB196_1
.LBB196_20:
	s_add_u32 s0, s18, s20
	s_addc_u32 s1, s19, s21
	s_clause 0x3
	global_store_b32 v12, v1, s[0:1]
	global_store_b32 v12, v2, s[0:1] offset:256
	global_store_b32 v12, v3, s[0:1] offset:512
	;; [unrolled: 1-line block ×3, first 2 shown]
	s_nop 0
	s_sendmsg sendmsg(MSG_DEALLOC_VGPRS)
	s_endpgm
	.section	.rodata,"a",@progbits
	.p2align	6, 0x0
	.amdhsa_kernel _Z16sort_keys_kernelI22helper_blocked_stripediLj64ELj4ELj10EEvPKT0_PS1_
		.amdhsa_group_segment_fixed_size 2064
		.amdhsa_private_segment_fixed_size 0
		.amdhsa_kernarg_size 272
		.amdhsa_user_sgpr_count 15
		.amdhsa_user_sgpr_dispatch_ptr 0
		.amdhsa_user_sgpr_queue_ptr 0
		.amdhsa_user_sgpr_kernarg_segment_ptr 1
		.amdhsa_user_sgpr_dispatch_id 0
		.amdhsa_user_sgpr_private_segment_size 0
		.amdhsa_wavefront_size32 1
		.amdhsa_uses_dynamic_stack 0
		.amdhsa_enable_private_segment 0
		.amdhsa_system_sgpr_workgroup_id_x 1
		.amdhsa_system_sgpr_workgroup_id_y 0
		.amdhsa_system_sgpr_workgroup_id_z 0
		.amdhsa_system_sgpr_workgroup_info 0
		.amdhsa_system_vgpr_workitem_id 2
		.amdhsa_next_free_vgpr 43
		.amdhsa_next_free_sgpr 22
		.amdhsa_reserve_vcc 1
		.amdhsa_float_round_mode_32 0
		.amdhsa_float_round_mode_16_64 0
		.amdhsa_float_denorm_mode_32 3
		.amdhsa_float_denorm_mode_16_64 3
		.amdhsa_dx10_clamp 1
		.amdhsa_ieee_mode 1
		.amdhsa_fp16_overflow 0
		.amdhsa_workgroup_processor_mode 1
		.amdhsa_memory_ordered 1
		.amdhsa_forward_progress 0
		.amdhsa_shared_vgpr_count 0
		.amdhsa_exception_fp_ieee_invalid_op 0
		.amdhsa_exception_fp_denorm_src 0
		.amdhsa_exception_fp_ieee_div_zero 0
		.amdhsa_exception_fp_ieee_overflow 0
		.amdhsa_exception_fp_ieee_underflow 0
		.amdhsa_exception_fp_ieee_inexact 0
		.amdhsa_exception_int_div_zero 0
	.end_amdhsa_kernel
	.section	.text._Z16sort_keys_kernelI22helper_blocked_stripediLj64ELj4ELj10EEvPKT0_PS1_,"axG",@progbits,_Z16sort_keys_kernelI22helper_blocked_stripediLj64ELj4ELj10EEvPKT0_PS1_,comdat
.Lfunc_end196:
	.size	_Z16sort_keys_kernelI22helper_blocked_stripediLj64ELj4ELj10EEvPKT0_PS1_, .Lfunc_end196-_Z16sort_keys_kernelI22helper_blocked_stripediLj64ELj4ELj10EEvPKT0_PS1_
                                        ; -- End function
	.section	.AMDGPU.csdata,"",@progbits
; Kernel info:
; codeLenInByte = 2904
; NumSgprs: 24
; NumVgprs: 43
; ScratchSize: 0
; MemoryBound: 0
; FloatMode: 240
; IeeeMode: 1
; LDSByteSize: 2064 bytes/workgroup (compile time only)
; SGPRBlocks: 2
; VGPRBlocks: 5
; NumSGPRsForWavesPerEU: 24
; NumVGPRsForWavesPerEU: 43
; Occupancy: 16
; WaveLimiterHint : 1
; COMPUTE_PGM_RSRC2:SCRATCH_EN: 0
; COMPUTE_PGM_RSRC2:USER_SGPR: 15
; COMPUTE_PGM_RSRC2:TRAP_HANDLER: 0
; COMPUTE_PGM_RSRC2:TGID_X_EN: 1
; COMPUTE_PGM_RSRC2:TGID_Y_EN: 0
; COMPUTE_PGM_RSRC2:TGID_Z_EN: 0
; COMPUTE_PGM_RSRC2:TIDIG_COMP_CNT: 2
	.section	.text._Z17sort_pairs_kernelI22helper_blocked_stripediLj64ELj4ELj10EEvPKT0_PS1_,"axG",@progbits,_Z17sort_pairs_kernelI22helper_blocked_stripediLj64ELj4ELj10EEvPKT0_PS1_,comdat
	.protected	_Z17sort_pairs_kernelI22helper_blocked_stripediLj64ELj4ELj10EEvPKT0_PS1_ ; -- Begin function _Z17sort_pairs_kernelI22helper_blocked_stripediLj64ELj4ELj10EEvPKT0_PS1_
	.globl	_Z17sort_pairs_kernelI22helper_blocked_stripediLj64ELj4ELj10EEvPKT0_PS1_
	.p2align	8
	.type	_Z17sort_pairs_kernelI22helper_blocked_stripediLj64ELj4ELj10EEvPKT0_PS1_,@function
_Z17sort_pairs_kernelI22helper_blocked_stripediLj64ELj4ELj10EEvPKT0_PS1_: ; @_Z17sort_pairs_kernelI22helper_blocked_stripediLj64ELj4ELj10EEvPKT0_PS1_
; %bb.0:
	s_clause 0x1
	s_load_b128 s[16:19], s[0:1], 0x0
	s_load_b32 s13, s[0:1], 0x1c
	v_mbcnt_lo_u32_b32 v10, -1, 0
	s_mov_b32 s23, 0
	s_lshl_b32 s22, s15, 8
	s_mov_b32 s14, s23
	s_lshl_b64 s[20:21], s[22:23], 2
	s_mov_b32 s22, s23
	s_delay_alu instid0(SALU_CYCLE_1)
	v_dual_mov_b32 v8, s22 :: v_dual_and_b32 v5, 0x3ff, v0
	v_add_nc_u32_e32 v13, -1, v10
	s_mov_b32 s15, s23
	v_and_b32_e32 v12, 16, v10
	v_bfe_u32 v7, v0, 10, 10
	v_bfe_u32 v0, v0, 20, 10
	v_cmp_gt_i32_e32 vcc_lo, 0, v13
	v_lshlrev_b32_e32 v1, 4, v5
	v_cmp_eq_u32_e64 s8, 0, v12
	v_dual_mov_b32 v9, s23 :: v_dual_and_b32 v6, 3, v10
	s_waitcnt lgkmcnt(0)
	s_add_u32 s0, s16, s20
	s_addc_u32 s1, s17, s21
	v_cndmask_b32_e32 v12, v13, v10, vcc_lo
	global_load_b128 v[1:4], v1, s[0:1]
	s_lshr_b32 s12, s13, 16
	v_and_b32_e32 v11, 15, v10
	v_mad_u32_u24 v0, v0, s12, v7
	v_and_b32_e32 v21, 1, v10
	v_lshlrev_b32_e32 v14, 2, v5
	v_lshrrev_b32_e32 v13, 3, v5
	s_and_b32 s13, s13, 0xffff
	v_cmp_eq_u32_e64 s1, 3, v6
	v_cmp_eq_u32_e64 s2, 2, v6
	;; [unrolled: 1-line block ×3, first 2 shown]
	v_mad_u64_u32 v[6:7], null, v0, s13, v[5:6]
	v_cmp_eq_u32_e64 s4, 0, v11
	v_cmp_lt_u32_e64 s5, 1, v11
	v_cmp_lt_u32_e64 s6, 3, v11
	;; [unrolled: 1-line block ×3, first 2 shown]
	v_or_b32_e32 v11, 31, v5
	v_and_b32_e32 v15, 28, v10
	v_lshlrev_b32_e32 v19, 5, v5
	v_cmp_eq_u32_e64 s12, 0, v21
	v_and_b32_e32 v21, 4, v13
	v_and_or_b32 v0, 0x80, v14, v10
	v_cmp_eq_u32_e64 s0, 0, v10
	v_cmp_eq_u32_e64 s13, v11, v5
	v_mov_b32_e32 v10, s14
	v_or_b32_e32 v16, 32, v15
	v_or_b32_e32 v17, 64, v15
	;; [unrolled: 1-line block ×3, first 2 shown]
	v_cmp_gt_u32_e64 s9, 2, v5
	v_cmp_lt_u32_e64 s10, 31, v5
	v_cmp_eq_u32_e64 s11, 0, v5
	v_mul_i32_i24_e32 v20, 0xffffffe4, v5
	v_or_b32_e32 v22, 8, v19
	v_lshlrev_b32_e32 v23, 2, v12
	v_add_nc_u32_e32 v24, -4, v21
	v_lshlrev_b32_e32 v25, 2, v0
	v_lshrrev_b32_e32 v26, 5, v6
	s_waitcnt vmcnt(0)
	v_dual_mov_b32 v11, s15 :: v_dual_add_nc_u32 v12, 1, v1
	v_add_nc_u32_e32 v13, 1, v2
	v_add_nc_u32_e32 v5, 1, v3
	;; [unrolled: 1-line block ×3, first 2 shown]
	s_branch .LBB197_2
.LBB197_1:                              ;   in Loop: Header=BB197_2 Depth=1
	v_lshlrev_b32_e32 v0, 2, v37
	v_lshlrev_b32_e32 v5, 2, v35
	v_lshlrev_b32_e32 v6, 2, v34
	s_barrier
	buffer_gl0_inv
	v_lshlrev_b32_e32 v7, 2, v33
	ds_store_b32 v0, v12
	ds_store_b32 v5, v32
	;; [unrolled: 1-line block ×3, first 2 shown]
	v_add_nc_u32_e32 v31, v19, v20
	s_add_i32 s23, s23, 1
	ds_store_b32 v7, v30
	s_waitcnt lgkmcnt(0)
	s_barrier
	buffer_gl0_inv
	ds_load_2addr_stride64_b32 v[1:2], v31 offset1:1
	ds_load_2addr_stride64_b32 v[3:4], v31 offset0:2 offset1:3
	s_waitcnt lgkmcnt(0)
	s_barrier
	buffer_gl0_inv
	ds_store_b32 v0, v29
	ds_store_b32 v5, v28
	;; [unrolled: 1-line block ×4, first 2 shown]
	s_waitcnt lgkmcnt(0)
	s_barrier
	buffer_gl0_inv
	ds_load_2addr_stride64_b32 v[12:13], v31 offset1:1
	ds_load_2addr_stride64_b32 v[5:6], v31 offset0:2 offset1:3
	s_cmp_eq_u32 s23, 10
	v_xor_b32_e32 v1, 0x80000000, v1
	v_xor_b32_e32 v2, 0x80000000, v2
	;; [unrolled: 1-line block ×4, first 2 shown]
	s_cbranch_scc1 .LBB197_20
.LBB197_2:                              ; =>This Loop Header: Depth=1
                                        ;     Child Loop BB197_4 Depth 2
	v_xor_b32_e32 v0, 0x80000000, v1
	v_xor_b32_e32 v1, 0x80000000, v2
	v_xor_b32_e32 v2, 0x80000000, v3
	v_xor_b32_e32 v4, 0x80000000, v4
	s_waitcnt lgkmcnt(1)
	ds_bpermute_b32 v34, v15, v12
	ds_bpermute_b32 v3, v15, v0
	;; [unrolled: 1-line block ×20, first 2 shown]
	s_waitcnt lgkmcnt(20)
	ds_bpermute_b32 v43, v17, v6
	ds_bpermute_b32 v44, v18, v6
	s_waitcnt lgkmcnt(19)
	v_cndmask_b32_e64 v3, v3, v7, s3
	s_mov_b32 s15, 0
	s_waitcnt lgkmcnt(17)
	v_cndmask_b32_e64 v7, v27, v28, s3
	ds_bpermute_b32 v28, v18, v0
	s_waitcnt lgkmcnt(16)
	v_cndmask_b32_e64 v27, v29, v30, s3
	ds_bpermute_b32 v29, v18, v1
	s_waitcnt lgkmcnt(15)
	v_cndmask_b32_e64 v0, v3, v31, s2
	v_cndmask_b32_e64 v1, v7, v32, s2
	ds_bpermute_b32 v7, v18, v13
	s_waitcnt lgkmcnt(15)
	v_cndmask_b32_e64 v3, v27, v33, s2
	ds_bpermute_b32 v13, v18, v2
	ds_bpermute_b32 v27, v15, v5
	ds_bpermute_b32 v30, v16, v5
	ds_bpermute_b32 v31, v17, v5
	ds_bpermute_b32 v5, v18, v5
	ds_bpermute_b32 v32, v15, v6
	ds_bpermute_b32 v33, v16, v6
	s_waitcnt lgkmcnt(15)
	v_cndmask_b32_e64 v2, v3, v42, s1
	v_cndmask_b32_e64 v6, v34, v35, s3
	s_waitcnt lgkmcnt(14)
	v_cndmask_b32_e64 v0, v0, v40, s1
	s_waitcnt lgkmcnt(13)
	;; [unrolled: 2-line block ×3, first 2 shown]
	s_barrier
	v_cndmask_b32_e64 v3, v28, v29, s3
	v_cndmask_b32_e64 v28, v36, v37, s3
	;; [unrolled: 1-line block ×4, first 2 shown]
	s_delay_alu instid0(VALU_DEP_4)
	v_cndmask_b32_e64 v3, v3, v13, s2
	v_cndmask_b32_e64 v6, v6, v27, s2
	;; [unrolled: 1-line block ×10, first 2 shown]
	s_branch .LBB197_4
.LBB197_3:                              ;   in Loop: Header=BB197_4 Depth=2
	v_lshlrev_b32_e32 v4, 2, v37
	v_lshlrev_b32_e32 v5, 2, v35
	;; [unrolled: 1-line block ×4, first 2 shown]
	s_barrier
	buffer_gl0_inv
	ds_store_b32 v4, v12
	ds_store_b32 v5, v32
	;; [unrolled: 1-line block ×4, first 2 shown]
	s_waitcnt lgkmcnt(0)
	s_barrier
	buffer_gl0_inv
	ds_load_2addr_b32 v[0:1], v25 offset1:32
	ds_load_2addr_b32 v[2:3], v25 offset0:64 offset1:96
	s_waitcnt lgkmcnt(0)
	s_barrier
	buffer_gl0_inv
	ds_store_b32 v4, v29
	ds_store_b32 v5, v28
	;; [unrolled: 1-line block ×4, first 2 shown]
	s_waitcnt lgkmcnt(0)
	s_barrier
	buffer_gl0_inv
	ds_load_2addr_b32 v[4:5], v25 offset1:32
	ds_load_2addr_b32 v[6:7], v25 offset0:64 offset1:96
	s_add_i32 s15, s15, 8
	s_waitcnt lgkmcnt(0)
	s_barrier
	s_cbranch_execz .LBB197_1
.LBB197_4:                              ;   Parent Loop BB197_2 Depth=1
                                        ; =>  This Inner Loop Header: Depth=2
	v_mov_b32_e32 v12, v0
	buffer_gl0_inv
	ds_store_2addr_b64 v19, v[8:9], v[10:11] offset0:1 offset1:2
	ds_store_2addr_b64 v22, v[8:9], v[10:11] offset0:2 offset1:3
	s_waitcnt lgkmcnt(0)
	s_barrier
	v_lshrrev_b32_e32 v13, s15, v12
	buffer_gl0_inv
	; wave barrier
	v_lshlrev_b32_e32 v29, 29, v13
	v_bfe_u32 v0, v12, s15, 1
	v_lshlrev_b32_e32 v28, 30, v13
	v_lshlrev_b32_e32 v30, 28, v13
	;; [unrolled: 1-line block ×4, first 2 shown]
	v_add_co_u32 v0, s14, v0, -1
	s_delay_alu instid0(VALU_DEP_1) | instskip(SKIP_3) | instid1(VALU_DEP_4)
	v_cndmask_b32_e64 v27, 0, 1, s14
	v_cmp_gt_i32_e64 s14, 0, v28
	v_lshlrev_b32_e32 v33, 25, v13
	v_lshlrev_b32_e32 v13, 24, v13
	v_cmp_ne_u32_e32 vcc_lo, 0, v27
	v_not_b32_e32 v27, v28
	v_not_b32_e32 v28, v29
	v_xor_b32_e32 v0, vcc_lo, v0
	s_delay_alu instid0(VALU_DEP_3)
	v_ashrrev_i32_e32 v27, 31, v27
	v_cmp_gt_i32_e32 vcc_lo, 0, v29
	v_not_b32_e32 v29, v30
	v_ashrrev_i32_e32 v28, 31, v28
	v_and_b32_e32 v0, exec_lo, v0
	v_xor_b32_e32 v27, s14, v27
	v_cmp_gt_i32_e64 s14, 0, v30
	v_not_b32_e32 v30, v31
	v_ashrrev_i32_e32 v29, 31, v29
	v_xor_b32_e32 v28, vcc_lo, v28
	v_and_b32_e32 v0, v0, v27
	v_cmp_gt_i32_e32 vcc_lo, 0, v31
	v_not_b32_e32 v27, v32
	v_ashrrev_i32_e32 v30, 31, v30
	v_xor_b32_e32 v29, s14, v29
	v_and_b32_e32 v0, v0, v28
	v_cmp_gt_i32_e64 s14, 0, v32
	v_ashrrev_i32_e32 v27, 31, v27
	v_xor_b32_e32 v30, vcc_lo, v30
	v_mov_b32_e32 v32, v1
	v_not_b32_e32 v28, v33
	v_and_b32_e32 v0, v0, v29
	v_cmp_gt_i32_e32 vcc_lo, 0, v33
	v_xor_b32_e32 v27, s14, v27
	v_bfe_u32 v1, v12, s15, 8
	v_ashrrev_i32_e32 v28, 31, v28
	v_and_b32_e32 v0, v0, v30
	v_dual_mov_b32 v30, v3 :: v_dual_mov_b32 v31, v2
	s_delay_alu instid0(VALU_DEP_4) | instskip(NEXT) | instid1(VALU_DEP_4)
	v_lshl_add_u32 v1, v1, 1, v26
	v_xor_b32_e32 v28, vcc_lo, v28
	s_delay_alu instid0(VALU_DEP_4) | instskip(NEXT) | instid1(VALU_DEP_3)
	v_dual_mov_b32 v27, v6 :: v_dual_and_b32 v0, v0, v27
	v_lshl_add_u32 v34, v1, 2, 8
	s_delay_alu instid0(VALU_DEP_2) | instskip(SKIP_3) | instid1(VALU_DEP_2)
	v_and_b32_e32 v0, v0, v28
	v_mov_b32_e32 v28, v5
	v_not_b32_e32 v29, v13
	v_cmp_gt_i32_e64 s14, 0, v13
	v_ashrrev_i32_e32 v13, 31, v29
	v_mov_b32_e32 v29, v4
	s_delay_alu instid0(VALU_DEP_2) | instskip(NEXT) | instid1(VALU_DEP_1)
	v_xor_b32_e32 v3, s14, v13
	v_dual_mov_b32 v13, v7 :: v_dual_and_b32 v0, v0, v3
	s_delay_alu instid0(VALU_DEP_1) | instskip(SKIP_1) | instid1(VALU_DEP_2)
	v_mbcnt_lo_u32_b32 v33, v0, 0
	v_cmp_ne_u32_e64 s14, 0, v0
	v_cmp_eq_u32_e32 vcc_lo, 0, v33
	s_delay_alu instid0(VALU_DEP_2) | instskip(NEXT) | instid1(SALU_CYCLE_1)
	s_and_b32 s16, s14, vcc_lo
	s_and_saveexec_b32 s14, s16
	s_cbranch_execz .LBB197_6
; %bb.5:                                ;   in Loop: Header=BB197_4 Depth=2
	v_bcnt_u32_b32 v0, v0, 0
	ds_store_b32 v34, v0
.LBB197_6:                              ;   in Loop: Header=BB197_4 Depth=2
	s_or_b32 exec_lo, exec_lo, s14
	v_bfe_u32 v0, v32, s15, 1
	v_lshrrev_b32_e32 v1, s15, v32
	; wave barrier
	s_delay_alu instid0(VALU_DEP_2) | instskip(NEXT) | instid1(VALU_DEP_1)
	v_add_co_u32 v0, s14, v0, -1
	v_cndmask_b32_e64 v2, 0, 1, s14
	s_delay_alu instid0(VALU_DEP_3)
	v_lshlrev_b32_e32 v3, 30, v1
	v_lshlrev_b32_e32 v4, 29, v1
	;; [unrolled: 1-line block ×4, first 2 shown]
	v_cmp_ne_u32_e32 vcc_lo, 0, v2
	v_not_b32_e32 v2, v3
	v_cmp_gt_i32_e64 s14, 0, v3
	v_not_b32_e32 v3, v4
	v_lshlrev_b32_e32 v7, 26, v1
	v_xor_b32_e32 v0, vcc_lo, v0
	v_ashrrev_i32_e32 v2, 31, v2
	v_cmp_gt_i32_e32 vcc_lo, 0, v4
	v_not_b32_e32 v4, v5
	v_ashrrev_i32_e32 v3, 31, v3
	v_and_b32_e32 v0, exec_lo, v0
	v_xor_b32_e32 v2, s14, v2
	v_cmp_gt_i32_e64 s14, 0, v5
	v_not_b32_e32 v5, v6
	v_ashrrev_i32_e32 v4, 31, v4
	v_xor_b32_e32 v3, vcc_lo, v3
	v_and_b32_e32 v0, v0, v2
	v_cmp_gt_i32_e32 vcc_lo, 0, v6
	v_not_b32_e32 v2, v7
	v_ashrrev_i32_e32 v5, 31, v5
	v_xor_b32_e32 v4, s14, v4
	v_and_b32_e32 v0, v0, v3
	v_lshlrev_b32_e32 v3, 25, v1
	v_cmp_gt_i32_e64 s14, 0, v7
	v_ashrrev_i32_e32 v2, 31, v2
	v_xor_b32_e32 v5, vcc_lo, v5
	v_and_b32_e32 v0, v0, v4
	v_not_b32_e32 v6, v3
	v_lshlrev_b32_e32 v1, 24, v1
	v_bfe_u32 v4, v32, s15, 8
	v_xor_b32_e32 v2, s14, v2
	v_and_b32_e32 v0, v0, v5
	v_cmp_gt_i32_e32 vcc_lo, 0, v3
	v_ashrrev_i32_e32 v3, 31, v6
	v_not_b32_e32 v5, v1
	v_lshlrev_b32_e32 v4, 1, v4
	v_and_b32_e32 v0, v0, v2
	s_delay_alu instid0(VALU_DEP_4) | instskip(SKIP_3) | instid1(VALU_DEP_4)
	v_xor_b32_e32 v2, vcc_lo, v3
	v_cmp_gt_i32_e32 vcc_lo, 0, v1
	v_ashrrev_i32_e32 v1, 31, v5
	v_add_lshl_u32 v3, v4, v26, 2
	v_and_b32_e32 v0, v0, v2
	s_delay_alu instid0(VALU_DEP_3) | instskip(SKIP_3) | instid1(VALU_DEP_1)
	v_xor_b32_e32 v1, vcc_lo, v1
	ds_load_b32 v35, v3 offset:8
	v_add_nc_u32_e32 v37, 8, v3
	; wave barrier
	v_and_b32_e32 v0, v0, v1
	v_mbcnt_lo_u32_b32 v36, v0, 0
	v_cmp_ne_u32_e64 s14, 0, v0
	s_delay_alu instid0(VALU_DEP_2) | instskip(NEXT) | instid1(VALU_DEP_2)
	v_cmp_eq_u32_e32 vcc_lo, 0, v36
	s_and_b32 s16, s14, vcc_lo
	s_delay_alu instid0(SALU_CYCLE_1)
	s_and_saveexec_b32 s14, s16
	s_cbranch_execz .LBB197_8
; %bb.7:                                ;   in Loop: Header=BB197_4 Depth=2
	s_waitcnt lgkmcnt(0)
	v_bcnt_u32_b32 v0, v0, v35
	ds_store_b32 v37, v0
.LBB197_8:                              ;   in Loop: Header=BB197_4 Depth=2
	s_or_b32 exec_lo, exec_lo, s14
	v_bfe_u32 v0, v31, s15, 1
	v_lshrrev_b32_e32 v1, s15, v31
	; wave barrier
	s_delay_alu instid0(VALU_DEP_2) | instskip(NEXT) | instid1(VALU_DEP_1)
	v_add_co_u32 v0, s14, v0, -1
	v_cndmask_b32_e64 v2, 0, 1, s14
	s_delay_alu instid0(VALU_DEP_3)
	v_lshlrev_b32_e32 v3, 30, v1
	v_lshlrev_b32_e32 v4, 29, v1
	;; [unrolled: 1-line block ×4, first 2 shown]
	v_cmp_ne_u32_e32 vcc_lo, 0, v2
	v_not_b32_e32 v2, v3
	v_cmp_gt_i32_e64 s14, 0, v3
	v_not_b32_e32 v3, v4
	v_lshlrev_b32_e32 v7, 26, v1
	v_xor_b32_e32 v0, vcc_lo, v0
	v_ashrrev_i32_e32 v2, 31, v2
	v_cmp_gt_i32_e32 vcc_lo, 0, v4
	v_not_b32_e32 v4, v5
	v_ashrrev_i32_e32 v3, 31, v3
	v_and_b32_e32 v0, exec_lo, v0
	v_xor_b32_e32 v2, s14, v2
	v_cmp_gt_i32_e64 s14, 0, v5
	v_not_b32_e32 v5, v6
	v_ashrrev_i32_e32 v4, 31, v4
	v_xor_b32_e32 v3, vcc_lo, v3
	v_and_b32_e32 v0, v0, v2
	v_cmp_gt_i32_e32 vcc_lo, 0, v6
	v_not_b32_e32 v2, v7
	v_ashrrev_i32_e32 v5, 31, v5
	v_xor_b32_e32 v4, s14, v4
	v_and_b32_e32 v0, v0, v3
	v_lshlrev_b32_e32 v3, 25, v1
	v_cmp_gt_i32_e64 s14, 0, v7
	v_ashrrev_i32_e32 v2, 31, v2
	v_xor_b32_e32 v5, vcc_lo, v5
	v_and_b32_e32 v0, v0, v4
	v_not_b32_e32 v6, v3
	v_lshlrev_b32_e32 v1, 24, v1
	v_bfe_u32 v4, v31, s15, 8
	v_xor_b32_e32 v2, s14, v2
	v_and_b32_e32 v0, v0, v5
	v_cmp_gt_i32_e32 vcc_lo, 0, v3
	v_ashrrev_i32_e32 v3, 31, v6
	v_not_b32_e32 v5, v1
	v_lshlrev_b32_e32 v4, 1, v4
	v_and_b32_e32 v0, v0, v2
	s_delay_alu instid0(VALU_DEP_4) | instskip(SKIP_3) | instid1(VALU_DEP_4)
	v_xor_b32_e32 v2, vcc_lo, v3
	v_cmp_gt_i32_e32 vcc_lo, 0, v1
	v_ashrrev_i32_e32 v1, 31, v5
	v_add_lshl_u32 v3, v4, v26, 2
	v_and_b32_e32 v0, v0, v2
	s_delay_alu instid0(VALU_DEP_3) | instskip(SKIP_3) | instid1(VALU_DEP_1)
	v_xor_b32_e32 v1, vcc_lo, v1
	ds_load_b32 v38, v3 offset:8
	v_add_nc_u32_e32 v40, 8, v3
	; wave barrier
	v_and_b32_e32 v0, v0, v1
	v_mbcnt_lo_u32_b32 v39, v0, 0
	v_cmp_ne_u32_e64 s14, 0, v0
	s_delay_alu instid0(VALU_DEP_2) | instskip(NEXT) | instid1(VALU_DEP_2)
	v_cmp_eq_u32_e32 vcc_lo, 0, v39
	s_and_b32 s16, s14, vcc_lo
	s_delay_alu instid0(SALU_CYCLE_1)
	s_and_saveexec_b32 s14, s16
	s_cbranch_execz .LBB197_10
; %bb.9:                                ;   in Loop: Header=BB197_4 Depth=2
	s_waitcnt lgkmcnt(0)
	v_bcnt_u32_b32 v0, v0, v38
	ds_store_b32 v40, v0
.LBB197_10:                             ;   in Loop: Header=BB197_4 Depth=2
	s_or_b32 exec_lo, exec_lo, s14
	v_bfe_u32 v0, v30, s15, 1
	v_lshrrev_b32_e32 v1, s15, v30
	; wave barrier
	s_delay_alu instid0(VALU_DEP_2) | instskip(NEXT) | instid1(VALU_DEP_1)
	v_add_co_u32 v0, s14, v0, -1
	v_cndmask_b32_e64 v2, 0, 1, s14
	s_delay_alu instid0(VALU_DEP_3)
	v_lshlrev_b32_e32 v3, 30, v1
	v_lshlrev_b32_e32 v4, 29, v1
	;; [unrolled: 1-line block ×4, first 2 shown]
	v_cmp_ne_u32_e32 vcc_lo, 0, v2
	v_not_b32_e32 v2, v3
	v_cmp_gt_i32_e64 s14, 0, v3
	v_not_b32_e32 v3, v4
	v_lshlrev_b32_e32 v7, 26, v1
	v_xor_b32_e32 v0, vcc_lo, v0
	v_ashrrev_i32_e32 v2, 31, v2
	v_cmp_gt_i32_e32 vcc_lo, 0, v4
	v_not_b32_e32 v4, v5
	v_ashrrev_i32_e32 v3, 31, v3
	v_and_b32_e32 v0, exec_lo, v0
	v_xor_b32_e32 v2, s14, v2
	v_cmp_gt_i32_e64 s14, 0, v5
	v_not_b32_e32 v5, v6
	v_ashrrev_i32_e32 v4, 31, v4
	v_xor_b32_e32 v3, vcc_lo, v3
	v_and_b32_e32 v0, v0, v2
	v_cmp_gt_i32_e32 vcc_lo, 0, v6
	v_not_b32_e32 v2, v7
	v_ashrrev_i32_e32 v5, 31, v5
	v_xor_b32_e32 v4, s14, v4
	v_and_b32_e32 v0, v0, v3
	v_lshlrev_b32_e32 v3, 25, v1
	v_cmp_gt_i32_e64 s14, 0, v7
	v_ashrrev_i32_e32 v2, 31, v2
	v_xor_b32_e32 v5, vcc_lo, v5
	v_and_b32_e32 v0, v0, v4
	v_not_b32_e32 v6, v3
	v_lshlrev_b32_e32 v1, 24, v1
	v_bfe_u32 v4, v30, s15, 8
	v_xor_b32_e32 v2, s14, v2
	v_and_b32_e32 v0, v0, v5
	v_cmp_gt_i32_e32 vcc_lo, 0, v3
	v_ashrrev_i32_e32 v3, 31, v6
	v_not_b32_e32 v5, v1
	v_lshlrev_b32_e32 v4, 1, v4
	v_and_b32_e32 v0, v0, v2
	s_delay_alu instid0(VALU_DEP_4) | instskip(SKIP_3) | instid1(VALU_DEP_4)
	v_xor_b32_e32 v2, vcc_lo, v3
	v_cmp_gt_i32_e32 vcc_lo, 0, v1
	v_ashrrev_i32_e32 v1, 31, v5
	v_add_lshl_u32 v3, v4, v26, 2
	v_and_b32_e32 v0, v0, v2
	s_delay_alu instid0(VALU_DEP_3) | instskip(SKIP_3) | instid1(VALU_DEP_1)
	v_xor_b32_e32 v1, vcc_lo, v1
	ds_load_b32 v41, v3 offset:8
	v_add_nc_u32_e32 v43, 8, v3
	; wave barrier
	v_and_b32_e32 v0, v0, v1
	v_mbcnt_lo_u32_b32 v42, v0, 0
	v_cmp_ne_u32_e64 s14, 0, v0
	s_delay_alu instid0(VALU_DEP_2) | instskip(NEXT) | instid1(VALU_DEP_2)
	v_cmp_eq_u32_e32 vcc_lo, 0, v42
	s_and_b32 s16, s14, vcc_lo
	s_delay_alu instid0(SALU_CYCLE_1)
	s_and_saveexec_b32 s14, s16
	s_cbranch_execz .LBB197_12
; %bb.11:                               ;   in Loop: Header=BB197_4 Depth=2
	s_waitcnt lgkmcnt(0)
	v_bcnt_u32_b32 v0, v0, v41
	ds_store_b32 v43, v0
.LBB197_12:                             ;   in Loop: Header=BB197_4 Depth=2
	s_or_b32 exec_lo, exec_lo, s14
	; wave barrier
	s_waitcnt lgkmcnt(0)
	s_barrier
	buffer_gl0_inv
	ds_load_2addr_b64 v[4:7], v19 offset0:1 offset1:2
	ds_load_2addr_b64 v[0:3], v22 offset0:2 offset1:3
	s_waitcnt lgkmcnt(1)
	v_add_nc_u32_e32 v44, v5, v4
	s_delay_alu instid0(VALU_DEP_1) | instskip(SKIP_1) | instid1(VALU_DEP_1)
	v_add3_u32 v44, v44, v6, v7
	s_waitcnt lgkmcnt(0)
	v_add3_u32 v44, v44, v0, v1
	s_delay_alu instid0(VALU_DEP_1) | instskip(NEXT) | instid1(VALU_DEP_1)
	v_add3_u32 v3, v44, v2, v3
	v_mov_b32_dpp v44, v3 row_shr:1 row_mask:0xf bank_mask:0xf
	s_delay_alu instid0(VALU_DEP_1) | instskip(NEXT) | instid1(VALU_DEP_1)
	v_cndmask_b32_e64 v44, v44, 0, s4
	v_add_nc_u32_e32 v3, v44, v3
	s_delay_alu instid0(VALU_DEP_1) | instskip(NEXT) | instid1(VALU_DEP_1)
	v_mov_b32_dpp v44, v3 row_shr:2 row_mask:0xf bank_mask:0xf
	v_cndmask_b32_e64 v44, 0, v44, s5
	s_delay_alu instid0(VALU_DEP_1) | instskip(NEXT) | instid1(VALU_DEP_1)
	v_add_nc_u32_e32 v3, v3, v44
	v_mov_b32_dpp v44, v3 row_shr:4 row_mask:0xf bank_mask:0xf
	s_delay_alu instid0(VALU_DEP_1) | instskip(NEXT) | instid1(VALU_DEP_1)
	v_cndmask_b32_e64 v44, 0, v44, s6
	v_add_nc_u32_e32 v3, v3, v44
	s_delay_alu instid0(VALU_DEP_1) | instskip(NEXT) | instid1(VALU_DEP_1)
	v_mov_b32_dpp v44, v3 row_shr:8 row_mask:0xf bank_mask:0xf
	v_cndmask_b32_e64 v44, 0, v44, s7
	s_delay_alu instid0(VALU_DEP_1) | instskip(SKIP_3) | instid1(VALU_DEP_1)
	v_add_nc_u32_e32 v3, v3, v44
	ds_swizzle_b32 v44, v3 offset:swizzle(BROADCAST,32,15)
	s_waitcnt lgkmcnt(0)
	v_cndmask_b32_e64 v44, v44, 0, s8
	v_add_nc_u32_e32 v3, v3, v44
	s_and_saveexec_b32 s14, s13
	s_cbranch_execz .LBB197_14
; %bb.13:                               ;   in Loop: Header=BB197_4 Depth=2
	ds_store_b32 v21, v3
.LBB197_14:                             ;   in Loop: Header=BB197_4 Depth=2
	s_or_b32 exec_lo, exec_lo, s14
	s_waitcnt lgkmcnt(0)
	s_barrier
	buffer_gl0_inv
	s_and_saveexec_b32 s14, s9
	s_cbranch_execz .LBB197_16
; %bb.15:                               ;   in Loop: Header=BB197_4 Depth=2
	v_add_nc_u32_e32 v44, v19, v20
	ds_load_b32 v45, v44
	s_waitcnt lgkmcnt(0)
	v_mov_b32_dpp v46, v45 row_shr:1 row_mask:0xf bank_mask:0xf
	s_delay_alu instid0(VALU_DEP_1) | instskip(NEXT) | instid1(VALU_DEP_1)
	v_cndmask_b32_e64 v46, v46, 0, s12
	v_add_nc_u32_e32 v45, v46, v45
	ds_store_b32 v44, v45
.LBB197_16:                             ;   in Loop: Header=BB197_4 Depth=2
	s_or_b32 exec_lo, exec_lo, s14
	v_mov_b32_e32 v44, 0
	s_waitcnt lgkmcnt(0)
	s_barrier
	buffer_gl0_inv
	s_and_saveexec_b32 s14, s10
	s_cbranch_execz .LBB197_18
; %bb.17:                               ;   in Loop: Header=BB197_4 Depth=2
	ds_load_b32 v44, v24
.LBB197_18:                             ;   in Loop: Header=BB197_4 Depth=2
	s_or_b32 exec_lo, exec_lo, s14
	s_waitcnt lgkmcnt(0)
	v_add_nc_u32_e32 v3, v44, v3
	s_cmp_gt_u32 s15, 23
	ds_bpermute_b32 v3, v23, v3
	s_waitcnt lgkmcnt(0)
	v_cndmask_b32_e64 v3, v3, v44, s0
	s_delay_alu instid0(VALU_DEP_1) | instskip(NEXT) | instid1(VALU_DEP_1)
	v_cndmask_b32_e64 v3, v3, 0, s11
	v_add_nc_u32_e32 v4, v3, v4
	s_delay_alu instid0(VALU_DEP_1) | instskip(NEXT) | instid1(VALU_DEP_1)
	v_add_nc_u32_e32 v5, v4, v5
	v_add_nc_u32_e32 v6, v5, v6
	s_delay_alu instid0(VALU_DEP_1) | instskip(NEXT) | instid1(VALU_DEP_1)
	v_add_nc_u32_e32 v44, v6, v7
	;; [unrolled: 3-line block ×3, first 2 shown]
	v_add_nc_u32_e32 v1, v0, v2
	ds_store_2addr_b64 v19, v[3:4], v[5:6] offset0:1 offset1:2
	ds_store_2addr_b64 v22, v[44:45], v[0:1] offset0:2 offset1:3
	s_waitcnt lgkmcnt(0)
	s_barrier
	buffer_gl0_inv
	ds_load_b32 v0, v34
	ds_load_b32 v1, v37
	;; [unrolled: 1-line block ×4, first 2 shown]
	s_waitcnt lgkmcnt(3)
	v_add_nc_u32_e32 v37, v0, v33
	s_waitcnt lgkmcnt(2)
	v_add3_u32 v35, v36, v35, v1
	s_waitcnt lgkmcnt(1)
	v_add3_u32 v34, v39, v38, v2
	;; [unrolled: 2-line block ×3, first 2 shown]
	s_cbranch_scc0 .LBB197_3
; %bb.19:                               ;   in Loop: Header=BB197_2 Depth=1
                                        ; implicit-def: $vgpr3
                                        ; implicit-def: $vgpr1
                                        ; implicit-def: $vgpr7
                                        ; implicit-def: $vgpr5
                                        ; implicit-def: $sgpr15
	s_branch .LBB197_1
.LBB197_20:
	s_waitcnt lgkmcnt(1)
	v_add_nc_u32_e32 v0, v1, v12
	v_add_nc_u32_e32 v1, v2, v13
	s_waitcnt lgkmcnt(0)
	v_add_nc_u32_e32 v2, v3, v5
	s_add_u32 s0, s18, s20
	v_add_nc_u32_e32 v3, v4, v6
	s_addc_u32 s1, s19, s21
	s_clause 0x3
	global_store_b32 v14, v0, s[0:1]
	global_store_b32 v14, v1, s[0:1] offset:256
	global_store_b32 v14, v2, s[0:1] offset:512
	;; [unrolled: 1-line block ×3, first 2 shown]
	s_nop 0
	s_sendmsg sendmsg(MSG_DEALLOC_VGPRS)
	s_endpgm
	.section	.rodata,"a",@progbits
	.p2align	6, 0x0
	.amdhsa_kernel _Z17sort_pairs_kernelI22helper_blocked_stripediLj64ELj4ELj10EEvPKT0_PS1_
		.amdhsa_group_segment_fixed_size 2064
		.amdhsa_private_segment_fixed_size 0
		.amdhsa_kernarg_size 272
		.amdhsa_user_sgpr_count 15
		.amdhsa_user_sgpr_dispatch_ptr 0
		.amdhsa_user_sgpr_queue_ptr 0
		.amdhsa_user_sgpr_kernarg_segment_ptr 1
		.amdhsa_user_sgpr_dispatch_id 0
		.amdhsa_user_sgpr_private_segment_size 0
		.amdhsa_wavefront_size32 1
		.amdhsa_uses_dynamic_stack 0
		.amdhsa_enable_private_segment 0
		.amdhsa_system_sgpr_workgroup_id_x 1
		.amdhsa_system_sgpr_workgroup_id_y 0
		.amdhsa_system_sgpr_workgroup_id_z 0
		.amdhsa_system_sgpr_workgroup_info 0
		.amdhsa_system_vgpr_workitem_id 2
		.amdhsa_next_free_vgpr 47
		.amdhsa_next_free_sgpr 24
		.amdhsa_reserve_vcc 1
		.amdhsa_float_round_mode_32 0
		.amdhsa_float_round_mode_16_64 0
		.amdhsa_float_denorm_mode_32 3
		.amdhsa_float_denorm_mode_16_64 3
		.amdhsa_dx10_clamp 1
		.amdhsa_ieee_mode 1
		.amdhsa_fp16_overflow 0
		.amdhsa_workgroup_processor_mode 1
		.amdhsa_memory_ordered 1
		.amdhsa_forward_progress 0
		.amdhsa_shared_vgpr_count 0
		.amdhsa_exception_fp_ieee_invalid_op 0
		.amdhsa_exception_fp_denorm_src 0
		.amdhsa_exception_fp_ieee_div_zero 0
		.amdhsa_exception_fp_ieee_overflow 0
		.amdhsa_exception_fp_ieee_underflow 0
		.amdhsa_exception_fp_ieee_inexact 0
		.amdhsa_exception_int_div_zero 0
	.end_amdhsa_kernel
	.section	.text._Z17sort_pairs_kernelI22helper_blocked_stripediLj64ELj4ELj10EEvPKT0_PS1_,"axG",@progbits,_Z17sort_pairs_kernelI22helper_blocked_stripediLj64ELj4ELj10EEvPKT0_PS1_,comdat
.Lfunc_end197:
	.size	_Z17sort_pairs_kernelI22helper_blocked_stripediLj64ELj4ELj10EEvPKT0_PS1_, .Lfunc_end197-_Z17sort_pairs_kernelI22helper_blocked_stripediLj64ELj4ELj10EEvPKT0_PS1_
                                        ; -- End function
	.section	.AMDGPU.csdata,"",@progbits
; Kernel info:
; codeLenInByte = 3360
; NumSgprs: 26
; NumVgprs: 47
; ScratchSize: 0
; MemoryBound: 0
; FloatMode: 240
; IeeeMode: 1
; LDSByteSize: 2064 bytes/workgroup (compile time only)
; SGPRBlocks: 3
; VGPRBlocks: 5
; NumSGPRsForWavesPerEU: 26
; NumVGPRsForWavesPerEU: 47
; Occupancy: 16
; WaveLimiterHint : 1
; COMPUTE_PGM_RSRC2:SCRATCH_EN: 0
; COMPUTE_PGM_RSRC2:USER_SGPR: 15
; COMPUTE_PGM_RSRC2:TRAP_HANDLER: 0
; COMPUTE_PGM_RSRC2:TGID_X_EN: 1
; COMPUTE_PGM_RSRC2:TGID_Y_EN: 0
; COMPUTE_PGM_RSRC2:TGID_Z_EN: 0
; COMPUTE_PGM_RSRC2:TIDIG_COMP_CNT: 2
	.section	.text._Z16sort_keys_kernelI22helper_blocked_stripediLj64ELj8ELj10EEvPKT0_PS1_,"axG",@progbits,_Z16sort_keys_kernelI22helper_blocked_stripediLj64ELj8ELj10EEvPKT0_PS1_,comdat
	.protected	_Z16sort_keys_kernelI22helper_blocked_stripediLj64ELj8ELj10EEvPKT0_PS1_ ; -- Begin function _Z16sort_keys_kernelI22helper_blocked_stripediLj64ELj8ELj10EEvPKT0_PS1_
	.globl	_Z16sort_keys_kernelI22helper_blocked_stripediLj64ELj8ELj10EEvPKT0_PS1_
	.p2align	8
	.type	_Z16sort_keys_kernelI22helper_blocked_stripediLj64ELj8ELj10EEvPKT0_PS1_,@function
_Z16sort_keys_kernelI22helper_blocked_stripediLj64ELj8ELj10EEvPKT0_PS1_: ; @_Z16sort_keys_kernelI22helper_blocked_stripediLj64ELj8ELj10EEvPKT0_PS1_
; %bb.0:
	s_clause 0x1
	s_load_b128 s[16:19], s[0:1], 0x0
	s_load_b32 s2, s[0:1], 0x1c
	s_mov_b32 s21, 0
	s_lshl_b32 s20, s15, 9
	v_bfe_u32 v10, v0, 10, 10
	s_lshl_b64 s[12:13], s[20:21], 2
	s_mov_b32 s20, s21
	v_and_b32_e32 v9, 0x3ff, v0
	v_bfe_u32 v0, v0, 20, 10
	v_mbcnt_lo_u32_b32 v12, -1, 0
	s_mov_b32 s14, s21
	s_mov_b32 s15, s21
	v_lshlrev_b32_e32 v14, 5, v9
	v_lshlrev_b32_e32 v15, 3, v9
	v_cmp_eq_u32_e64 s8, 0, v12
	s_waitcnt lgkmcnt(0)
	s_add_u32 s0, s16, s12
	s_addc_u32 s1, s17, s13
	s_clause 0x1
	global_load_b128 v[1:4], v14, s[0:1]
	global_load_b128 v[5:8], v14, s[0:1] offset:16
	s_lshr_b32 s0, s2, 16
	s_delay_alu instid0(SALU_CYCLE_1)
	v_mad_u32_u24 v0, v0, s0, v10
	s_and_b32 s0, s2, 0xffff
	s_delay_alu instid0(VALU_DEP_1) | instid1(SALU_CYCLE_1)
	v_mad_u64_u32 v[10:11], null, v0, s0, v[9:10]
	v_and_or_b32 v0, 0x100, v15, v12
	v_and_b32_e32 v11, 15, v12
	s_delay_alu instid0(VALU_DEP_1) | instskip(NEXT) | instid1(VALU_DEP_4)
	v_cmp_eq_u32_e64 s0, 0, v11
	v_lshrrev_b32_e32 v18, 5, v10
	v_add_nc_u32_e32 v10, -1, v12
	v_cmp_lt_u32_e64 s1, 1, v11
	v_cmp_lt_u32_e64 s2, 3, v11
	;; [unrolled: 1-line block ×3, first 2 shown]
	s_delay_alu instid0(VALU_DEP_4) | instskip(SKIP_1) | instid1(VALU_DEP_1)
	v_cmp_gt_i32_e32 vcc_lo, 0, v10
	v_and_b32_e32 v13, 32, v9
	v_or_b32_e32 v16, v12, v13
	s_delay_alu instid0(VALU_DEP_1) | instskip(SKIP_2) | instid1(VALU_DEP_1)
	v_lshlrev_b32_e32 v15, 5, v16
	v_lshlrev_b32_e32 v16, 2, v0
	v_and_b32_e32 v0, 16, v12
	v_cmp_eq_u32_e64 s4, 0, v0
	v_cndmask_b32_e32 v0, v10, v12, vcc_lo
	v_lshrrev_b32_e32 v10, 3, v9
	v_or_b32_e32 v13, 31, v13
	s_delay_alu instid0(VALU_DEP_3) | instskip(SKIP_1) | instid1(VALU_DEP_4)
	v_lshlrev_b32_e32 v19, 2, v0
	v_and_b32_e32 v0, 1, v12
	v_and_b32_e32 v20, 4, v10
	v_mov_b32_e32 v10, s20
	v_cmp_eq_u32_e64 s5, v13, v9
	v_dual_mov_b32 v12, s14 :: v_dual_mov_b32 v13, s15
	v_cmp_gt_u32_e64 s6, 2, v9
	v_cmp_lt_u32_e64 s7, 31, v9
	v_cmp_eq_u32_e64 s9, 0, v9
	v_mul_i32_i24_e32 v21, 0xffffffe4, v9
	v_cmp_eq_u32_e64 s10, 0, v0
	v_dual_mov_b32 v11, s21 :: v_dual_add_nc_u32 v22, -4, v20
	v_or_b32_e32 v17, 8, v14
	s_branch .LBB198_2
.LBB198_1:                              ;   in Loop: Header=BB198_2 Depth=1
	v_lshlrev_b32_e32 v0, 2, v40
	v_lshlrev_b32_e32 v1, 2, v37
	s_barrier
	v_lshlrev_b32_e32 v2, 2, v35
	buffer_gl0_inv
	ds_store_b32 v0, v8
	ds_store_b32 v1, v29
	v_lshlrev_b32_e32 v0, 2, v34
	v_lshlrev_b32_e32 v1, 2, v33
	ds_store_b32 v2, v28
	v_add_nc_u32_e32 v7, v14, v21
	v_lshlrev_b32_e32 v2, 2, v32
	ds_store_b32 v0, v27
	v_lshlrev_b32_e32 v0, 2, v30
	v_lshlrev_b32_e32 v3, 2, v31
	ds_store_b32 v1, v26
	ds_store_b32 v2, v25
	;; [unrolled: 1-line block ×4, first 2 shown]
	s_waitcnt lgkmcnt(0)
	s_barrier
	buffer_gl0_inv
	ds_load_2addr_stride64_b32 v[1:2], v7 offset1:1
	ds_load_2addr_stride64_b32 v[3:4], v7 offset0:2 offset1:3
	ds_load_2addr_stride64_b32 v[5:6], v7 offset0:4 offset1:5
	;; [unrolled: 1-line block ×3, first 2 shown]
	s_add_i32 s21, s21, 1
	s_delay_alu instid0(SALU_CYCLE_1)
	s_cmp_eq_u32 s21, 10
	s_waitcnt lgkmcnt(3)
	v_xor_b32_e32 v1, 0x80000000, v1
	v_xor_b32_e32 v2, 0x80000000, v2
	s_waitcnt lgkmcnt(2)
	v_xor_b32_e32 v3, 0x80000000, v3
	v_xor_b32_e32 v4, 0x80000000, v4
	;; [unrolled: 3-line block ×4, first 2 shown]
	s_cbranch_scc1 .LBB198_28
.LBB198_2:                              ; =>This Loop Header: Depth=1
                                        ;     Child Loop BB198_4 Depth 2
	s_waitcnt vmcnt(1)
	v_xor_b32_e32 v0, 0x80000000, v1
	v_xor_b32_e32 v1, 0x80000000, v2
	;; [unrolled: 1-line block ×4, first 2 shown]
	s_waitcnt vmcnt(0)
	v_xor_b32_e32 v4, 0x80000000, v5
	v_xor_b32_e32 v5, 0x80000000, v6
	;; [unrolled: 1-line block ×4, first 2 shown]
	ds_store_2addr_b64 v15, v[0:1], v[2:3] offset1:1
	ds_store_2addr_b64 v15, v[4:5], v[6:7] offset0:2 offset1:3
	; wave barrier
	ds_load_2addr_b32 v[0:1], v16 offset1:32
	ds_load_2addr_b32 v[2:3], v16 offset0:64 offset1:96
	ds_load_2addr_b32 v[4:5], v16 offset0:128 offset1:160
	;; [unrolled: 1-line block ×3, first 2 shown]
	s_mov_b32 s14, 0
	s_waitcnt lgkmcnt(0)
	s_barrier
	buffer_gl0_inv
	; wave barrier
	s_barrier
	s_branch .LBB198_4
.LBB198_3:                              ;   in Loop: Header=BB198_4 Depth=2
	v_lshlrev_b32_e32 v0, 2, v40
	v_lshlrev_b32_e32 v1, 2, v37
	;; [unrolled: 1-line block ×3, first 2 shown]
	s_barrier
	buffer_gl0_inv
	ds_store_b32 v0, v8
	ds_store_b32 v1, v29
	;; [unrolled: 1-line block ×3, first 2 shown]
	v_lshlrev_b32_e32 v0, 2, v34
	v_lshlrev_b32_e32 v1, 2, v33
	;; [unrolled: 1-line block ×5, first 2 shown]
	ds_store_b32 v0, v27
	ds_store_b32 v1, v26
	;; [unrolled: 1-line block ×5, first 2 shown]
	s_waitcnt lgkmcnt(0)
	s_barrier
	buffer_gl0_inv
	ds_load_2addr_b32 v[0:1], v16 offset1:32
	ds_load_2addr_b32 v[2:3], v16 offset0:64 offset1:96
	ds_load_2addr_b32 v[4:5], v16 offset0:128 offset1:160
	;; [unrolled: 1-line block ×3, first 2 shown]
	s_add_i32 s14, s14, 8
	s_waitcnt lgkmcnt(0)
	s_barrier
	s_cbranch_execz .LBB198_1
.LBB198_4:                              ;   Parent Loop BB198_2 Depth=1
                                        ; =>  This Inner Loop Header: Depth=2
	v_mov_b32_e32 v8, v0
	buffer_gl0_inv
	ds_store_2addr_b64 v14, v[10:11], v[12:13] offset0:1 offset1:2
	ds_store_2addr_b64 v17, v[10:11], v[12:13] offset0:2 offset1:3
	s_waitcnt lgkmcnt(0)
	s_barrier
	v_lshrrev_b32_e32 v23, s14, v8
	buffer_gl0_inv
	; wave barrier
	v_lshlrev_b32_e32 v25, 30, v23
	v_bfe_u32 v0, v8, s14, 1
	v_lshlrev_b32_e32 v26, 29, v23
	v_lshlrev_b32_e32 v27, 28, v23
	;; [unrolled: 1-line block ×4, first 2 shown]
	v_add_co_u32 v0, s11, v0, -1
	s_delay_alu instid0(VALU_DEP_1) | instskip(SKIP_3) | instid1(VALU_DEP_4)
	v_cndmask_b32_e64 v24, 0, 1, s11
	v_cmp_gt_i32_e64 s11, 0, v25
	v_lshlrev_b32_e32 v30, 25, v23
	v_lshlrev_b32_e32 v23, 24, v23
	v_cmp_ne_u32_e32 vcc_lo, 0, v24
	v_not_b32_e32 v24, v25
	v_not_b32_e32 v25, v26
	v_xor_b32_e32 v0, vcc_lo, v0
	s_delay_alu instid0(VALU_DEP_3)
	v_ashrrev_i32_e32 v24, 31, v24
	v_cmp_gt_i32_e32 vcc_lo, 0, v26
	v_not_b32_e32 v26, v27
	v_ashrrev_i32_e32 v25, 31, v25
	v_and_b32_e32 v0, exec_lo, v0
	v_xor_b32_e32 v24, s11, v24
	v_cmp_gt_i32_e64 s11, 0, v27
	v_not_b32_e32 v27, v28
	v_ashrrev_i32_e32 v26, 31, v26
	v_xor_b32_e32 v25, vcc_lo, v25
	v_and_b32_e32 v0, v0, v24
	v_cmp_gt_i32_e32 vcc_lo, 0, v28
	v_ashrrev_i32_e32 v27, 31, v27
	v_xor_b32_e32 v26, s11, v26
	v_not_b32_e32 v24, v29
	v_and_b32_e32 v0, v0, v25
	v_cmp_gt_i32_e64 s11, 0, v29
	v_mov_b32_e32 v29, v1
	v_xor_b32_e32 v27, vcc_lo, v27
	v_ashrrev_i32_e32 v24, 31, v24
	v_and_b32_e32 v0, v0, v26
	v_mov_b32_e32 v28, v2
	v_not_b32_e32 v26, v23
	v_bfe_u32 v1, v8, s14, 8
	v_xor_b32_e32 v24, s11, v24
	v_dual_mov_b32 v27, v3 :: v_dual_and_b32 v0, v0, v27
	v_not_b32_e32 v25, v30
	v_cmp_gt_i32_e32 vcc_lo, 0, v30
	v_cmp_gt_i32_e64 s11, 0, v23
	v_ashrrev_i32_e32 v26, 31, v26
	v_and_b32_e32 v0, v0, v24
	v_ashrrev_i32_e32 v25, 31, v25
	v_mov_b32_e32 v23, v7
	v_lshl_add_u32 v1, v1, 1, v18
	v_xor_b32_e32 v7, s11, v26
	v_mov_b32_e32 v24, v6
	v_xor_b32_e32 v25, vcc_lo, v25
	v_mov_b32_e32 v26, v4
	v_lshl_add_u32 v31, v1, 2, 8
	s_delay_alu instid0(VALU_DEP_3) | instskip(NEXT) | instid1(VALU_DEP_1)
	v_dual_mov_b32 v25, v5 :: v_dual_and_b32 v0, v0, v25
	v_and_b32_e32 v0, v0, v7
	s_delay_alu instid0(VALU_DEP_1) | instskip(SKIP_1) | instid1(VALU_DEP_2)
	v_mbcnt_lo_u32_b32 v30, v0, 0
	v_cmp_ne_u32_e64 s11, 0, v0
	v_cmp_eq_u32_e32 vcc_lo, 0, v30
	s_delay_alu instid0(VALU_DEP_2) | instskip(NEXT) | instid1(SALU_CYCLE_1)
	s_and_b32 s15, s11, vcc_lo
	s_and_saveexec_b32 s11, s15
	s_cbranch_execz .LBB198_6
; %bb.5:                                ;   in Loop: Header=BB198_4 Depth=2
	v_bcnt_u32_b32 v0, v0, 0
	ds_store_b32 v31, v0
.LBB198_6:                              ;   in Loop: Header=BB198_4 Depth=2
	s_or_b32 exec_lo, exec_lo, s11
	v_bfe_u32 v0, v29, s14, 1
	v_lshrrev_b32_e32 v1, s14, v29
	; wave barrier
	s_delay_alu instid0(VALU_DEP_2) | instskip(NEXT) | instid1(VALU_DEP_1)
	v_add_co_u32 v0, s11, v0, -1
	v_cndmask_b32_e64 v2, 0, 1, s11
	s_delay_alu instid0(VALU_DEP_3)
	v_lshlrev_b32_e32 v3, 30, v1
	v_lshlrev_b32_e32 v4, 29, v1
	;; [unrolled: 1-line block ×4, first 2 shown]
	v_cmp_ne_u32_e32 vcc_lo, 0, v2
	v_not_b32_e32 v2, v3
	v_cmp_gt_i32_e64 s11, 0, v3
	v_not_b32_e32 v3, v4
	v_lshlrev_b32_e32 v7, 26, v1
	v_xor_b32_e32 v0, vcc_lo, v0
	v_ashrrev_i32_e32 v2, 31, v2
	v_cmp_gt_i32_e32 vcc_lo, 0, v4
	v_not_b32_e32 v4, v5
	v_ashrrev_i32_e32 v3, 31, v3
	v_and_b32_e32 v0, exec_lo, v0
	v_xor_b32_e32 v2, s11, v2
	v_cmp_gt_i32_e64 s11, 0, v5
	v_not_b32_e32 v5, v6
	v_ashrrev_i32_e32 v4, 31, v4
	v_xor_b32_e32 v3, vcc_lo, v3
	v_and_b32_e32 v0, v0, v2
	v_cmp_gt_i32_e32 vcc_lo, 0, v6
	v_not_b32_e32 v2, v7
	v_ashrrev_i32_e32 v5, 31, v5
	v_xor_b32_e32 v4, s11, v4
	v_and_b32_e32 v0, v0, v3
	v_lshlrev_b32_e32 v3, 25, v1
	v_cmp_gt_i32_e64 s11, 0, v7
	v_ashrrev_i32_e32 v2, 31, v2
	v_xor_b32_e32 v5, vcc_lo, v5
	v_and_b32_e32 v0, v0, v4
	v_not_b32_e32 v6, v3
	v_lshlrev_b32_e32 v1, 24, v1
	v_bfe_u32 v4, v29, s14, 8
	v_xor_b32_e32 v2, s11, v2
	v_and_b32_e32 v0, v0, v5
	v_cmp_gt_i32_e32 vcc_lo, 0, v3
	v_ashrrev_i32_e32 v3, 31, v6
	v_not_b32_e32 v5, v1
	v_lshlrev_b32_e32 v4, 1, v4
	v_and_b32_e32 v0, v0, v2
	s_delay_alu instid0(VALU_DEP_4) | instskip(SKIP_3) | instid1(VALU_DEP_4)
	v_xor_b32_e32 v2, vcc_lo, v3
	v_cmp_gt_i32_e32 vcc_lo, 0, v1
	v_ashrrev_i32_e32 v1, 31, v5
	v_add_lshl_u32 v3, v4, v18, 2
	v_and_b32_e32 v0, v0, v2
	s_delay_alu instid0(VALU_DEP_3) | instskip(SKIP_3) | instid1(VALU_DEP_1)
	v_xor_b32_e32 v1, vcc_lo, v1
	ds_load_b32 v32, v3 offset:8
	v_add_nc_u32_e32 v34, 8, v3
	; wave barrier
	v_and_b32_e32 v0, v0, v1
	v_mbcnt_lo_u32_b32 v33, v0, 0
	v_cmp_ne_u32_e64 s11, 0, v0
	s_delay_alu instid0(VALU_DEP_2) | instskip(NEXT) | instid1(VALU_DEP_2)
	v_cmp_eq_u32_e32 vcc_lo, 0, v33
	s_and_b32 s15, s11, vcc_lo
	s_delay_alu instid0(SALU_CYCLE_1)
	s_and_saveexec_b32 s11, s15
	s_cbranch_execz .LBB198_8
; %bb.7:                                ;   in Loop: Header=BB198_4 Depth=2
	s_waitcnt lgkmcnt(0)
	v_bcnt_u32_b32 v0, v0, v32
	ds_store_b32 v34, v0
.LBB198_8:                              ;   in Loop: Header=BB198_4 Depth=2
	s_or_b32 exec_lo, exec_lo, s11
	v_bfe_u32 v0, v28, s14, 1
	v_lshrrev_b32_e32 v1, s14, v28
	; wave barrier
	s_delay_alu instid0(VALU_DEP_2) | instskip(NEXT) | instid1(VALU_DEP_1)
	v_add_co_u32 v0, s11, v0, -1
	v_cndmask_b32_e64 v2, 0, 1, s11
	s_delay_alu instid0(VALU_DEP_3)
	v_lshlrev_b32_e32 v3, 30, v1
	v_lshlrev_b32_e32 v4, 29, v1
	;; [unrolled: 1-line block ×4, first 2 shown]
	v_cmp_ne_u32_e32 vcc_lo, 0, v2
	v_not_b32_e32 v2, v3
	v_cmp_gt_i32_e64 s11, 0, v3
	v_not_b32_e32 v3, v4
	v_lshlrev_b32_e32 v7, 26, v1
	v_xor_b32_e32 v0, vcc_lo, v0
	v_ashrrev_i32_e32 v2, 31, v2
	v_cmp_gt_i32_e32 vcc_lo, 0, v4
	v_not_b32_e32 v4, v5
	v_ashrrev_i32_e32 v3, 31, v3
	v_and_b32_e32 v0, exec_lo, v0
	v_xor_b32_e32 v2, s11, v2
	v_cmp_gt_i32_e64 s11, 0, v5
	v_not_b32_e32 v5, v6
	v_ashrrev_i32_e32 v4, 31, v4
	v_xor_b32_e32 v3, vcc_lo, v3
	v_and_b32_e32 v0, v0, v2
	v_cmp_gt_i32_e32 vcc_lo, 0, v6
	v_not_b32_e32 v2, v7
	v_ashrrev_i32_e32 v5, 31, v5
	v_xor_b32_e32 v4, s11, v4
	v_and_b32_e32 v0, v0, v3
	v_lshlrev_b32_e32 v3, 25, v1
	v_cmp_gt_i32_e64 s11, 0, v7
	v_ashrrev_i32_e32 v2, 31, v2
	v_xor_b32_e32 v5, vcc_lo, v5
	v_and_b32_e32 v0, v0, v4
	v_not_b32_e32 v6, v3
	v_lshlrev_b32_e32 v1, 24, v1
	v_bfe_u32 v4, v28, s14, 8
	v_xor_b32_e32 v2, s11, v2
	v_and_b32_e32 v0, v0, v5
	v_cmp_gt_i32_e32 vcc_lo, 0, v3
	v_ashrrev_i32_e32 v3, 31, v6
	v_not_b32_e32 v5, v1
	v_lshlrev_b32_e32 v4, 1, v4
	v_and_b32_e32 v0, v0, v2
	s_delay_alu instid0(VALU_DEP_4) | instskip(SKIP_3) | instid1(VALU_DEP_4)
	v_xor_b32_e32 v2, vcc_lo, v3
	v_cmp_gt_i32_e32 vcc_lo, 0, v1
	v_ashrrev_i32_e32 v1, 31, v5
	v_add_lshl_u32 v3, v4, v18, 2
	v_and_b32_e32 v0, v0, v2
	s_delay_alu instid0(VALU_DEP_3) | instskip(SKIP_3) | instid1(VALU_DEP_1)
	v_xor_b32_e32 v1, vcc_lo, v1
	ds_load_b32 v35, v3 offset:8
	v_add_nc_u32_e32 v37, 8, v3
	; wave barrier
	v_and_b32_e32 v0, v0, v1
	v_mbcnt_lo_u32_b32 v36, v0, 0
	v_cmp_ne_u32_e64 s11, 0, v0
	s_delay_alu instid0(VALU_DEP_2) | instskip(NEXT) | instid1(VALU_DEP_2)
	v_cmp_eq_u32_e32 vcc_lo, 0, v36
	s_and_b32 s15, s11, vcc_lo
	s_delay_alu instid0(SALU_CYCLE_1)
	s_and_saveexec_b32 s11, s15
	s_cbranch_execz .LBB198_10
; %bb.9:                                ;   in Loop: Header=BB198_4 Depth=2
	s_waitcnt lgkmcnt(0)
	v_bcnt_u32_b32 v0, v0, v35
	ds_store_b32 v37, v0
.LBB198_10:                             ;   in Loop: Header=BB198_4 Depth=2
	s_or_b32 exec_lo, exec_lo, s11
	v_bfe_u32 v0, v27, s14, 1
	v_lshrrev_b32_e32 v1, s14, v27
	; wave barrier
	s_delay_alu instid0(VALU_DEP_2) | instskip(NEXT) | instid1(VALU_DEP_1)
	v_add_co_u32 v0, s11, v0, -1
	v_cndmask_b32_e64 v2, 0, 1, s11
	s_delay_alu instid0(VALU_DEP_3)
	v_lshlrev_b32_e32 v3, 30, v1
	v_lshlrev_b32_e32 v4, 29, v1
	;; [unrolled: 1-line block ×4, first 2 shown]
	v_cmp_ne_u32_e32 vcc_lo, 0, v2
	v_not_b32_e32 v2, v3
	v_cmp_gt_i32_e64 s11, 0, v3
	v_not_b32_e32 v3, v4
	v_lshlrev_b32_e32 v7, 26, v1
	v_xor_b32_e32 v0, vcc_lo, v0
	v_ashrrev_i32_e32 v2, 31, v2
	v_cmp_gt_i32_e32 vcc_lo, 0, v4
	v_not_b32_e32 v4, v5
	v_ashrrev_i32_e32 v3, 31, v3
	v_and_b32_e32 v0, exec_lo, v0
	v_xor_b32_e32 v2, s11, v2
	v_cmp_gt_i32_e64 s11, 0, v5
	v_not_b32_e32 v5, v6
	v_ashrrev_i32_e32 v4, 31, v4
	v_xor_b32_e32 v3, vcc_lo, v3
	v_and_b32_e32 v0, v0, v2
	v_cmp_gt_i32_e32 vcc_lo, 0, v6
	v_not_b32_e32 v2, v7
	v_ashrrev_i32_e32 v5, 31, v5
	v_xor_b32_e32 v4, s11, v4
	v_and_b32_e32 v0, v0, v3
	v_lshlrev_b32_e32 v3, 25, v1
	v_cmp_gt_i32_e64 s11, 0, v7
	v_ashrrev_i32_e32 v2, 31, v2
	v_xor_b32_e32 v5, vcc_lo, v5
	v_and_b32_e32 v0, v0, v4
	v_not_b32_e32 v6, v3
	v_lshlrev_b32_e32 v1, 24, v1
	v_bfe_u32 v4, v27, s14, 8
	v_xor_b32_e32 v2, s11, v2
	v_and_b32_e32 v0, v0, v5
	v_cmp_gt_i32_e32 vcc_lo, 0, v3
	v_ashrrev_i32_e32 v3, 31, v6
	v_not_b32_e32 v5, v1
	v_lshlrev_b32_e32 v4, 1, v4
	v_and_b32_e32 v0, v0, v2
	s_delay_alu instid0(VALU_DEP_4) | instskip(SKIP_3) | instid1(VALU_DEP_4)
	v_xor_b32_e32 v2, vcc_lo, v3
	v_cmp_gt_i32_e32 vcc_lo, 0, v1
	v_ashrrev_i32_e32 v1, 31, v5
	v_add_lshl_u32 v3, v4, v18, 2
	v_and_b32_e32 v0, v0, v2
	s_delay_alu instid0(VALU_DEP_3) | instskip(SKIP_3) | instid1(VALU_DEP_1)
	v_xor_b32_e32 v1, vcc_lo, v1
	ds_load_b32 v38, v3 offset:8
	v_add_nc_u32_e32 v40, 8, v3
	; wave barrier
	v_and_b32_e32 v0, v0, v1
	v_mbcnt_lo_u32_b32 v39, v0, 0
	v_cmp_ne_u32_e64 s11, 0, v0
	s_delay_alu instid0(VALU_DEP_2) | instskip(NEXT) | instid1(VALU_DEP_2)
	v_cmp_eq_u32_e32 vcc_lo, 0, v39
	s_and_b32 s15, s11, vcc_lo
	s_delay_alu instid0(SALU_CYCLE_1)
	s_and_saveexec_b32 s11, s15
	s_cbranch_execz .LBB198_12
; %bb.11:                               ;   in Loop: Header=BB198_4 Depth=2
	s_waitcnt lgkmcnt(0)
	v_bcnt_u32_b32 v0, v0, v38
	ds_store_b32 v40, v0
.LBB198_12:                             ;   in Loop: Header=BB198_4 Depth=2
	s_or_b32 exec_lo, exec_lo, s11
	v_bfe_u32 v0, v26, s14, 1
	v_lshrrev_b32_e32 v1, s14, v26
	; wave barrier
	s_delay_alu instid0(VALU_DEP_2) | instskip(NEXT) | instid1(VALU_DEP_1)
	v_add_co_u32 v0, s11, v0, -1
	v_cndmask_b32_e64 v2, 0, 1, s11
	s_delay_alu instid0(VALU_DEP_3)
	v_lshlrev_b32_e32 v3, 30, v1
	v_lshlrev_b32_e32 v4, 29, v1
	;; [unrolled: 1-line block ×4, first 2 shown]
	v_cmp_ne_u32_e32 vcc_lo, 0, v2
	v_not_b32_e32 v2, v3
	v_cmp_gt_i32_e64 s11, 0, v3
	v_not_b32_e32 v3, v4
	v_lshlrev_b32_e32 v7, 26, v1
	v_xor_b32_e32 v0, vcc_lo, v0
	v_ashrrev_i32_e32 v2, 31, v2
	v_cmp_gt_i32_e32 vcc_lo, 0, v4
	v_not_b32_e32 v4, v5
	v_ashrrev_i32_e32 v3, 31, v3
	v_and_b32_e32 v0, exec_lo, v0
	v_xor_b32_e32 v2, s11, v2
	v_cmp_gt_i32_e64 s11, 0, v5
	v_not_b32_e32 v5, v6
	v_ashrrev_i32_e32 v4, 31, v4
	v_xor_b32_e32 v3, vcc_lo, v3
	v_and_b32_e32 v0, v0, v2
	v_cmp_gt_i32_e32 vcc_lo, 0, v6
	v_not_b32_e32 v2, v7
	v_ashrrev_i32_e32 v5, 31, v5
	v_xor_b32_e32 v4, s11, v4
	v_and_b32_e32 v0, v0, v3
	v_lshlrev_b32_e32 v3, 25, v1
	v_cmp_gt_i32_e64 s11, 0, v7
	v_ashrrev_i32_e32 v2, 31, v2
	v_xor_b32_e32 v5, vcc_lo, v5
	v_and_b32_e32 v0, v0, v4
	v_not_b32_e32 v6, v3
	v_lshlrev_b32_e32 v1, 24, v1
	v_bfe_u32 v4, v26, s14, 8
	v_xor_b32_e32 v2, s11, v2
	v_and_b32_e32 v0, v0, v5
	v_cmp_gt_i32_e32 vcc_lo, 0, v3
	v_ashrrev_i32_e32 v3, 31, v6
	v_not_b32_e32 v5, v1
	v_lshlrev_b32_e32 v4, 1, v4
	v_and_b32_e32 v0, v0, v2
	s_delay_alu instid0(VALU_DEP_4) | instskip(SKIP_3) | instid1(VALU_DEP_4)
	v_xor_b32_e32 v2, vcc_lo, v3
	v_cmp_gt_i32_e32 vcc_lo, 0, v1
	v_ashrrev_i32_e32 v1, 31, v5
	v_add_lshl_u32 v3, v4, v18, 2
	v_and_b32_e32 v0, v0, v2
	s_delay_alu instid0(VALU_DEP_3) | instskip(SKIP_3) | instid1(VALU_DEP_1)
	v_xor_b32_e32 v1, vcc_lo, v1
	ds_load_b32 v41, v3 offset:8
	v_add_nc_u32_e32 v43, 8, v3
	; wave barrier
	v_and_b32_e32 v0, v0, v1
	v_mbcnt_lo_u32_b32 v42, v0, 0
	v_cmp_ne_u32_e64 s11, 0, v0
	s_delay_alu instid0(VALU_DEP_2) | instskip(NEXT) | instid1(VALU_DEP_2)
	v_cmp_eq_u32_e32 vcc_lo, 0, v42
	s_and_b32 s15, s11, vcc_lo
	s_delay_alu instid0(SALU_CYCLE_1)
	s_and_saveexec_b32 s11, s15
	s_cbranch_execz .LBB198_14
; %bb.13:                               ;   in Loop: Header=BB198_4 Depth=2
	s_waitcnt lgkmcnt(0)
	v_bcnt_u32_b32 v0, v0, v41
	ds_store_b32 v43, v0
.LBB198_14:                             ;   in Loop: Header=BB198_4 Depth=2
	s_or_b32 exec_lo, exec_lo, s11
	v_bfe_u32 v0, v25, s14, 1
	v_lshrrev_b32_e32 v1, s14, v25
	; wave barrier
	s_delay_alu instid0(VALU_DEP_2) | instskip(NEXT) | instid1(VALU_DEP_1)
	v_add_co_u32 v0, s11, v0, -1
	v_cndmask_b32_e64 v2, 0, 1, s11
	s_delay_alu instid0(VALU_DEP_3)
	v_lshlrev_b32_e32 v3, 30, v1
	v_lshlrev_b32_e32 v4, 29, v1
	;; [unrolled: 1-line block ×4, first 2 shown]
	v_cmp_ne_u32_e32 vcc_lo, 0, v2
	v_not_b32_e32 v2, v3
	v_cmp_gt_i32_e64 s11, 0, v3
	v_not_b32_e32 v3, v4
	v_lshlrev_b32_e32 v7, 26, v1
	v_xor_b32_e32 v0, vcc_lo, v0
	v_ashrrev_i32_e32 v2, 31, v2
	v_cmp_gt_i32_e32 vcc_lo, 0, v4
	v_not_b32_e32 v4, v5
	v_ashrrev_i32_e32 v3, 31, v3
	v_and_b32_e32 v0, exec_lo, v0
	v_xor_b32_e32 v2, s11, v2
	v_cmp_gt_i32_e64 s11, 0, v5
	v_not_b32_e32 v5, v6
	v_ashrrev_i32_e32 v4, 31, v4
	v_xor_b32_e32 v3, vcc_lo, v3
	v_and_b32_e32 v0, v0, v2
	v_cmp_gt_i32_e32 vcc_lo, 0, v6
	v_not_b32_e32 v2, v7
	v_ashrrev_i32_e32 v5, 31, v5
	v_xor_b32_e32 v4, s11, v4
	v_and_b32_e32 v0, v0, v3
	v_lshlrev_b32_e32 v3, 25, v1
	v_cmp_gt_i32_e64 s11, 0, v7
	v_ashrrev_i32_e32 v2, 31, v2
	v_xor_b32_e32 v5, vcc_lo, v5
	v_and_b32_e32 v0, v0, v4
	v_not_b32_e32 v6, v3
	v_lshlrev_b32_e32 v1, 24, v1
	v_bfe_u32 v4, v25, s14, 8
	v_xor_b32_e32 v2, s11, v2
	v_and_b32_e32 v0, v0, v5
	v_cmp_gt_i32_e32 vcc_lo, 0, v3
	v_ashrrev_i32_e32 v3, 31, v6
	v_not_b32_e32 v5, v1
	v_lshlrev_b32_e32 v4, 1, v4
	v_and_b32_e32 v0, v0, v2
	s_delay_alu instid0(VALU_DEP_4) | instskip(SKIP_3) | instid1(VALU_DEP_4)
	v_xor_b32_e32 v2, vcc_lo, v3
	v_cmp_gt_i32_e32 vcc_lo, 0, v1
	v_ashrrev_i32_e32 v1, 31, v5
	v_add_lshl_u32 v3, v4, v18, 2
	v_and_b32_e32 v0, v0, v2
	s_delay_alu instid0(VALU_DEP_3) | instskip(SKIP_3) | instid1(VALU_DEP_1)
	v_xor_b32_e32 v1, vcc_lo, v1
	ds_load_b32 v44, v3 offset:8
	v_add_nc_u32_e32 v46, 8, v3
	; wave barrier
	v_and_b32_e32 v0, v0, v1
	v_mbcnt_lo_u32_b32 v45, v0, 0
	v_cmp_ne_u32_e64 s11, 0, v0
	s_delay_alu instid0(VALU_DEP_2) | instskip(NEXT) | instid1(VALU_DEP_2)
	v_cmp_eq_u32_e32 vcc_lo, 0, v45
	s_and_b32 s15, s11, vcc_lo
	s_delay_alu instid0(SALU_CYCLE_1)
	s_and_saveexec_b32 s11, s15
	s_cbranch_execz .LBB198_16
; %bb.15:                               ;   in Loop: Header=BB198_4 Depth=2
	s_waitcnt lgkmcnt(0)
	v_bcnt_u32_b32 v0, v0, v44
	ds_store_b32 v46, v0
.LBB198_16:                             ;   in Loop: Header=BB198_4 Depth=2
	s_or_b32 exec_lo, exec_lo, s11
	v_bfe_u32 v0, v24, s14, 1
	v_lshrrev_b32_e32 v1, s14, v24
	; wave barrier
	s_delay_alu instid0(VALU_DEP_2) | instskip(NEXT) | instid1(VALU_DEP_1)
	v_add_co_u32 v0, s11, v0, -1
	v_cndmask_b32_e64 v2, 0, 1, s11
	s_delay_alu instid0(VALU_DEP_3)
	v_lshlrev_b32_e32 v3, 30, v1
	v_lshlrev_b32_e32 v4, 29, v1
	;; [unrolled: 1-line block ×4, first 2 shown]
	v_cmp_ne_u32_e32 vcc_lo, 0, v2
	v_not_b32_e32 v2, v3
	v_cmp_gt_i32_e64 s11, 0, v3
	v_not_b32_e32 v3, v4
	v_lshlrev_b32_e32 v7, 26, v1
	v_xor_b32_e32 v0, vcc_lo, v0
	v_ashrrev_i32_e32 v2, 31, v2
	v_cmp_gt_i32_e32 vcc_lo, 0, v4
	v_not_b32_e32 v4, v5
	v_ashrrev_i32_e32 v3, 31, v3
	v_and_b32_e32 v0, exec_lo, v0
	v_xor_b32_e32 v2, s11, v2
	v_cmp_gt_i32_e64 s11, 0, v5
	v_not_b32_e32 v5, v6
	v_ashrrev_i32_e32 v4, 31, v4
	v_xor_b32_e32 v3, vcc_lo, v3
	v_and_b32_e32 v0, v0, v2
	v_cmp_gt_i32_e32 vcc_lo, 0, v6
	v_not_b32_e32 v2, v7
	v_ashrrev_i32_e32 v5, 31, v5
	v_xor_b32_e32 v4, s11, v4
	v_and_b32_e32 v0, v0, v3
	v_lshlrev_b32_e32 v3, 25, v1
	v_cmp_gt_i32_e64 s11, 0, v7
	v_ashrrev_i32_e32 v2, 31, v2
	v_xor_b32_e32 v5, vcc_lo, v5
	v_and_b32_e32 v0, v0, v4
	v_not_b32_e32 v6, v3
	v_lshlrev_b32_e32 v1, 24, v1
	v_bfe_u32 v4, v24, s14, 8
	v_xor_b32_e32 v2, s11, v2
	v_and_b32_e32 v0, v0, v5
	v_cmp_gt_i32_e32 vcc_lo, 0, v3
	v_ashrrev_i32_e32 v3, 31, v6
	v_not_b32_e32 v5, v1
	v_lshlrev_b32_e32 v4, 1, v4
	v_and_b32_e32 v0, v0, v2
	s_delay_alu instid0(VALU_DEP_4) | instskip(SKIP_3) | instid1(VALU_DEP_4)
	v_xor_b32_e32 v2, vcc_lo, v3
	v_cmp_gt_i32_e32 vcc_lo, 0, v1
	v_ashrrev_i32_e32 v1, 31, v5
	v_add_lshl_u32 v3, v4, v18, 2
	v_and_b32_e32 v0, v0, v2
	s_delay_alu instid0(VALU_DEP_3) | instskip(SKIP_3) | instid1(VALU_DEP_1)
	v_xor_b32_e32 v1, vcc_lo, v1
	ds_load_b32 v47, v3 offset:8
	v_add_nc_u32_e32 v49, 8, v3
	; wave barrier
	v_and_b32_e32 v0, v0, v1
	v_mbcnt_lo_u32_b32 v48, v0, 0
	v_cmp_ne_u32_e64 s11, 0, v0
	s_delay_alu instid0(VALU_DEP_2) | instskip(NEXT) | instid1(VALU_DEP_2)
	v_cmp_eq_u32_e32 vcc_lo, 0, v48
	s_and_b32 s15, s11, vcc_lo
	s_delay_alu instid0(SALU_CYCLE_1)
	s_and_saveexec_b32 s11, s15
	s_cbranch_execz .LBB198_18
; %bb.17:                               ;   in Loop: Header=BB198_4 Depth=2
	s_waitcnt lgkmcnt(0)
	v_bcnt_u32_b32 v0, v0, v47
	ds_store_b32 v49, v0
.LBB198_18:                             ;   in Loop: Header=BB198_4 Depth=2
	s_or_b32 exec_lo, exec_lo, s11
	v_bfe_u32 v0, v23, s14, 1
	v_lshrrev_b32_e32 v1, s14, v23
	; wave barrier
	s_delay_alu instid0(VALU_DEP_2) | instskip(NEXT) | instid1(VALU_DEP_1)
	v_add_co_u32 v0, s11, v0, -1
	v_cndmask_b32_e64 v2, 0, 1, s11
	s_delay_alu instid0(VALU_DEP_3)
	v_lshlrev_b32_e32 v3, 30, v1
	v_lshlrev_b32_e32 v4, 29, v1
	;; [unrolled: 1-line block ×4, first 2 shown]
	v_cmp_ne_u32_e32 vcc_lo, 0, v2
	v_not_b32_e32 v2, v3
	v_cmp_gt_i32_e64 s11, 0, v3
	v_not_b32_e32 v3, v4
	v_lshlrev_b32_e32 v7, 26, v1
	v_xor_b32_e32 v0, vcc_lo, v0
	v_ashrrev_i32_e32 v2, 31, v2
	v_cmp_gt_i32_e32 vcc_lo, 0, v4
	v_not_b32_e32 v4, v5
	v_ashrrev_i32_e32 v3, 31, v3
	v_and_b32_e32 v0, exec_lo, v0
	v_xor_b32_e32 v2, s11, v2
	v_cmp_gt_i32_e64 s11, 0, v5
	v_not_b32_e32 v5, v6
	v_ashrrev_i32_e32 v4, 31, v4
	v_xor_b32_e32 v3, vcc_lo, v3
	v_and_b32_e32 v0, v0, v2
	v_cmp_gt_i32_e32 vcc_lo, 0, v6
	v_not_b32_e32 v2, v7
	v_ashrrev_i32_e32 v5, 31, v5
	v_xor_b32_e32 v4, s11, v4
	v_and_b32_e32 v0, v0, v3
	v_lshlrev_b32_e32 v3, 25, v1
	v_cmp_gt_i32_e64 s11, 0, v7
	v_ashrrev_i32_e32 v2, 31, v2
	v_xor_b32_e32 v5, vcc_lo, v5
	v_and_b32_e32 v0, v0, v4
	v_not_b32_e32 v6, v3
	v_lshlrev_b32_e32 v1, 24, v1
	v_bfe_u32 v4, v23, s14, 8
	v_xor_b32_e32 v2, s11, v2
	v_and_b32_e32 v0, v0, v5
	v_cmp_gt_i32_e32 vcc_lo, 0, v3
	v_ashrrev_i32_e32 v3, 31, v6
	v_not_b32_e32 v5, v1
	v_lshlrev_b32_e32 v4, 1, v4
	v_and_b32_e32 v0, v0, v2
	s_delay_alu instid0(VALU_DEP_4) | instskip(SKIP_3) | instid1(VALU_DEP_4)
	v_xor_b32_e32 v2, vcc_lo, v3
	v_cmp_gt_i32_e32 vcc_lo, 0, v1
	v_ashrrev_i32_e32 v1, 31, v5
	v_add_lshl_u32 v3, v4, v18, 2
	v_and_b32_e32 v0, v0, v2
	s_delay_alu instid0(VALU_DEP_3) | instskip(SKIP_3) | instid1(VALU_DEP_1)
	v_xor_b32_e32 v1, vcc_lo, v1
	ds_load_b32 v50, v3 offset:8
	v_add_nc_u32_e32 v52, 8, v3
	; wave barrier
	v_and_b32_e32 v0, v0, v1
	v_mbcnt_lo_u32_b32 v51, v0, 0
	v_cmp_ne_u32_e64 s11, 0, v0
	s_delay_alu instid0(VALU_DEP_2) | instskip(NEXT) | instid1(VALU_DEP_2)
	v_cmp_eq_u32_e32 vcc_lo, 0, v51
	s_and_b32 s15, s11, vcc_lo
	s_delay_alu instid0(SALU_CYCLE_1)
	s_and_saveexec_b32 s11, s15
	s_cbranch_execz .LBB198_20
; %bb.19:                               ;   in Loop: Header=BB198_4 Depth=2
	s_waitcnt lgkmcnt(0)
	v_bcnt_u32_b32 v0, v0, v50
	ds_store_b32 v52, v0
.LBB198_20:                             ;   in Loop: Header=BB198_4 Depth=2
	s_or_b32 exec_lo, exec_lo, s11
	; wave barrier
	s_waitcnt lgkmcnt(0)
	s_barrier
	buffer_gl0_inv
	ds_load_2addr_b64 v[4:7], v14 offset0:1 offset1:2
	ds_load_2addr_b64 v[0:3], v17 offset0:2 offset1:3
	s_waitcnt lgkmcnt(1)
	v_add_nc_u32_e32 v53, v5, v4
	s_delay_alu instid0(VALU_DEP_1) | instskip(SKIP_1) | instid1(VALU_DEP_1)
	v_add3_u32 v53, v53, v6, v7
	s_waitcnt lgkmcnt(0)
	v_add3_u32 v53, v53, v0, v1
	s_delay_alu instid0(VALU_DEP_1) | instskip(NEXT) | instid1(VALU_DEP_1)
	v_add3_u32 v3, v53, v2, v3
	v_mov_b32_dpp v53, v3 row_shr:1 row_mask:0xf bank_mask:0xf
	s_delay_alu instid0(VALU_DEP_1) | instskip(NEXT) | instid1(VALU_DEP_1)
	v_cndmask_b32_e64 v53, v53, 0, s0
	v_add_nc_u32_e32 v3, v53, v3
	s_delay_alu instid0(VALU_DEP_1) | instskip(NEXT) | instid1(VALU_DEP_1)
	v_mov_b32_dpp v53, v3 row_shr:2 row_mask:0xf bank_mask:0xf
	v_cndmask_b32_e64 v53, 0, v53, s1
	s_delay_alu instid0(VALU_DEP_1) | instskip(NEXT) | instid1(VALU_DEP_1)
	v_add_nc_u32_e32 v3, v3, v53
	v_mov_b32_dpp v53, v3 row_shr:4 row_mask:0xf bank_mask:0xf
	s_delay_alu instid0(VALU_DEP_1) | instskip(NEXT) | instid1(VALU_DEP_1)
	v_cndmask_b32_e64 v53, 0, v53, s2
	v_add_nc_u32_e32 v3, v3, v53
	s_delay_alu instid0(VALU_DEP_1) | instskip(NEXT) | instid1(VALU_DEP_1)
	v_mov_b32_dpp v53, v3 row_shr:8 row_mask:0xf bank_mask:0xf
	v_cndmask_b32_e64 v53, 0, v53, s3
	s_delay_alu instid0(VALU_DEP_1) | instskip(SKIP_3) | instid1(VALU_DEP_1)
	v_add_nc_u32_e32 v3, v3, v53
	ds_swizzle_b32 v53, v3 offset:swizzle(BROADCAST,32,15)
	s_waitcnt lgkmcnt(0)
	v_cndmask_b32_e64 v53, v53, 0, s4
	v_add_nc_u32_e32 v3, v3, v53
	s_and_saveexec_b32 s11, s5
	s_cbranch_execz .LBB198_22
; %bb.21:                               ;   in Loop: Header=BB198_4 Depth=2
	ds_store_b32 v20, v3
.LBB198_22:                             ;   in Loop: Header=BB198_4 Depth=2
	s_or_b32 exec_lo, exec_lo, s11
	s_waitcnt lgkmcnt(0)
	s_barrier
	buffer_gl0_inv
	s_and_saveexec_b32 s11, s6
	s_cbranch_execz .LBB198_24
; %bb.23:                               ;   in Loop: Header=BB198_4 Depth=2
	v_add_nc_u32_e32 v53, v14, v21
	ds_load_b32 v54, v53
	s_waitcnt lgkmcnt(0)
	v_mov_b32_dpp v55, v54 row_shr:1 row_mask:0xf bank_mask:0xf
	s_delay_alu instid0(VALU_DEP_1) | instskip(NEXT) | instid1(VALU_DEP_1)
	v_cndmask_b32_e64 v55, v55, 0, s10
	v_add_nc_u32_e32 v54, v55, v54
	ds_store_b32 v53, v54
.LBB198_24:                             ;   in Loop: Header=BB198_4 Depth=2
	s_or_b32 exec_lo, exec_lo, s11
	v_mov_b32_e32 v53, 0
	s_waitcnt lgkmcnt(0)
	s_barrier
	buffer_gl0_inv
	s_and_saveexec_b32 s11, s7
	s_cbranch_execz .LBB198_26
; %bb.25:                               ;   in Loop: Header=BB198_4 Depth=2
	ds_load_b32 v53, v22
.LBB198_26:                             ;   in Loop: Header=BB198_4 Depth=2
	s_or_b32 exec_lo, exec_lo, s11
	s_waitcnt lgkmcnt(0)
	v_add_nc_u32_e32 v3, v53, v3
	s_cmp_gt_u32 s14, 23
	ds_bpermute_b32 v3, v19, v3
	s_waitcnt lgkmcnt(0)
	v_cndmask_b32_e64 v3, v3, v53, s8
	s_delay_alu instid0(VALU_DEP_1) | instskip(NEXT) | instid1(VALU_DEP_1)
	v_cndmask_b32_e64 v3, v3, 0, s9
	v_add_nc_u32_e32 v4, v3, v4
	s_delay_alu instid0(VALU_DEP_1) | instskip(NEXT) | instid1(VALU_DEP_1)
	v_add_nc_u32_e32 v5, v4, v5
	v_add_nc_u32_e32 v6, v5, v6
	s_delay_alu instid0(VALU_DEP_1) | instskip(NEXT) | instid1(VALU_DEP_1)
	v_add_nc_u32_e32 v53, v6, v7
	;; [unrolled: 3-line block ×3, first 2 shown]
	v_add_nc_u32_e32 v1, v0, v2
	ds_store_2addr_b64 v14, v[3:4], v[5:6] offset0:1 offset1:2
	ds_store_2addr_b64 v17, v[53:54], v[0:1] offset0:2 offset1:3
	s_waitcnt lgkmcnt(0)
	s_barrier
	buffer_gl0_inv
	ds_load_b32 v0, v31
	ds_load_b32 v1, v34
	;; [unrolled: 1-line block ×8, first 2 shown]
	s_waitcnt lgkmcnt(7)
	v_add_nc_u32_e32 v40, v0, v30
	s_waitcnt lgkmcnt(6)
	v_add3_u32 v37, v33, v32, v1
	s_waitcnt lgkmcnt(5)
	v_add3_u32 v35, v36, v35, v2
	;; [unrolled: 2-line block ×7, first 2 shown]
	s_cbranch_scc0 .LBB198_3
; %bb.27:                               ;   in Loop: Header=BB198_2 Depth=1
                                        ; implicit-def: $vgpr7
                                        ; implicit-def: $vgpr5
                                        ; implicit-def: $vgpr3
                                        ; implicit-def: $vgpr1
                                        ; implicit-def: $sgpr14
	s_branch .LBB198_1
.LBB198_28:
	v_lshlrev_b32_e32 v0, 2, v9
	s_add_u32 s0, s18, s12
	s_addc_u32 s1, s19, s13
	s_clause 0x7
	global_store_b32 v0, v1, s[0:1]
	global_store_b32 v0, v2, s[0:1] offset:256
	global_store_b32 v0, v3, s[0:1] offset:512
	;; [unrolled: 1-line block ×7, first 2 shown]
	s_nop 0
	s_sendmsg sendmsg(MSG_DEALLOC_VGPRS)
	s_endpgm
	.section	.rodata,"a",@progbits
	.p2align	6, 0x0
	.amdhsa_kernel _Z16sort_keys_kernelI22helper_blocked_stripediLj64ELj8ELj10EEvPKT0_PS1_
		.amdhsa_group_segment_fixed_size 2064
		.amdhsa_private_segment_fixed_size 0
		.amdhsa_kernarg_size 272
		.amdhsa_user_sgpr_count 15
		.amdhsa_user_sgpr_dispatch_ptr 0
		.amdhsa_user_sgpr_queue_ptr 0
		.amdhsa_user_sgpr_kernarg_segment_ptr 1
		.amdhsa_user_sgpr_dispatch_id 0
		.amdhsa_user_sgpr_private_segment_size 0
		.amdhsa_wavefront_size32 1
		.amdhsa_uses_dynamic_stack 0
		.amdhsa_enable_private_segment 0
		.amdhsa_system_sgpr_workgroup_id_x 1
		.amdhsa_system_sgpr_workgroup_id_y 0
		.amdhsa_system_sgpr_workgroup_id_z 0
		.amdhsa_system_sgpr_workgroup_info 0
		.amdhsa_system_vgpr_workitem_id 2
		.amdhsa_next_free_vgpr 56
		.amdhsa_next_free_sgpr 22
		.amdhsa_reserve_vcc 1
		.amdhsa_float_round_mode_32 0
		.amdhsa_float_round_mode_16_64 0
		.amdhsa_float_denorm_mode_32 3
		.amdhsa_float_denorm_mode_16_64 3
		.amdhsa_dx10_clamp 1
		.amdhsa_ieee_mode 1
		.amdhsa_fp16_overflow 0
		.amdhsa_workgroup_processor_mode 1
		.amdhsa_memory_ordered 1
		.amdhsa_forward_progress 0
		.amdhsa_shared_vgpr_count 0
		.amdhsa_exception_fp_ieee_invalid_op 0
		.amdhsa_exception_fp_denorm_src 0
		.amdhsa_exception_fp_ieee_div_zero 0
		.amdhsa_exception_fp_ieee_overflow 0
		.amdhsa_exception_fp_ieee_underflow 0
		.amdhsa_exception_fp_ieee_inexact 0
		.amdhsa_exception_int_div_zero 0
	.end_amdhsa_kernel
	.section	.text._Z16sort_keys_kernelI22helper_blocked_stripediLj64ELj8ELj10EEvPKT0_PS1_,"axG",@progbits,_Z16sort_keys_kernelI22helper_blocked_stripediLj64ELj8ELj10EEvPKT0_PS1_,comdat
.Lfunc_end198:
	.size	_Z16sort_keys_kernelI22helper_blocked_stripediLj64ELj8ELj10EEvPKT0_PS1_, .Lfunc_end198-_Z16sort_keys_kernelI22helper_blocked_stripediLj64ELj8ELj10EEvPKT0_PS1_
                                        ; -- End function
	.section	.AMDGPU.csdata,"",@progbits
; Kernel info:
; codeLenInByte = 4368
; NumSgprs: 24
; NumVgprs: 56
; ScratchSize: 0
; MemoryBound: 0
; FloatMode: 240
; IeeeMode: 1
; LDSByteSize: 2064 bytes/workgroup (compile time only)
; SGPRBlocks: 2
; VGPRBlocks: 6
; NumSGPRsForWavesPerEU: 24
; NumVGPRsForWavesPerEU: 56
; Occupancy: 16
; WaveLimiterHint : 1
; COMPUTE_PGM_RSRC2:SCRATCH_EN: 0
; COMPUTE_PGM_RSRC2:USER_SGPR: 15
; COMPUTE_PGM_RSRC2:TRAP_HANDLER: 0
; COMPUTE_PGM_RSRC2:TGID_X_EN: 1
; COMPUTE_PGM_RSRC2:TGID_Y_EN: 0
; COMPUTE_PGM_RSRC2:TGID_Z_EN: 0
; COMPUTE_PGM_RSRC2:TIDIG_COMP_CNT: 2
	.section	.text._Z17sort_pairs_kernelI22helper_blocked_stripediLj64ELj8ELj10EEvPKT0_PS1_,"axG",@progbits,_Z17sort_pairs_kernelI22helper_blocked_stripediLj64ELj8ELj10EEvPKT0_PS1_,comdat
	.protected	_Z17sort_pairs_kernelI22helper_blocked_stripediLj64ELj8ELj10EEvPKT0_PS1_ ; -- Begin function _Z17sort_pairs_kernelI22helper_blocked_stripediLj64ELj8ELj10EEvPKT0_PS1_
	.globl	_Z17sort_pairs_kernelI22helper_blocked_stripediLj64ELj8ELj10EEvPKT0_PS1_
	.p2align	8
	.type	_Z17sort_pairs_kernelI22helper_blocked_stripediLj64ELj8ELj10EEvPKT0_PS1_,@function
_Z17sort_pairs_kernelI22helper_blocked_stripediLj64ELj8ELj10EEvPKT0_PS1_: ; @_Z17sort_pairs_kernelI22helper_blocked_stripediLj64ELj8ELj10EEvPKT0_PS1_
; %bb.0:
	s_clause 0x1
	s_load_b128 s[16:19], s[0:1], 0x0
	s_load_b32 s10, s[0:1], 0x1c
	s_mov_b32 s21, 0
	s_lshl_b32 s20, s15, 9
	v_mbcnt_lo_u32_b32 v12, -1, 0
	s_lshl_b64 s[12:13], s[20:21], 2
	s_mov_b32 s20, s21
	s_delay_alu instid0(SALU_CYCLE_1) | instskip(SKIP_3) | instid1(VALU_DEP_4)
	v_dual_mov_b32 v10, s20 :: v_dual_and_b32 v9, 0x3ff, v0
	v_mov_b32_e32 v11, s21
	v_bfe_u32 v13, v0, 10, 10
	v_bfe_u32 v0, v0, 20, 10
	v_lshlrev_b32_e32 v26, 5, v9
	v_add_nc_u32_e32 v16, -1, v12
	s_mov_b32 s14, s21
	s_mov_b32 s15, s21
	v_and_b32_e32 v14, 15, v12
	v_and_b32_e32 v17, 1, v12
	v_lshlrev_b32_e32 v18, 3, v9
	v_cmp_gt_i32_e32 vcc_lo, 0, v16
	s_waitcnt lgkmcnt(0)
	s_add_u32 s0, s16, s12
	s_addc_u32 s1, s17, s13
	s_lshr_b32 s11, s10, 16
	s_clause 0x1
	global_load_b128 v[5:8], v26, s[0:1]
	global_load_b128 v[1:4], v26, s[0:1] offset:16
	v_and_b32_e32 v19, 32, v9
	v_mad_u32_u24 v0, v0, s11, v13
	s_and_b32 s10, s10, 0xffff
	v_and_b32_e32 v15, 16, v12
	v_cmp_eq_u32_e64 s0, 0, v12
	v_cmp_eq_u32_e64 s1, 0, v14
	v_cmp_lt_u32_e64 s2, 1, v14
	v_cmp_lt_u32_e64 s3, 3, v14
	;; [unrolled: 1-line block ×3, first 2 shown]
	v_cndmask_b32_e32 v14, v16, v12, vcc_lo
	v_cmp_eq_u32_e64 s9, 0, v17
	v_or_b32_e32 v16, v12, v19
	v_and_or_b32 v17, 0x100, v18, v12
	v_mad_u64_u32 v[12:13], null, v0, s10, v[9:10]
	v_or_b32_e32 v0, 31, v19
	v_cmp_gt_u32_e64 s6, 2, v9
	v_cmp_lt_u32_e64 s7, 31, v9
	v_cmp_eq_u32_e64 s8, 0, v9
	v_mul_i32_i24_e32 v27, 0xffffffe4, v9
	v_or_b32_e32 v28, 8, v26
	v_lshrrev_b32_e32 v34, 5, v12
	v_mov_b32_e32 v12, s14
	v_cmp_eq_u32_e64 s5, 0, v15
	v_lshrrev_b32_e32 v15, 3, v9
	v_lshlrev_b32_e32 v30, 2, v14
	v_lshlrev_b32_e32 v31, 5, v16
	;; [unrolled: 1-line block ×3, first 2 shown]
	v_cmp_eq_u32_e64 s10, v0, v9
	v_and_b32_e32 v29, 4, v15
	v_mov_b32_e32 v13, s15
	s_delay_alu instid0(VALU_DEP_2)
	v_add_nc_u32_e32 v33, -4, v29
	s_waitcnt vmcnt(1)
	v_add_nc_u32_e32 v22, 1, v5
	v_add_nc_u32_e32 v23, 1, v6
	;; [unrolled: 1-line block ×4, first 2 shown]
	s_waitcnt vmcnt(0)
	v_add_nc_u32_e32 v16, 1, v1
	v_add_nc_u32_e32 v17, 1, v2
	v_add_nc_u32_e32 v14, 1, v3
	v_add_nc_u32_e32 v15, 1, v4
	s_branch .LBB199_2
.LBB199_1:                              ;   in Loop: Header=BB199_2 Depth=1
	v_lshlrev_b32_e32 v4, 2, v58
	v_lshlrev_b32_e32 v6, 2, v54
	;; [unrolled: 1-line block ×4, first 2 shown]
	s_barrier
	buffer_gl0_inv
	ds_store_b32 v4, v23
	ds_store_b32 v5, v45
	;; [unrolled: 1-line block ×3, first 2 shown]
	v_lshlrev_b32_e32 v14, 2, v49
	ds_store_b32 v7, v43
	v_lshlrev_b32_e32 v17, 2, v46
	v_add_nc_u32_e32 v43, v26, v27
	v_lshlrev_b32_e32 v15, 2, v48
	v_lshlrev_b32_e32 v16, 2, v47
	ds_store_b32 v14, v25
	ds_store_b32 v15, v24
	;; [unrolled: 1-line block ×4, first 2 shown]
	s_waitcnt lgkmcnt(0)
	s_barrier
	buffer_gl0_inv
	ds_load_2addr_stride64_b32 v[0:1], v43 offset1:1
	ds_load_2addr_stride64_b32 v[2:3], v43 offset0:2 offset1:3
	ds_load_2addr_stride64_b32 v[18:19], v43 offset0:4 offset1:5
	;; [unrolled: 1-line block ×3, first 2 shown]
	s_waitcnt lgkmcnt(0)
	s_barrier
	buffer_gl0_inv
	ds_store_b32 v4, v42
	ds_store_b32 v5, v41
	;; [unrolled: 1-line block ×8, first 2 shown]
	s_waitcnt lgkmcnt(0)
	s_barrier
	buffer_gl0_inv
	ds_load_2addr_stride64_b32 v[22:23], v43 offset1:1
	ds_load_2addr_stride64_b32 v[24:25], v43 offset0:2 offset1:3
	ds_load_2addr_stride64_b32 v[16:17], v43 offset0:4 offset1:5
	;; [unrolled: 1-line block ×3, first 2 shown]
	s_add_i32 s21, s21, 1
	s_delay_alu instid0(SALU_CYCLE_1)
	s_cmp_eq_u32 s21, 10
	v_xor_b32_e32 v5, 0x80000000, v0
	v_xor_b32_e32 v6, 0x80000000, v1
	v_xor_b32_e32 v7, 0x80000000, v2
	v_xor_b32_e32 v8, 0x80000000, v3
	v_xor_b32_e32 v1, 0x80000000, v18
	v_xor_b32_e32 v2, 0x80000000, v19
	v_xor_b32_e32 v3, 0x80000000, v20
	v_xor_b32_e32 v4, 0x80000000, v21
	s_cbranch_scc1 .LBB199_28
.LBB199_2:                              ; =>This Loop Header: Depth=1
                                        ;     Child Loop BB199_4 Depth 2
	v_xor_b32_e32 v5, 0x80000000, v5
	v_xor_b32_e32 v6, 0x80000000, v6
	;; [unrolled: 1-line block ×8, first 2 shown]
	ds_store_2addr_b64 v31, v[5:6], v[7:8] offset1:1
	ds_store_2addr_b64 v31, v[0:1], v[2:3] offset0:2 offset1:3
	; wave barrier
	ds_load_2addr_b32 v[0:1], v32 offset1:32
	ds_load_2addr_b32 v[2:3], v32 offset0:64 offset1:96
	ds_load_2addr_b32 v[18:19], v32 offset0:128 offset1:160
	;; [unrolled: 1-line block ×3, first 2 shown]
	; wave barrier
	s_waitcnt lgkmcnt(8)
	ds_store_2addr_b64 v31, v[22:23], v[24:25] offset1:1
	s_waitcnt lgkmcnt(7)
	ds_store_2addr_b64 v31, v[16:17], v[14:15] offset0:2 offset1:3
	; wave barrier
	ds_load_2addr_b32 v[4:5], v32 offset1:32
	ds_load_2addr_b32 v[6:7], v32 offset0:64 offset1:96
	ds_load_2addr_b32 v[14:15], v32 offset0:128 offset1:160
	;; [unrolled: 1-line block ×3, first 2 shown]
	s_mov_b32 s14, 0
	s_waitcnt lgkmcnt(0)
	s_barrier
	s_branch .LBB199_4
.LBB199_3:                              ;   in Loop: Header=BB199_4 Depth=2
	v_lshlrev_b32_e32 v4, 2, v58
	v_lshlrev_b32_e32 v7, 2, v51
	;; [unrolled: 1-line block ×8, first 2 shown]
	s_barrier
	buffer_gl0_inv
	ds_store_b32 v4, v23
	ds_store_b32 v5, v45
	;; [unrolled: 1-line block ×8, first 2 shown]
	s_waitcnt lgkmcnt(0)
	s_barrier
	buffer_gl0_inv
	ds_load_2addr_b32 v[0:1], v32 offset1:32
	ds_load_2addr_b32 v[2:3], v32 offset0:64 offset1:96
	ds_load_2addr_b32 v[18:19], v32 offset0:128 offset1:160
	;; [unrolled: 1-line block ×3, first 2 shown]
	s_waitcnt lgkmcnt(0)
	s_barrier
	buffer_gl0_inv
	ds_store_b32 v4, v42
	ds_store_b32 v5, v41
	;; [unrolled: 1-line block ×8, first 2 shown]
	s_waitcnt lgkmcnt(0)
	s_barrier
	buffer_gl0_inv
	ds_load_2addr_b32 v[4:5], v32 offset1:32
	ds_load_2addr_b32 v[6:7], v32 offset0:64 offset1:96
	ds_load_2addr_b32 v[14:15], v32 offset0:128 offset1:160
	;; [unrolled: 1-line block ×3, first 2 shown]
	s_add_i32 s14, s14, 8
	s_waitcnt lgkmcnt(0)
	s_barrier
	s_cbranch_execz .LBB199_1
.LBB199_4:                              ;   Parent Loop BB199_2 Depth=1
                                        ; =>  This Inner Loop Header: Depth=2
	v_dual_mov_b32 v23, v0 :: v_dual_mov_b32 v8, v21
	v_mov_b32_e32 v24, v19
	v_dual_mov_b32 v22, v20 :: v_dual_mov_b32 v25, v18
	s_delay_alu instid0(VALU_DEP_3)
	v_bfe_u32 v0, v23, s14, 1
	v_lshrrev_b32_e32 v19, s14, v23
	v_mov_b32_e32 v40, v6
	v_mov_b32_e32 v42, v4
	buffer_gl0_inv
	v_add_co_u32 v0, s11, v0, -1
	s_delay_alu instid0(VALU_DEP_1) | instskip(SKIP_3) | instid1(VALU_DEP_4)
	v_cndmask_b32_e64 v18, 0, 1, s11
	v_dual_mov_b32 v43, v3 :: v_dual_lshlrev_b32 v20, 30, v19
	v_lshlrev_b32_e32 v21, 29, v19
	v_dual_mov_b32 v44, v2 :: v_dual_lshlrev_b32 v35, 28, v19
	v_cmp_ne_u32_e32 vcc_lo, 0, v18
	s_delay_alu instid0(VALU_DEP_4)
	v_not_b32_e32 v18, v20
	v_cmp_gt_i32_e64 s11, 0, v20
	v_not_b32_e32 v20, v21
	v_dual_mov_b32 v45, v1 :: v_dual_lshlrev_b32 v36, 27, v19
	v_xor_b32_e32 v0, vcc_lo, v0
	v_ashrrev_i32_e32 v18, 31, v18
	v_cmp_gt_i32_e32 vcc_lo, 0, v21
	v_not_b32_e32 v21, v35
	v_ashrrev_i32_e32 v20, 31, v20
	v_and_b32_e32 v0, exec_lo, v0
	v_xor_b32_e32 v18, s11, v18
	v_lshlrev_b32_e32 v37, 26, v19
	v_cmp_gt_i32_e64 s11, 0, v35
	v_not_b32_e32 v35, v36
	v_ashrrev_i32_e32 v21, 31, v21
	v_xor_b32_e32 v20, vcc_lo, v20
	v_and_b32_e32 v0, v0, v18
	v_cmp_gt_i32_e32 vcc_lo, 0, v36
	v_ashrrev_i32_e32 v35, 31, v35
	v_xor_b32_e32 v21, s11, v21
	v_mov_b32_e32 v36, v16
	v_not_b32_e32 v18, v37
	v_cmp_gt_i32_e64 s11, 0, v37
	v_dual_mov_b32 v37, v15 :: v_dual_and_b32 v0, v0, v20
	v_dual_mov_b32 v39, v7 :: v_dual_lshlrev_b32 v20, 25, v19
	v_mov_b32_e32 v41, v5
	v_ashrrev_i32_e32 v18, 31, v18
	v_xor_b32_e32 v35, vcc_lo, v35
	v_and_b32_e32 v0, v0, v21
	v_not_b32_e32 v21, v20
	v_dual_mov_b32 v38, v14 :: v_dual_lshlrev_b32 v19, 24, v19
	v_cmp_gt_i32_e32 vcc_lo, 0, v20
	v_xor_b32_e32 v18, s11, v18
	v_and_b32_e32 v0, v0, v35
	v_ashrrev_i32_e32 v20, 31, v21
	v_not_b32_e32 v3, v19
	v_mov_b32_e32 v35, v17
	ds_store_2addr_b64 v26, v[10:11], v[12:13] offset0:1 offset1:2
	ds_store_2addr_b64 v28, v[10:11], v[12:13] offset0:2 offset1:3
	v_and_b32_e32 v0, v0, v18
	v_xor_b32_e32 v2, vcc_lo, v20
	v_cmp_gt_i32_e32 vcc_lo, 0, v19
	v_ashrrev_i32_e32 v3, 31, v3
	s_waitcnt lgkmcnt(0)
	s_barrier
	v_and_b32_e32 v0, v0, v2
	buffer_gl0_inv
	v_xor_b32_e32 v1, vcc_lo, v3
	; wave barrier
	s_delay_alu instid0(VALU_DEP_1) | instskip(SKIP_1) | instid1(VALU_DEP_2)
	v_and_b32_e32 v0, v0, v1
	v_bfe_u32 v1, v23, s14, 8
	v_mbcnt_lo_u32_b32 v14, v0, 0
	s_delay_alu instid0(VALU_DEP_2) | instskip(SKIP_1) | instid1(VALU_DEP_3)
	v_lshl_add_u32 v1, v1, 1, v34
	v_cmp_ne_u32_e64 s11, 0, v0
	v_cmp_eq_u32_e32 vcc_lo, 0, v14
	s_delay_alu instid0(VALU_DEP_3) | instskip(NEXT) | instid1(VALU_DEP_3)
	v_lshl_add_u32 v15, v1, 2, 8
	s_and_b32 s15, s11, vcc_lo
	s_delay_alu instid0(SALU_CYCLE_1)
	s_and_saveexec_b32 s11, s15
	s_cbranch_execz .LBB199_6
; %bb.5:                                ;   in Loop: Header=BB199_4 Depth=2
	v_bcnt_u32_b32 v0, v0, 0
	ds_store_b32 v15, v0
.LBB199_6:                              ;   in Loop: Header=BB199_4 Depth=2
	s_or_b32 exec_lo, exec_lo, s11
	v_bfe_u32 v0, v45, s14, 1
	v_lshrrev_b32_e32 v1, s14, v45
	; wave barrier
	s_delay_alu instid0(VALU_DEP_2) | instskip(NEXT) | instid1(VALU_DEP_1)
	v_add_co_u32 v0, s11, v0, -1
	v_cndmask_b32_e64 v2, 0, 1, s11
	s_delay_alu instid0(VALU_DEP_3)
	v_lshlrev_b32_e32 v3, 30, v1
	v_lshlrev_b32_e32 v4, 29, v1
	;; [unrolled: 1-line block ×4, first 2 shown]
	v_cmp_ne_u32_e32 vcc_lo, 0, v2
	v_not_b32_e32 v2, v3
	v_cmp_gt_i32_e64 s11, 0, v3
	v_not_b32_e32 v3, v4
	v_lshlrev_b32_e32 v7, 26, v1
	v_xor_b32_e32 v0, vcc_lo, v0
	v_ashrrev_i32_e32 v2, 31, v2
	v_cmp_gt_i32_e32 vcc_lo, 0, v4
	v_not_b32_e32 v4, v5
	v_ashrrev_i32_e32 v3, 31, v3
	v_and_b32_e32 v0, exec_lo, v0
	v_xor_b32_e32 v2, s11, v2
	v_cmp_gt_i32_e64 s11, 0, v5
	v_not_b32_e32 v5, v6
	v_ashrrev_i32_e32 v4, 31, v4
	v_xor_b32_e32 v3, vcc_lo, v3
	v_and_b32_e32 v0, v0, v2
	v_cmp_gt_i32_e32 vcc_lo, 0, v6
	v_not_b32_e32 v2, v7
	v_ashrrev_i32_e32 v5, 31, v5
	v_xor_b32_e32 v4, s11, v4
	v_and_b32_e32 v0, v0, v3
	v_lshlrev_b32_e32 v3, 25, v1
	v_cmp_gt_i32_e64 s11, 0, v7
	v_ashrrev_i32_e32 v2, 31, v2
	v_xor_b32_e32 v5, vcc_lo, v5
	v_and_b32_e32 v0, v0, v4
	v_not_b32_e32 v6, v3
	v_lshlrev_b32_e32 v1, 24, v1
	v_bfe_u32 v4, v45, s14, 8
	v_xor_b32_e32 v2, s11, v2
	v_and_b32_e32 v0, v0, v5
	v_cmp_gt_i32_e32 vcc_lo, 0, v3
	v_ashrrev_i32_e32 v3, 31, v6
	v_not_b32_e32 v5, v1
	v_lshlrev_b32_e32 v4, 1, v4
	v_and_b32_e32 v0, v0, v2
	s_delay_alu instid0(VALU_DEP_4) | instskip(SKIP_3) | instid1(VALU_DEP_4)
	v_xor_b32_e32 v2, vcc_lo, v3
	v_cmp_gt_i32_e32 vcc_lo, 0, v1
	v_ashrrev_i32_e32 v1, 31, v5
	v_add_lshl_u32 v3, v4, v34, 2
	v_and_b32_e32 v0, v0, v2
	s_delay_alu instid0(VALU_DEP_3) | instskip(SKIP_3) | instid1(VALU_DEP_1)
	v_xor_b32_e32 v1, vcc_lo, v1
	ds_load_b32 v16, v3 offset:8
	v_add_nc_u32_e32 v18, 8, v3
	; wave barrier
	v_and_b32_e32 v0, v0, v1
	v_mbcnt_lo_u32_b32 v17, v0, 0
	v_cmp_ne_u32_e64 s11, 0, v0
	s_delay_alu instid0(VALU_DEP_2) | instskip(NEXT) | instid1(VALU_DEP_2)
	v_cmp_eq_u32_e32 vcc_lo, 0, v17
	s_and_b32 s15, s11, vcc_lo
	s_delay_alu instid0(SALU_CYCLE_1)
	s_and_saveexec_b32 s11, s15
	s_cbranch_execz .LBB199_8
; %bb.7:                                ;   in Loop: Header=BB199_4 Depth=2
	s_waitcnt lgkmcnt(0)
	v_bcnt_u32_b32 v0, v0, v16
	ds_store_b32 v18, v0
.LBB199_8:                              ;   in Loop: Header=BB199_4 Depth=2
	s_or_b32 exec_lo, exec_lo, s11
	v_bfe_u32 v0, v44, s14, 1
	v_lshrrev_b32_e32 v1, s14, v44
	; wave barrier
	s_delay_alu instid0(VALU_DEP_2) | instskip(NEXT) | instid1(VALU_DEP_1)
	v_add_co_u32 v0, s11, v0, -1
	v_cndmask_b32_e64 v2, 0, 1, s11
	s_delay_alu instid0(VALU_DEP_3)
	v_lshlrev_b32_e32 v3, 30, v1
	v_lshlrev_b32_e32 v4, 29, v1
	;; [unrolled: 1-line block ×4, first 2 shown]
	v_cmp_ne_u32_e32 vcc_lo, 0, v2
	v_not_b32_e32 v2, v3
	v_cmp_gt_i32_e64 s11, 0, v3
	v_not_b32_e32 v3, v4
	v_lshlrev_b32_e32 v7, 26, v1
	v_xor_b32_e32 v0, vcc_lo, v0
	v_ashrrev_i32_e32 v2, 31, v2
	v_cmp_gt_i32_e32 vcc_lo, 0, v4
	v_not_b32_e32 v4, v5
	v_ashrrev_i32_e32 v3, 31, v3
	v_and_b32_e32 v0, exec_lo, v0
	v_xor_b32_e32 v2, s11, v2
	v_cmp_gt_i32_e64 s11, 0, v5
	v_not_b32_e32 v5, v6
	v_ashrrev_i32_e32 v4, 31, v4
	v_xor_b32_e32 v3, vcc_lo, v3
	v_and_b32_e32 v0, v0, v2
	v_cmp_gt_i32_e32 vcc_lo, 0, v6
	v_not_b32_e32 v2, v7
	v_ashrrev_i32_e32 v5, 31, v5
	v_xor_b32_e32 v4, s11, v4
	v_and_b32_e32 v0, v0, v3
	v_lshlrev_b32_e32 v3, 25, v1
	v_cmp_gt_i32_e64 s11, 0, v7
	v_ashrrev_i32_e32 v2, 31, v2
	v_xor_b32_e32 v5, vcc_lo, v5
	v_and_b32_e32 v0, v0, v4
	v_not_b32_e32 v6, v3
	v_lshlrev_b32_e32 v1, 24, v1
	v_bfe_u32 v4, v44, s14, 8
	v_xor_b32_e32 v2, s11, v2
	v_and_b32_e32 v0, v0, v5
	v_cmp_gt_i32_e32 vcc_lo, 0, v3
	v_ashrrev_i32_e32 v3, 31, v6
	v_not_b32_e32 v5, v1
	v_lshlrev_b32_e32 v4, 1, v4
	v_and_b32_e32 v0, v0, v2
	s_delay_alu instid0(VALU_DEP_4) | instskip(SKIP_3) | instid1(VALU_DEP_4)
	v_xor_b32_e32 v2, vcc_lo, v3
	v_cmp_gt_i32_e32 vcc_lo, 0, v1
	v_ashrrev_i32_e32 v1, 31, v5
	v_add_lshl_u32 v3, v4, v34, 2
	v_and_b32_e32 v0, v0, v2
	s_delay_alu instid0(VALU_DEP_3) | instskip(SKIP_3) | instid1(VALU_DEP_1)
	v_xor_b32_e32 v1, vcc_lo, v1
	ds_load_b32 v19, v3 offset:8
	v_add_nc_u32_e32 v21, 8, v3
	; wave barrier
	v_and_b32_e32 v0, v0, v1
	v_mbcnt_lo_u32_b32 v20, v0, 0
	v_cmp_ne_u32_e64 s11, 0, v0
	s_delay_alu instid0(VALU_DEP_2) | instskip(NEXT) | instid1(VALU_DEP_2)
	v_cmp_eq_u32_e32 vcc_lo, 0, v20
	s_and_b32 s15, s11, vcc_lo
	s_delay_alu instid0(SALU_CYCLE_1)
	s_and_saveexec_b32 s11, s15
	s_cbranch_execz .LBB199_10
; %bb.9:                                ;   in Loop: Header=BB199_4 Depth=2
	s_waitcnt lgkmcnt(0)
	v_bcnt_u32_b32 v0, v0, v19
	ds_store_b32 v21, v0
.LBB199_10:                             ;   in Loop: Header=BB199_4 Depth=2
	s_or_b32 exec_lo, exec_lo, s11
	v_bfe_u32 v0, v43, s14, 1
	v_lshrrev_b32_e32 v1, s14, v43
	; wave barrier
	s_delay_alu instid0(VALU_DEP_2) | instskip(NEXT) | instid1(VALU_DEP_1)
	v_add_co_u32 v0, s11, v0, -1
	v_cndmask_b32_e64 v2, 0, 1, s11
	s_delay_alu instid0(VALU_DEP_3)
	v_lshlrev_b32_e32 v3, 30, v1
	v_lshlrev_b32_e32 v4, 29, v1
	v_lshlrev_b32_e32 v5, 28, v1
	v_lshlrev_b32_e32 v6, 27, v1
	v_cmp_ne_u32_e32 vcc_lo, 0, v2
	v_not_b32_e32 v2, v3
	v_cmp_gt_i32_e64 s11, 0, v3
	v_not_b32_e32 v3, v4
	v_lshlrev_b32_e32 v7, 26, v1
	v_xor_b32_e32 v0, vcc_lo, v0
	v_ashrrev_i32_e32 v2, 31, v2
	v_cmp_gt_i32_e32 vcc_lo, 0, v4
	v_not_b32_e32 v4, v5
	v_ashrrev_i32_e32 v3, 31, v3
	v_and_b32_e32 v0, exec_lo, v0
	v_xor_b32_e32 v2, s11, v2
	v_cmp_gt_i32_e64 s11, 0, v5
	v_not_b32_e32 v5, v6
	v_ashrrev_i32_e32 v4, 31, v4
	v_xor_b32_e32 v3, vcc_lo, v3
	v_and_b32_e32 v0, v0, v2
	v_cmp_gt_i32_e32 vcc_lo, 0, v6
	v_not_b32_e32 v2, v7
	v_ashrrev_i32_e32 v5, 31, v5
	v_xor_b32_e32 v4, s11, v4
	v_and_b32_e32 v0, v0, v3
	v_lshlrev_b32_e32 v3, 25, v1
	v_cmp_gt_i32_e64 s11, 0, v7
	v_ashrrev_i32_e32 v2, 31, v2
	v_xor_b32_e32 v5, vcc_lo, v5
	v_and_b32_e32 v0, v0, v4
	v_not_b32_e32 v6, v3
	v_lshlrev_b32_e32 v1, 24, v1
	v_bfe_u32 v4, v43, s14, 8
	v_xor_b32_e32 v2, s11, v2
	v_and_b32_e32 v0, v0, v5
	v_cmp_gt_i32_e32 vcc_lo, 0, v3
	v_ashrrev_i32_e32 v3, 31, v6
	v_not_b32_e32 v5, v1
	v_lshlrev_b32_e32 v4, 1, v4
	v_and_b32_e32 v0, v0, v2
	s_delay_alu instid0(VALU_DEP_4) | instskip(SKIP_3) | instid1(VALU_DEP_4)
	v_xor_b32_e32 v2, vcc_lo, v3
	v_cmp_gt_i32_e32 vcc_lo, 0, v1
	v_ashrrev_i32_e32 v1, 31, v5
	v_add_lshl_u32 v3, v4, v34, 2
	v_and_b32_e32 v0, v0, v2
	s_delay_alu instid0(VALU_DEP_3) | instskip(SKIP_3) | instid1(VALU_DEP_1)
	v_xor_b32_e32 v1, vcc_lo, v1
	ds_load_b32 v46, v3 offset:8
	v_add_nc_u32_e32 v48, 8, v3
	; wave barrier
	v_and_b32_e32 v0, v0, v1
	v_mbcnt_lo_u32_b32 v47, v0, 0
	v_cmp_ne_u32_e64 s11, 0, v0
	s_delay_alu instid0(VALU_DEP_2) | instskip(NEXT) | instid1(VALU_DEP_2)
	v_cmp_eq_u32_e32 vcc_lo, 0, v47
	s_and_b32 s15, s11, vcc_lo
	s_delay_alu instid0(SALU_CYCLE_1)
	s_and_saveexec_b32 s11, s15
	s_cbranch_execz .LBB199_12
; %bb.11:                               ;   in Loop: Header=BB199_4 Depth=2
	s_waitcnt lgkmcnt(0)
	v_bcnt_u32_b32 v0, v0, v46
	ds_store_b32 v48, v0
.LBB199_12:                             ;   in Loop: Header=BB199_4 Depth=2
	s_or_b32 exec_lo, exec_lo, s11
	v_bfe_u32 v0, v25, s14, 1
	v_lshrrev_b32_e32 v1, s14, v25
	; wave barrier
	s_delay_alu instid0(VALU_DEP_2) | instskip(NEXT) | instid1(VALU_DEP_1)
	v_add_co_u32 v0, s11, v0, -1
	v_cndmask_b32_e64 v2, 0, 1, s11
	s_delay_alu instid0(VALU_DEP_3)
	v_lshlrev_b32_e32 v3, 30, v1
	v_lshlrev_b32_e32 v4, 29, v1
	;; [unrolled: 1-line block ×4, first 2 shown]
	v_cmp_ne_u32_e32 vcc_lo, 0, v2
	v_not_b32_e32 v2, v3
	v_cmp_gt_i32_e64 s11, 0, v3
	v_not_b32_e32 v3, v4
	v_lshlrev_b32_e32 v7, 26, v1
	v_xor_b32_e32 v0, vcc_lo, v0
	v_ashrrev_i32_e32 v2, 31, v2
	v_cmp_gt_i32_e32 vcc_lo, 0, v4
	v_not_b32_e32 v4, v5
	v_ashrrev_i32_e32 v3, 31, v3
	v_and_b32_e32 v0, exec_lo, v0
	v_xor_b32_e32 v2, s11, v2
	v_cmp_gt_i32_e64 s11, 0, v5
	v_not_b32_e32 v5, v6
	v_ashrrev_i32_e32 v4, 31, v4
	v_xor_b32_e32 v3, vcc_lo, v3
	v_and_b32_e32 v0, v0, v2
	v_cmp_gt_i32_e32 vcc_lo, 0, v6
	v_not_b32_e32 v2, v7
	v_ashrrev_i32_e32 v5, 31, v5
	v_xor_b32_e32 v4, s11, v4
	v_and_b32_e32 v0, v0, v3
	v_lshlrev_b32_e32 v3, 25, v1
	v_cmp_gt_i32_e64 s11, 0, v7
	v_ashrrev_i32_e32 v2, 31, v2
	v_xor_b32_e32 v5, vcc_lo, v5
	v_and_b32_e32 v0, v0, v4
	v_not_b32_e32 v6, v3
	v_lshlrev_b32_e32 v1, 24, v1
	v_bfe_u32 v4, v25, s14, 8
	v_xor_b32_e32 v2, s11, v2
	v_and_b32_e32 v0, v0, v5
	v_cmp_gt_i32_e32 vcc_lo, 0, v3
	v_ashrrev_i32_e32 v3, 31, v6
	v_not_b32_e32 v5, v1
	v_lshlrev_b32_e32 v4, 1, v4
	v_and_b32_e32 v0, v0, v2
	s_delay_alu instid0(VALU_DEP_4) | instskip(SKIP_3) | instid1(VALU_DEP_4)
	v_xor_b32_e32 v2, vcc_lo, v3
	v_cmp_gt_i32_e32 vcc_lo, 0, v1
	v_ashrrev_i32_e32 v1, 31, v5
	v_add_lshl_u32 v3, v4, v34, 2
	v_and_b32_e32 v0, v0, v2
	s_delay_alu instid0(VALU_DEP_3) | instskip(SKIP_3) | instid1(VALU_DEP_1)
	v_xor_b32_e32 v1, vcc_lo, v1
	ds_load_b32 v49, v3 offset:8
	v_add_nc_u32_e32 v51, 8, v3
	; wave barrier
	v_and_b32_e32 v0, v0, v1
	v_mbcnt_lo_u32_b32 v50, v0, 0
	v_cmp_ne_u32_e64 s11, 0, v0
	s_delay_alu instid0(VALU_DEP_2) | instskip(NEXT) | instid1(VALU_DEP_2)
	v_cmp_eq_u32_e32 vcc_lo, 0, v50
	s_and_b32 s15, s11, vcc_lo
	s_delay_alu instid0(SALU_CYCLE_1)
	s_and_saveexec_b32 s11, s15
	s_cbranch_execz .LBB199_14
; %bb.13:                               ;   in Loop: Header=BB199_4 Depth=2
	s_waitcnt lgkmcnt(0)
	v_bcnt_u32_b32 v0, v0, v49
	ds_store_b32 v51, v0
.LBB199_14:                             ;   in Loop: Header=BB199_4 Depth=2
	s_or_b32 exec_lo, exec_lo, s11
	v_bfe_u32 v0, v24, s14, 1
	v_lshrrev_b32_e32 v1, s14, v24
	; wave barrier
	s_delay_alu instid0(VALU_DEP_2) | instskip(NEXT) | instid1(VALU_DEP_1)
	v_add_co_u32 v0, s11, v0, -1
	v_cndmask_b32_e64 v2, 0, 1, s11
	s_delay_alu instid0(VALU_DEP_3)
	v_lshlrev_b32_e32 v3, 30, v1
	v_lshlrev_b32_e32 v4, 29, v1
	;; [unrolled: 1-line block ×4, first 2 shown]
	v_cmp_ne_u32_e32 vcc_lo, 0, v2
	v_not_b32_e32 v2, v3
	v_cmp_gt_i32_e64 s11, 0, v3
	v_not_b32_e32 v3, v4
	v_lshlrev_b32_e32 v7, 26, v1
	v_xor_b32_e32 v0, vcc_lo, v0
	v_ashrrev_i32_e32 v2, 31, v2
	v_cmp_gt_i32_e32 vcc_lo, 0, v4
	v_not_b32_e32 v4, v5
	v_ashrrev_i32_e32 v3, 31, v3
	v_and_b32_e32 v0, exec_lo, v0
	v_xor_b32_e32 v2, s11, v2
	v_cmp_gt_i32_e64 s11, 0, v5
	v_not_b32_e32 v5, v6
	v_ashrrev_i32_e32 v4, 31, v4
	v_xor_b32_e32 v3, vcc_lo, v3
	v_and_b32_e32 v0, v0, v2
	v_cmp_gt_i32_e32 vcc_lo, 0, v6
	v_not_b32_e32 v2, v7
	v_ashrrev_i32_e32 v5, 31, v5
	v_xor_b32_e32 v4, s11, v4
	v_and_b32_e32 v0, v0, v3
	v_lshlrev_b32_e32 v3, 25, v1
	v_cmp_gt_i32_e64 s11, 0, v7
	v_ashrrev_i32_e32 v2, 31, v2
	v_xor_b32_e32 v5, vcc_lo, v5
	v_and_b32_e32 v0, v0, v4
	v_not_b32_e32 v6, v3
	v_lshlrev_b32_e32 v1, 24, v1
	v_bfe_u32 v4, v24, s14, 8
	v_xor_b32_e32 v2, s11, v2
	v_and_b32_e32 v0, v0, v5
	v_cmp_gt_i32_e32 vcc_lo, 0, v3
	v_ashrrev_i32_e32 v3, 31, v6
	v_not_b32_e32 v5, v1
	v_lshlrev_b32_e32 v4, 1, v4
	v_and_b32_e32 v0, v0, v2
	s_delay_alu instid0(VALU_DEP_4) | instskip(SKIP_3) | instid1(VALU_DEP_4)
	v_xor_b32_e32 v2, vcc_lo, v3
	v_cmp_gt_i32_e32 vcc_lo, 0, v1
	v_ashrrev_i32_e32 v1, 31, v5
	v_add_lshl_u32 v3, v4, v34, 2
	v_and_b32_e32 v0, v0, v2
	s_delay_alu instid0(VALU_DEP_3) | instskip(SKIP_3) | instid1(VALU_DEP_1)
	v_xor_b32_e32 v1, vcc_lo, v1
	ds_load_b32 v52, v3 offset:8
	v_add_nc_u32_e32 v54, 8, v3
	; wave barrier
	v_and_b32_e32 v0, v0, v1
	v_mbcnt_lo_u32_b32 v53, v0, 0
	v_cmp_ne_u32_e64 s11, 0, v0
	s_delay_alu instid0(VALU_DEP_2) | instskip(NEXT) | instid1(VALU_DEP_2)
	v_cmp_eq_u32_e32 vcc_lo, 0, v53
	s_and_b32 s15, s11, vcc_lo
	s_delay_alu instid0(SALU_CYCLE_1)
	s_and_saveexec_b32 s11, s15
	s_cbranch_execz .LBB199_16
; %bb.15:                               ;   in Loop: Header=BB199_4 Depth=2
	s_waitcnt lgkmcnt(0)
	v_bcnt_u32_b32 v0, v0, v52
	ds_store_b32 v54, v0
.LBB199_16:                             ;   in Loop: Header=BB199_4 Depth=2
	s_or_b32 exec_lo, exec_lo, s11
	v_bfe_u32 v0, v22, s14, 1
	v_lshrrev_b32_e32 v1, s14, v22
	; wave barrier
	s_delay_alu instid0(VALU_DEP_2) | instskip(NEXT) | instid1(VALU_DEP_1)
	v_add_co_u32 v0, s11, v0, -1
	v_cndmask_b32_e64 v2, 0, 1, s11
	s_delay_alu instid0(VALU_DEP_3)
	v_lshlrev_b32_e32 v3, 30, v1
	v_lshlrev_b32_e32 v4, 29, v1
	;; [unrolled: 1-line block ×4, first 2 shown]
	v_cmp_ne_u32_e32 vcc_lo, 0, v2
	v_not_b32_e32 v2, v3
	v_cmp_gt_i32_e64 s11, 0, v3
	v_not_b32_e32 v3, v4
	v_lshlrev_b32_e32 v7, 26, v1
	v_xor_b32_e32 v0, vcc_lo, v0
	v_ashrrev_i32_e32 v2, 31, v2
	v_cmp_gt_i32_e32 vcc_lo, 0, v4
	v_not_b32_e32 v4, v5
	v_ashrrev_i32_e32 v3, 31, v3
	v_and_b32_e32 v0, exec_lo, v0
	v_xor_b32_e32 v2, s11, v2
	v_cmp_gt_i32_e64 s11, 0, v5
	v_not_b32_e32 v5, v6
	v_ashrrev_i32_e32 v4, 31, v4
	v_xor_b32_e32 v3, vcc_lo, v3
	v_and_b32_e32 v0, v0, v2
	v_cmp_gt_i32_e32 vcc_lo, 0, v6
	v_not_b32_e32 v2, v7
	v_ashrrev_i32_e32 v5, 31, v5
	v_xor_b32_e32 v4, s11, v4
	v_and_b32_e32 v0, v0, v3
	v_lshlrev_b32_e32 v3, 25, v1
	v_cmp_gt_i32_e64 s11, 0, v7
	v_ashrrev_i32_e32 v2, 31, v2
	v_xor_b32_e32 v5, vcc_lo, v5
	v_and_b32_e32 v0, v0, v4
	v_not_b32_e32 v6, v3
	v_lshlrev_b32_e32 v1, 24, v1
	v_bfe_u32 v4, v22, s14, 8
	v_xor_b32_e32 v2, s11, v2
	v_and_b32_e32 v0, v0, v5
	v_cmp_gt_i32_e32 vcc_lo, 0, v3
	v_ashrrev_i32_e32 v3, 31, v6
	v_not_b32_e32 v5, v1
	v_lshlrev_b32_e32 v4, 1, v4
	v_and_b32_e32 v0, v0, v2
	s_delay_alu instid0(VALU_DEP_4) | instskip(SKIP_3) | instid1(VALU_DEP_4)
	v_xor_b32_e32 v2, vcc_lo, v3
	v_cmp_gt_i32_e32 vcc_lo, 0, v1
	v_ashrrev_i32_e32 v1, 31, v5
	v_add_lshl_u32 v3, v4, v34, 2
	v_and_b32_e32 v0, v0, v2
	s_delay_alu instid0(VALU_DEP_3) | instskip(SKIP_3) | instid1(VALU_DEP_1)
	v_xor_b32_e32 v1, vcc_lo, v1
	ds_load_b32 v55, v3 offset:8
	v_add_nc_u32_e32 v57, 8, v3
	; wave barrier
	v_and_b32_e32 v0, v0, v1
	v_mbcnt_lo_u32_b32 v56, v0, 0
	v_cmp_ne_u32_e64 s11, 0, v0
	s_delay_alu instid0(VALU_DEP_2) | instskip(NEXT) | instid1(VALU_DEP_2)
	v_cmp_eq_u32_e32 vcc_lo, 0, v56
	s_and_b32 s15, s11, vcc_lo
	s_delay_alu instid0(SALU_CYCLE_1)
	s_and_saveexec_b32 s11, s15
	s_cbranch_execz .LBB199_18
; %bb.17:                               ;   in Loop: Header=BB199_4 Depth=2
	s_waitcnt lgkmcnt(0)
	v_bcnt_u32_b32 v0, v0, v55
	ds_store_b32 v57, v0
.LBB199_18:                             ;   in Loop: Header=BB199_4 Depth=2
	s_or_b32 exec_lo, exec_lo, s11
	v_bfe_u32 v0, v8, s14, 1
	v_lshrrev_b32_e32 v1, s14, v8
	; wave barrier
	s_delay_alu instid0(VALU_DEP_2) | instskip(NEXT) | instid1(VALU_DEP_1)
	v_add_co_u32 v0, s11, v0, -1
	v_cndmask_b32_e64 v2, 0, 1, s11
	s_delay_alu instid0(VALU_DEP_3)
	v_lshlrev_b32_e32 v3, 30, v1
	v_lshlrev_b32_e32 v4, 29, v1
	;; [unrolled: 1-line block ×4, first 2 shown]
	v_cmp_ne_u32_e32 vcc_lo, 0, v2
	v_not_b32_e32 v2, v3
	v_cmp_gt_i32_e64 s11, 0, v3
	v_not_b32_e32 v3, v4
	v_lshlrev_b32_e32 v7, 26, v1
	v_xor_b32_e32 v0, vcc_lo, v0
	v_ashrrev_i32_e32 v2, 31, v2
	v_cmp_gt_i32_e32 vcc_lo, 0, v4
	v_not_b32_e32 v4, v5
	v_ashrrev_i32_e32 v3, 31, v3
	v_and_b32_e32 v0, exec_lo, v0
	v_xor_b32_e32 v2, s11, v2
	v_cmp_gt_i32_e64 s11, 0, v5
	v_not_b32_e32 v5, v6
	v_ashrrev_i32_e32 v4, 31, v4
	v_xor_b32_e32 v3, vcc_lo, v3
	v_and_b32_e32 v0, v0, v2
	v_cmp_gt_i32_e32 vcc_lo, 0, v6
	v_not_b32_e32 v2, v7
	v_ashrrev_i32_e32 v5, 31, v5
	v_xor_b32_e32 v4, s11, v4
	v_and_b32_e32 v0, v0, v3
	v_lshlrev_b32_e32 v3, 25, v1
	v_cmp_gt_i32_e64 s11, 0, v7
	v_ashrrev_i32_e32 v2, 31, v2
	v_xor_b32_e32 v5, vcc_lo, v5
	v_and_b32_e32 v0, v0, v4
	v_not_b32_e32 v6, v3
	v_lshlrev_b32_e32 v1, 24, v1
	v_bfe_u32 v4, v8, s14, 8
	v_xor_b32_e32 v2, s11, v2
	v_and_b32_e32 v0, v0, v5
	v_cmp_gt_i32_e32 vcc_lo, 0, v3
	v_ashrrev_i32_e32 v3, 31, v6
	v_not_b32_e32 v5, v1
	v_lshlrev_b32_e32 v4, 1, v4
	v_and_b32_e32 v0, v0, v2
	s_delay_alu instid0(VALU_DEP_4) | instskip(SKIP_3) | instid1(VALU_DEP_4)
	v_xor_b32_e32 v2, vcc_lo, v3
	v_cmp_gt_i32_e32 vcc_lo, 0, v1
	v_ashrrev_i32_e32 v1, 31, v5
	v_add_lshl_u32 v3, v4, v34, 2
	v_and_b32_e32 v0, v0, v2
	s_delay_alu instid0(VALU_DEP_3) | instskip(SKIP_3) | instid1(VALU_DEP_1)
	v_xor_b32_e32 v1, vcc_lo, v1
	ds_load_b32 v59, v3 offset:8
	v_add_nc_u32_e32 v58, 8, v3
	; wave barrier
	v_and_b32_e32 v0, v0, v1
	v_mbcnt_lo_u32_b32 v60, v0, 0
	v_cmp_ne_u32_e64 s11, 0, v0
	s_delay_alu instid0(VALU_DEP_2) | instskip(NEXT) | instid1(VALU_DEP_2)
	v_cmp_eq_u32_e32 vcc_lo, 0, v60
	s_and_b32 s15, s11, vcc_lo
	s_delay_alu instid0(SALU_CYCLE_1)
	s_and_saveexec_b32 s11, s15
	s_cbranch_execz .LBB199_20
; %bb.19:                               ;   in Loop: Header=BB199_4 Depth=2
	s_waitcnt lgkmcnt(0)
	v_bcnt_u32_b32 v0, v0, v59
	ds_store_b32 v58, v0
.LBB199_20:                             ;   in Loop: Header=BB199_4 Depth=2
	s_or_b32 exec_lo, exec_lo, s11
	; wave barrier
	s_waitcnt lgkmcnt(0)
	s_barrier
	buffer_gl0_inv
	ds_load_2addr_b64 v[4:7], v26 offset0:1 offset1:2
	ds_load_2addr_b64 v[0:3], v28 offset0:2 offset1:3
	s_waitcnt lgkmcnt(1)
	v_add_nc_u32_e32 v61, v5, v4
	s_delay_alu instid0(VALU_DEP_1) | instskip(SKIP_1) | instid1(VALU_DEP_1)
	v_add3_u32 v61, v61, v6, v7
	s_waitcnt lgkmcnt(0)
	v_add3_u32 v61, v61, v0, v1
	s_delay_alu instid0(VALU_DEP_1) | instskip(NEXT) | instid1(VALU_DEP_1)
	v_add3_u32 v3, v61, v2, v3
	v_mov_b32_dpp v61, v3 row_shr:1 row_mask:0xf bank_mask:0xf
	s_delay_alu instid0(VALU_DEP_1) | instskip(NEXT) | instid1(VALU_DEP_1)
	v_cndmask_b32_e64 v61, v61, 0, s1
	v_add_nc_u32_e32 v3, v61, v3
	s_delay_alu instid0(VALU_DEP_1) | instskip(NEXT) | instid1(VALU_DEP_1)
	v_mov_b32_dpp v61, v3 row_shr:2 row_mask:0xf bank_mask:0xf
	v_cndmask_b32_e64 v61, 0, v61, s2
	s_delay_alu instid0(VALU_DEP_1) | instskip(NEXT) | instid1(VALU_DEP_1)
	v_add_nc_u32_e32 v3, v3, v61
	v_mov_b32_dpp v61, v3 row_shr:4 row_mask:0xf bank_mask:0xf
	s_delay_alu instid0(VALU_DEP_1) | instskip(NEXT) | instid1(VALU_DEP_1)
	v_cndmask_b32_e64 v61, 0, v61, s3
	v_add_nc_u32_e32 v3, v3, v61
	s_delay_alu instid0(VALU_DEP_1) | instskip(NEXT) | instid1(VALU_DEP_1)
	v_mov_b32_dpp v61, v3 row_shr:8 row_mask:0xf bank_mask:0xf
	v_cndmask_b32_e64 v61, 0, v61, s4
	s_delay_alu instid0(VALU_DEP_1) | instskip(SKIP_3) | instid1(VALU_DEP_1)
	v_add_nc_u32_e32 v3, v3, v61
	ds_swizzle_b32 v61, v3 offset:swizzle(BROADCAST,32,15)
	s_waitcnt lgkmcnt(0)
	v_cndmask_b32_e64 v61, v61, 0, s5
	v_add_nc_u32_e32 v3, v3, v61
	s_and_saveexec_b32 s11, s10
	s_cbranch_execz .LBB199_22
; %bb.21:                               ;   in Loop: Header=BB199_4 Depth=2
	ds_store_b32 v29, v3
.LBB199_22:                             ;   in Loop: Header=BB199_4 Depth=2
	s_or_b32 exec_lo, exec_lo, s11
	s_waitcnt lgkmcnt(0)
	s_barrier
	buffer_gl0_inv
	s_and_saveexec_b32 s11, s6
	s_cbranch_execz .LBB199_24
; %bb.23:                               ;   in Loop: Header=BB199_4 Depth=2
	v_add_nc_u32_e32 v61, v26, v27
	ds_load_b32 v62, v61
	s_waitcnt lgkmcnt(0)
	v_mov_b32_dpp v63, v62 row_shr:1 row_mask:0xf bank_mask:0xf
	s_delay_alu instid0(VALU_DEP_1) | instskip(NEXT) | instid1(VALU_DEP_1)
	v_cndmask_b32_e64 v63, v63, 0, s9
	v_add_nc_u32_e32 v62, v63, v62
	ds_store_b32 v61, v62
.LBB199_24:                             ;   in Loop: Header=BB199_4 Depth=2
	s_or_b32 exec_lo, exec_lo, s11
	v_mov_b32_e32 v61, 0
	s_waitcnt lgkmcnt(0)
	s_barrier
	buffer_gl0_inv
	s_and_saveexec_b32 s11, s7
	s_cbranch_execz .LBB199_26
; %bb.25:                               ;   in Loop: Header=BB199_4 Depth=2
	ds_load_b32 v61, v33
.LBB199_26:                             ;   in Loop: Header=BB199_4 Depth=2
	s_or_b32 exec_lo, exec_lo, s11
	s_waitcnt lgkmcnt(0)
	v_add_nc_u32_e32 v3, v61, v3
	s_cmp_gt_u32 s14, 23
	ds_bpermute_b32 v3, v30, v3
	s_waitcnt lgkmcnt(0)
	v_cndmask_b32_e64 v3, v3, v61, s0
	s_delay_alu instid0(VALU_DEP_1) | instskip(NEXT) | instid1(VALU_DEP_1)
	v_cndmask_b32_e64 v3, v3, 0, s8
	v_add_nc_u32_e32 v4, v3, v4
	s_delay_alu instid0(VALU_DEP_1) | instskip(NEXT) | instid1(VALU_DEP_1)
	v_add_nc_u32_e32 v5, v4, v5
	v_add_nc_u32_e32 v6, v5, v6
	s_delay_alu instid0(VALU_DEP_1) | instskip(NEXT) | instid1(VALU_DEP_1)
	v_add_nc_u32_e32 v61, v6, v7
	;; [unrolled: 3-line block ×3, first 2 shown]
	v_add_nc_u32_e32 v1, v0, v2
	ds_store_2addr_b64 v26, v[3:4], v[5:6] offset0:1 offset1:2
	ds_store_2addr_b64 v28, v[61:62], v[0:1] offset0:2 offset1:3
	s_waitcnt lgkmcnt(0)
	s_barrier
	buffer_gl0_inv
	ds_load_b32 v0, v15
	ds_load_b32 v1, v18
	ds_load_b32 v2, v21
	ds_load_b32 v3, v48
	ds_load_b32 v4, v51
	ds_load_b32 v5, v54
	ds_load_b32 v6, v57
	ds_load_b32 v7, v58
	s_waitcnt lgkmcnt(7)
	v_add_nc_u32_e32 v58, v0, v14
	s_waitcnt lgkmcnt(6)
	v_add3_u32 v57, v17, v16, v1
	s_waitcnt lgkmcnt(5)
	v_add3_u32 v54, v20, v19, v2
	;; [unrolled: 2-line block ×7, first 2 shown]
	s_cbranch_scc0 .LBB199_3
; %bb.27:                               ;   in Loop: Header=BB199_2 Depth=1
                                        ; implicit-def: $vgpr21
                                        ; implicit-def: $vgpr19
                                        ; implicit-def: $vgpr3
                                        ; implicit-def: $vgpr1
                                        ; implicit-def: $vgpr17
                                        ; implicit-def: $vgpr15
                                        ; implicit-def: $vgpr7
                                        ; implicit-def: $vgpr5
                                        ; implicit-def: $sgpr14
	s_branch .LBB199_1
.LBB199_28:
	s_waitcnt lgkmcnt(3)
	v_add_nc_u32_e32 v0, v5, v22
	v_add_nc_u32_e32 v5, v6, v23
	s_waitcnt lgkmcnt(2)
	v_add_nc_u32_e32 v6, v7, v24
	v_add_nc_u32_e32 v7, v8, v25
	v_lshlrev_b32_e32 v8, 2, v9
	s_add_u32 s0, s18, s12
	s_addc_u32 s1, s19, s13
	s_waitcnt lgkmcnt(1)
	v_add_nc_u32_e32 v1, v1, v16
	v_add_nc_u32_e32 v2, v2, v17
	s_waitcnt lgkmcnt(0)
	v_add_nc_u32_e32 v3, v3, v14
	v_add_nc_u32_e32 v4, v4, v15
	s_clause 0x7
	global_store_b32 v8, v0, s[0:1]
	global_store_b32 v8, v5, s[0:1] offset:256
	global_store_b32 v8, v6, s[0:1] offset:512
	;; [unrolled: 1-line block ×7, first 2 shown]
	s_nop 0
	s_sendmsg sendmsg(MSG_DEALLOC_VGPRS)
	s_endpgm
	.section	.rodata,"a",@progbits
	.p2align	6, 0x0
	.amdhsa_kernel _Z17sort_pairs_kernelI22helper_blocked_stripediLj64ELj8ELj10EEvPKT0_PS1_
		.amdhsa_group_segment_fixed_size 2064
		.amdhsa_private_segment_fixed_size 0
		.amdhsa_kernarg_size 272
		.amdhsa_user_sgpr_count 15
		.amdhsa_user_sgpr_dispatch_ptr 0
		.amdhsa_user_sgpr_queue_ptr 0
		.amdhsa_user_sgpr_kernarg_segment_ptr 1
		.amdhsa_user_sgpr_dispatch_id 0
		.amdhsa_user_sgpr_private_segment_size 0
		.amdhsa_wavefront_size32 1
		.amdhsa_uses_dynamic_stack 0
		.amdhsa_enable_private_segment 0
		.amdhsa_system_sgpr_workgroup_id_x 1
		.amdhsa_system_sgpr_workgroup_id_y 0
		.amdhsa_system_sgpr_workgroup_id_z 0
		.amdhsa_system_sgpr_workgroup_info 0
		.amdhsa_system_vgpr_workitem_id 2
		.amdhsa_next_free_vgpr 64
		.amdhsa_next_free_sgpr 22
		.amdhsa_reserve_vcc 1
		.amdhsa_float_round_mode_32 0
		.amdhsa_float_round_mode_16_64 0
		.amdhsa_float_denorm_mode_32 3
		.amdhsa_float_denorm_mode_16_64 3
		.amdhsa_dx10_clamp 1
		.amdhsa_ieee_mode 1
		.amdhsa_fp16_overflow 0
		.amdhsa_workgroup_processor_mode 1
		.amdhsa_memory_ordered 1
		.amdhsa_forward_progress 0
		.amdhsa_shared_vgpr_count 0
		.amdhsa_exception_fp_ieee_invalid_op 0
		.amdhsa_exception_fp_denorm_src 0
		.amdhsa_exception_fp_ieee_div_zero 0
		.amdhsa_exception_fp_ieee_overflow 0
		.amdhsa_exception_fp_ieee_underflow 0
		.amdhsa_exception_fp_ieee_inexact 0
		.amdhsa_exception_int_div_zero 0
	.end_amdhsa_kernel
	.section	.text._Z17sort_pairs_kernelI22helper_blocked_stripediLj64ELj8ELj10EEvPKT0_PS1_,"axG",@progbits,_Z17sort_pairs_kernelI22helper_blocked_stripediLj64ELj8ELj10EEvPKT0_PS1_,comdat
.Lfunc_end199:
	.size	_Z17sort_pairs_kernelI22helper_blocked_stripediLj64ELj8ELj10EEvPKT0_PS1_, .Lfunc_end199-_Z17sort_pairs_kernelI22helper_blocked_stripediLj64ELj8ELj10EEvPKT0_PS1_
                                        ; -- End function
	.section	.AMDGPU.csdata,"",@progbits
; Kernel info:
; codeLenInByte = 4752
; NumSgprs: 24
; NumVgprs: 64
; ScratchSize: 0
; MemoryBound: 0
; FloatMode: 240
; IeeeMode: 1
; LDSByteSize: 2064 bytes/workgroup (compile time only)
; SGPRBlocks: 2
; VGPRBlocks: 7
; NumSGPRsForWavesPerEU: 24
; NumVGPRsForWavesPerEU: 64
; Occupancy: 16
; WaveLimiterHint : 1
; COMPUTE_PGM_RSRC2:SCRATCH_EN: 0
; COMPUTE_PGM_RSRC2:USER_SGPR: 15
; COMPUTE_PGM_RSRC2:TRAP_HANDLER: 0
; COMPUTE_PGM_RSRC2:TGID_X_EN: 1
; COMPUTE_PGM_RSRC2:TGID_Y_EN: 0
; COMPUTE_PGM_RSRC2:TGID_Z_EN: 0
; COMPUTE_PGM_RSRC2:TIDIG_COMP_CNT: 2
	.section	.text._Z16sort_keys_kernelI22helper_blocked_stripediLj128ELj1ELj10EEvPKT0_PS1_,"axG",@progbits,_Z16sort_keys_kernelI22helper_blocked_stripediLj128ELj1ELj10EEvPKT0_PS1_,comdat
	.protected	_Z16sort_keys_kernelI22helper_blocked_stripediLj128ELj1ELj10EEvPKT0_PS1_ ; -- Begin function _Z16sort_keys_kernelI22helper_blocked_stripediLj128ELj1ELj10EEvPKT0_PS1_
	.globl	_Z16sort_keys_kernelI22helper_blocked_stripediLj128ELj1ELj10EEvPKT0_PS1_
	.p2align	8
	.type	_Z16sort_keys_kernelI22helper_blocked_stripediLj128ELj1ELj10EEvPKT0_PS1_,@function
_Z16sort_keys_kernelI22helper_blocked_stripediLj128ELj1ELj10EEvPKT0_PS1_: ; @_Z16sort_keys_kernelI22helper_blocked_stripediLj128ELj1ELj10EEvPKT0_PS1_
; %bb.0:
	s_clause 0x1
	s_load_b128 s[16:19], s[0:1], 0x0
	s_load_b32 s10, s[0:1], 0x1c
	s_mov_b32 s21, 0
	s_lshl_b32 s20, s15, 7
	v_mbcnt_lo_u32_b32 v3, -1, 0
	s_lshl_b64 s[14:15], s[20:21], 2
	s_mov_b32 s20, s21
	s_mov_b32 s22, 10
	s_delay_alu instid0(VALU_DEP_1) | instskip(SKIP_3) | instid1(VALU_DEP_4)
	v_dual_mov_b32 v11, s20 :: v_dual_add_nc_u32 v6, -1, v3
	v_and_b32_e32 v4, 15, v3
	v_dual_mov_b32 v12, s21 :: v_dual_and_b32 v5, 16, v3
	v_and_b32_e32 v7, 3, v3
	v_cmp_gt_i32_e64 s7, 0, v6
	s_delay_alu instid0(VALU_DEP_4)
	v_cmp_lt_u32_e64 s2, 3, v4
	v_cmp_lt_u32_e64 s3, 7, v4
	v_cmp_eq_u32_e64 s4, 0, v5
	v_cmp_eq_u32_e64 s8, 0, v7
	v_cndmask_b32_e64 v5, v6, v3, s7
	s_waitcnt lgkmcnt(0)
	s_add_u32 s0, s16, s14
	s_addc_u32 s1, s17, s15
	s_mov_b32 s16, s21
	s_mov_b32 s17, s21
	v_dual_mov_b32 v9, s16 :: v_dual_and_b32 v8, 0x3ff, v0
	v_mov_b32_e32 v10, s17
	s_lshr_b32 s9, s10, 16
	s_and_b32 s10, s10, 0xffff
	s_delay_alu instid0(VALU_DEP_2)
	v_lshlrev_b32_e32 v1, 2, v8
	v_lshrrev_b32_e32 v6, 3, v8
	v_lshlrev_b32_e32 v13, 5, v8
	v_mul_i32_i24_e32 v20, 0xffffffe4, v8
	v_cmp_eq_u32_e32 vcc_lo, 0, v3
	global_load_b32 v2, v1, s[0:1]
	v_bfe_u32 v1, v0, 10, 10
	v_bfe_u32 v0, v0, 20, 10
	v_cmp_eq_u32_e64 s0, 0, v4
	v_cmp_lt_u32_e64 s1, 1, v4
	v_and_b32_e32 v4, 0x60, v8
	v_cmp_gt_u32_e64 s5, 4, v8
	v_mad_u32_u24 v14, v0, s9, v1
	v_cmp_lt_u32_e64 s9, 1, v7
	v_cmp_lt_u32_e64 s6, 31, v8
	v_or_b32_e32 v7, 31, v4
	v_cmp_eq_u32_e64 s7, 0, v8
	v_mad_u64_u32 v[0:1], null, v14, s10, v[8:9]
	v_and_b32_e32 v14, 12, v6
	v_or_b32_e32 v1, v3, v4
	v_or_b32_e32 v15, 16, v13
	v_lshlrev_b32_e32 v16, 2, v5
	v_cmp_eq_u32_e64 s10, v7, v8
	v_add_nc_u32_e32 v17, -4, v14
	v_lshlrev_b32_e32 v18, 2, v1
	v_lshrrev_b32_e32 v19, 5, v0
	v_add_nc_u32_e32 v20, v13, v20
	s_waitcnt vmcnt(0)
	v_xor_b32_e32 v21, 0x80000000, v2
	s_branch .LBB200_2
.LBB200_1:                              ;   in Loop: Header=BB200_2 Depth=1
	s_or_b32 exec_lo, exec_lo, s11
	s_waitcnt lgkmcnt(0)
	v_add_nc_u32_e32 v3, v24, v3
	s_add_i32 s22, s22, -1
	s_delay_alu instid0(SALU_CYCLE_1) | instskip(SKIP_3) | instid1(VALU_DEP_1)
	s_cmp_eq_u32 s22, 0
	ds_bpermute_b32 v3, v16, v3
	s_waitcnt lgkmcnt(0)
	v_cndmask_b32_e32 v3, v3, v24, vcc_lo
	v_cndmask_b32_e64 v3, v3, 0, s7
	s_delay_alu instid0(VALU_DEP_1) | instskip(NEXT) | instid1(VALU_DEP_1)
	v_add_nc_u32_e32 v4, v3, v4
	v_add_nc_u32_e32 v5, v4, v5
	s_delay_alu instid0(VALU_DEP_1) | instskip(NEXT) | instid1(VALU_DEP_1)
	v_add_nc_u32_e32 v6, v5, v6
	v_add_nc_u32_e32 v24, v6, v7
	;; [unrolled: 3-line block ×3, first 2 shown]
	s_delay_alu instid0(VALU_DEP_1)
	v_add_nc_u32_e32 v1, v0, v2
	ds_store_2addr_b64 v13, v[3:4], v[5:6] offset0:2 offset1:3
	ds_store_2addr_b64 v15, v[24:25], v[0:1] offset0:2 offset1:3
	s_waitcnt lgkmcnt(0)
	s_barrier
	buffer_gl0_inv
	ds_load_b32 v0, v23
	v_lshlrev_b32_e32 v1, 2, v22
	s_waitcnt lgkmcnt(0)
	s_barrier
	buffer_gl0_inv
	v_lshl_add_u32 v0, v0, 2, v1
	ds_store_b32 v0, v21
	s_waitcnt lgkmcnt(0)
	s_barrier
	buffer_gl0_inv
	ds_load_b32 v21, v20
	s_cbranch_scc1 .LBB200_34
.LBB200_2:                              ; =>This Inner Loop Header: Depth=1
	s_waitcnt lgkmcnt(0)
	s_delay_alu instid0(VALU_DEP_1)
	v_and_b32_e32 v0, 1, v21
	v_lshlrev_b32_e32 v1, 30, v21
	v_lshlrev_b32_e32 v2, 29, v21
	;; [unrolled: 1-line block ×4, first 2 shown]
	v_add_co_u32 v0, s11, v0, -1
	s_delay_alu instid0(VALU_DEP_1)
	v_cndmask_b32_e64 v3, 0, 1, s11
	v_not_b32_e32 v7, v1
	v_cmp_gt_i32_e64 s12, 0, v1
	v_not_b32_e32 v1, v2
	v_lshlrev_b32_e32 v6, 26, v21
	v_cmp_ne_u32_e64 s11, 0, v3
	v_ashrrev_i32_e32 v7, 31, v7
	v_lshlrev_b32_e32 v3, 25, v21
	v_ashrrev_i32_e32 v1, 31, v1
	v_cmp_gt_i32_e64 s13, 0, v5
	v_xor_b32_e32 v0, s11, v0
	v_cmp_gt_i32_e64 s11, 0, v2
	v_not_b32_e32 v2, v4
	v_xor_b32_e32 v7, s12, v7
	v_cmp_gt_i32_e64 s12, 0, v4
	v_and_b32_e32 v0, exec_lo, v0
	v_xor_b32_e32 v1, s11, v1
	v_ashrrev_i32_e32 v2, 31, v2
	v_not_b32_e32 v4, v5
	v_not_b32_e32 v5, v6
	v_and_b32_e32 v0, v0, v7
	v_cmp_gt_i32_e64 s11, 0, v6
	v_xor_b32_e32 v2, s12, v2
	v_not_b32_e32 v6, v3
	ds_store_2addr_b64 v13, v[11:12], v[9:10] offset0:2 offset1:3
	ds_store_2addr_b64 v15, v[11:12], v[9:10] offset0:2 offset1:3
	v_and_b32_e32 v0, v0, v1
	v_ashrrev_i32_e32 v1, 31, v4
	v_ashrrev_i32_e32 v4, 31, v5
	v_lshlrev_b32_e32 v5, 24, v21
	s_waitcnt lgkmcnt(0)
	v_and_b32_e32 v0, v0, v2
	v_xor_b32_e32 v1, s13, v1
	v_xor_b32_e32 v2, s11, v4
	v_cmp_gt_i32_e64 s11, 0, v3
	v_not_b32_e32 v3, v5
	v_ashrrev_i32_e32 v4, 31, v6
	v_and_b32_e32 v0, v0, v1
	v_cmp_gt_i32_e64 s12, 0, v5
	s_barrier
	v_ashrrev_i32_e32 v1, 31, v3
	v_xor_b32_e32 v3, s11, v4
	v_and_b32_e32 v0, v0, v2
	buffer_gl0_inv
	v_xor_b32_e32 v1, s12, v1
	; wave barrier
	v_and_b32_e32 v0, v0, v3
	s_delay_alu instid0(VALU_DEP_1) | instskip(SKIP_1) | instid1(VALU_DEP_2)
	v_and_b32_e32 v0, v0, v1
	v_and_b32_e32 v1, 0xff, v21
	v_mbcnt_lo_u32_b32 v22, v0, 0
	s_delay_alu instid0(VALU_DEP_2) | instskip(SKIP_1) | instid1(VALU_DEP_3)
	v_lshl_add_u32 v1, v1, 2, v19
	v_cmp_ne_u32_e64 s12, 0, v0
	v_cmp_eq_u32_e64 s11, 0, v22
	s_delay_alu instid0(VALU_DEP_3) | instskip(NEXT) | instid1(VALU_DEP_2)
	v_lshl_add_u32 v23, v1, 2, 16
	s_and_b32 s12, s12, s11
	s_delay_alu instid0(SALU_CYCLE_1)
	s_and_saveexec_b32 s11, s12
	s_cbranch_execz .LBB200_4
; %bb.3:                                ;   in Loop: Header=BB200_2 Depth=1
	v_bcnt_u32_b32 v0, v0, 0
	ds_store_b32 v23, v0
.LBB200_4:                              ;   in Loop: Header=BB200_2 Depth=1
	s_or_b32 exec_lo, exec_lo, s11
	; wave barrier
	s_waitcnt lgkmcnt(0)
	s_barrier
	buffer_gl0_inv
	ds_load_2addr_b64 v[4:7], v13 offset0:2 offset1:3
	ds_load_2addr_b64 v[0:3], v15 offset0:2 offset1:3
	s_waitcnt lgkmcnt(1)
	v_add_nc_u32_e32 v24, v5, v4
	s_delay_alu instid0(VALU_DEP_1) | instskip(SKIP_1) | instid1(VALU_DEP_1)
	v_add3_u32 v24, v24, v6, v7
	s_waitcnt lgkmcnt(0)
	v_add3_u32 v24, v24, v0, v1
	s_delay_alu instid0(VALU_DEP_1) | instskip(NEXT) | instid1(VALU_DEP_1)
	v_add3_u32 v3, v24, v2, v3
	v_mov_b32_dpp v24, v3 row_shr:1 row_mask:0xf bank_mask:0xf
	s_delay_alu instid0(VALU_DEP_1) | instskip(NEXT) | instid1(VALU_DEP_1)
	v_cndmask_b32_e64 v24, v24, 0, s0
	v_add_nc_u32_e32 v3, v24, v3
	s_delay_alu instid0(VALU_DEP_1) | instskip(NEXT) | instid1(VALU_DEP_1)
	v_mov_b32_dpp v24, v3 row_shr:2 row_mask:0xf bank_mask:0xf
	v_cndmask_b32_e64 v24, 0, v24, s1
	s_delay_alu instid0(VALU_DEP_1) | instskip(NEXT) | instid1(VALU_DEP_1)
	v_add_nc_u32_e32 v3, v3, v24
	v_mov_b32_dpp v24, v3 row_shr:4 row_mask:0xf bank_mask:0xf
	s_delay_alu instid0(VALU_DEP_1) | instskip(NEXT) | instid1(VALU_DEP_1)
	v_cndmask_b32_e64 v24, 0, v24, s2
	v_add_nc_u32_e32 v3, v3, v24
	s_delay_alu instid0(VALU_DEP_1) | instskip(NEXT) | instid1(VALU_DEP_1)
	v_mov_b32_dpp v24, v3 row_shr:8 row_mask:0xf bank_mask:0xf
	v_cndmask_b32_e64 v24, 0, v24, s3
	s_delay_alu instid0(VALU_DEP_1) | instskip(SKIP_3) | instid1(VALU_DEP_1)
	v_add_nc_u32_e32 v3, v3, v24
	ds_swizzle_b32 v24, v3 offset:swizzle(BROADCAST,32,15)
	s_waitcnt lgkmcnt(0)
	v_cndmask_b32_e64 v24, v24, 0, s4
	v_add_nc_u32_e32 v3, v3, v24
	s_and_saveexec_b32 s11, s10
	s_cbranch_execz .LBB200_6
; %bb.5:                                ;   in Loop: Header=BB200_2 Depth=1
	ds_store_b32 v14, v3
.LBB200_6:                              ;   in Loop: Header=BB200_2 Depth=1
	s_or_b32 exec_lo, exec_lo, s11
	s_waitcnt lgkmcnt(0)
	s_barrier
	buffer_gl0_inv
	s_and_saveexec_b32 s11, s5
	s_cbranch_execz .LBB200_8
; %bb.7:                                ;   in Loop: Header=BB200_2 Depth=1
	ds_load_b32 v24, v20
	s_waitcnt lgkmcnt(0)
	v_mov_b32_dpp v25, v24 row_shr:1 row_mask:0xf bank_mask:0xf
	s_delay_alu instid0(VALU_DEP_1) | instskip(NEXT) | instid1(VALU_DEP_1)
	v_cndmask_b32_e64 v25, v25, 0, s8
	v_add_nc_u32_e32 v24, v25, v24
	s_delay_alu instid0(VALU_DEP_1) | instskip(NEXT) | instid1(VALU_DEP_1)
	v_mov_b32_dpp v25, v24 row_shr:2 row_mask:0xf bank_mask:0xf
	v_cndmask_b32_e64 v25, 0, v25, s9
	s_delay_alu instid0(VALU_DEP_1)
	v_add_nc_u32_e32 v24, v24, v25
	ds_store_b32 v20, v24
.LBB200_8:                              ;   in Loop: Header=BB200_2 Depth=1
	s_or_b32 exec_lo, exec_lo, s11
	v_mov_b32_e32 v24, 0
	s_waitcnt lgkmcnt(0)
	s_barrier
	buffer_gl0_inv
	s_and_saveexec_b32 s11, s6
	s_cbranch_execz .LBB200_10
; %bb.9:                                ;   in Loop: Header=BB200_2 Depth=1
	ds_load_b32 v24, v17
.LBB200_10:                             ;   in Loop: Header=BB200_2 Depth=1
	s_or_b32 exec_lo, exec_lo, s11
	s_waitcnt lgkmcnt(0)
	v_add_nc_u32_e32 v3, v24, v3
	ds_bpermute_b32 v3, v16, v3
	s_waitcnt lgkmcnt(0)
	v_cndmask_b32_e32 v3, v3, v24, vcc_lo
	s_delay_alu instid0(VALU_DEP_1) | instskip(NEXT) | instid1(VALU_DEP_1)
	v_cndmask_b32_e64 v3, v3, 0, s7
	v_add_nc_u32_e32 v4, v3, v4
	s_delay_alu instid0(VALU_DEP_1) | instskip(NEXT) | instid1(VALU_DEP_1)
	v_add_nc_u32_e32 v5, v4, v5
	v_add_nc_u32_e32 v6, v5, v6
	s_delay_alu instid0(VALU_DEP_1) | instskip(NEXT) | instid1(VALU_DEP_1)
	v_add_nc_u32_e32 v24, v6, v7
	;; [unrolled: 3-line block ×3, first 2 shown]
	v_add_nc_u32_e32 v1, v0, v2
	ds_store_2addr_b64 v13, v[3:4], v[5:6] offset0:2 offset1:3
	ds_store_2addr_b64 v15, v[24:25], v[0:1] offset0:2 offset1:3
	s_waitcnt lgkmcnt(0)
	s_barrier
	buffer_gl0_inv
	ds_load_b32 v0, v23
	v_lshlrev_b32_e32 v1, 2, v22
	s_waitcnt lgkmcnt(0)
	s_barrier
	buffer_gl0_inv
	v_lshl_add_u32 v0, v0, 2, v1
	ds_store_b32 v0, v21
	s_waitcnt lgkmcnt(0)
	s_barrier
	buffer_gl0_inv
	ds_load_b32 v21, v18
	s_waitcnt lgkmcnt(0)
	s_barrier
	buffer_gl0_inv
	ds_store_2addr_b64 v13, v[11:12], v[9:10] offset0:2 offset1:3
	ds_store_2addr_b64 v15, v[11:12], v[9:10] offset0:2 offset1:3
	s_waitcnt lgkmcnt(0)
	s_barrier
	buffer_gl0_inv
	; wave barrier
	v_bfe_u32 v0, v21, 8, 1
	v_lshrrev_b32_e32 v1, 8, v21
	s_delay_alu instid0(VALU_DEP_2) | instskip(NEXT) | instid1(VALU_DEP_1)
	v_add_co_u32 v0, s11, v0, -1
	v_cndmask_b32_e64 v2, 0, 1, s11
	s_delay_alu instid0(VALU_DEP_3)
	v_lshlrev_b32_e32 v3, 30, v1
	v_lshlrev_b32_e32 v4, 29, v1
	;; [unrolled: 1-line block ×4, first 2 shown]
	v_cmp_ne_u32_e64 s11, 0, v2
	v_not_b32_e32 v2, v3
	v_cmp_gt_i32_e64 s12, 0, v3
	v_not_b32_e32 v3, v4
	v_lshlrev_b32_e32 v7, 26, v1
	v_xor_b32_e32 v0, s11, v0
	v_ashrrev_i32_e32 v2, 31, v2
	v_cmp_gt_i32_e64 s11, 0, v4
	v_not_b32_e32 v4, v5
	v_ashrrev_i32_e32 v3, 31, v3
	v_and_b32_e32 v0, exec_lo, v0
	v_xor_b32_e32 v2, s12, v2
	v_cmp_gt_i32_e64 s12, 0, v5
	v_not_b32_e32 v5, v6
	v_ashrrev_i32_e32 v4, 31, v4
	v_xor_b32_e32 v3, s11, v3
	v_and_b32_e32 v0, v0, v2
	v_lshlrev_b32_e32 v22, 25, v1
	v_cmp_gt_i32_e64 s11, 0, v6
	v_not_b32_e32 v2, v7
	v_ashrrev_i32_e32 v5, 31, v5
	v_xor_b32_e32 v4, s12, v4
	v_and_b32_e32 v0, v0, v3
	v_lshlrev_b32_e32 v1, 24, v1
	v_cmp_gt_i32_e64 s12, 0, v7
	v_not_b32_e32 v3, v22
	v_ashrrev_i32_e32 v2, 31, v2
	v_xor_b32_e32 v5, s11, v5
	v_and_b32_e32 v0, v0, v4
	v_cmp_gt_i32_e64 s11, 0, v22
	v_not_b32_e32 v4, v1
	v_ashrrev_i32_e32 v3, 31, v3
	v_xor_b32_e32 v2, s12, v2
	v_and_b32_e32 v0, v0, v5
	v_cmp_gt_i32_e64 s12, 0, v1
	v_ashrrev_i32_e32 v1, 31, v4
	v_xor_b32_e32 v3, s11, v3
	s_delay_alu instid0(VALU_DEP_4) | instskip(SKIP_1) | instid1(VALU_DEP_4)
	v_and_b32_e32 v0, v0, v2
	v_lshrrev_b32_e32 v2, 6, v21
	v_xor_b32_e32 v1, s12, v1
	s_delay_alu instid0(VALU_DEP_3) | instskip(NEXT) | instid1(VALU_DEP_1)
	v_and_b32_e32 v0, v0, v3
	v_and_b32_e32 v0, v0, v1
	s_delay_alu instid0(VALU_DEP_4) | instskip(NEXT) | instid1(VALU_DEP_2)
	v_and_b32_e32 v1, 0x3fc, v2
	v_mbcnt_lo_u32_b32 v22, v0, 0
	s_delay_alu instid0(VALU_DEP_2) | instskip(SKIP_1) | instid1(VALU_DEP_3)
	v_add_nc_u32_e32 v1, v1, v19
	v_cmp_ne_u32_e64 s12, 0, v0
	v_cmp_eq_u32_e64 s11, 0, v22
	s_delay_alu instid0(VALU_DEP_3) | instskip(NEXT) | instid1(VALU_DEP_2)
	v_lshl_add_u32 v23, v1, 2, 16
	s_and_b32 s12, s12, s11
	s_delay_alu instid0(SALU_CYCLE_1)
	s_and_saveexec_b32 s11, s12
	s_cbranch_execz .LBB200_12
; %bb.11:                               ;   in Loop: Header=BB200_2 Depth=1
	v_bcnt_u32_b32 v0, v0, 0
	ds_store_b32 v23, v0
.LBB200_12:                             ;   in Loop: Header=BB200_2 Depth=1
	s_or_b32 exec_lo, exec_lo, s11
	; wave barrier
	s_waitcnt lgkmcnt(0)
	s_barrier
	buffer_gl0_inv
	ds_load_2addr_b64 v[4:7], v13 offset0:2 offset1:3
	ds_load_2addr_b64 v[0:3], v15 offset0:2 offset1:3
	s_waitcnt lgkmcnt(1)
	v_add_nc_u32_e32 v24, v5, v4
	s_delay_alu instid0(VALU_DEP_1) | instskip(SKIP_1) | instid1(VALU_DEP_1)
	v_add3_u32 v24, v24, v6, v7
	s_waitcnt lgkmcnt(0)
	v_add3_u32 v24, v24, v0, v1
	s_delay_alu instid0(VALU_DEP_1) | instskip(NEXT) | instid1(VALU_DEP_1)
	v_add3_u32 v3, v24, v2, v3
	v_mov_b32_dpp v24, v3 row_shr:1 row_mask:0xf bank_mask:0xf
	s_delay_alu instid0(VALU_DEP_1) | instskip(NEXT) | instid1(VALU_DEP_1)
	v_cndmask_b32_e64 v24, v24, 0, s0
	v_add_nc_u32_e32 v3, v24, v3
	s_delay_alu instid0(VALU_DEP_1) | instskip(NEXT) | instid1(VALU_DEP_1)
	v_mov_b32_dpp v24, v3 row_shr:2 row_mask:0xf bank_mask:0xf
	v_cndmask_b32_e64 v24, 0, v24, s1
	s_delay_alu instid0(VALU_DEP_1) | instskip(NEXT) | instid1(VALU_DEP_1)
	v_add_nc_u32_e32 v3, v3, v24
	v_mov_b32_dpp v24, v3 row_shr:4 row_mask:0xf bank_mask:0xf
	s_delay_alu instid0(VALU_DEP_1) | instskip(NEXT) | instid1(VALU_DEP_1)
	v_cndmask_b32_e64 v24, 0, v24, s2
	v_add_nc_u32_e32 v3, v3, v24
	s_delay_alu instid0(VALU_DEP_1) | instskip(NEXT) | instid1(VALU_DEP_1)
	v_mov_b32_dpp v24, v3 row_shr:8 row_mask:0xf bank_mask:0xf
	v_cndmask_b32_e64 v24, 0, v24, s3
	s_delay_alu instid0(VALU_DEP_1) | instskip(SKIP_3) | instid1(VALU_DEP_1)
	v_add_nc_u32_e32 v3, v3, v24
	ds_swizzle_b32 v24, v3 offset:swizzle(BROADCAST,32,15)
	s_waitcnt lgkmcnt(0)
	v_cndmask_b32_e64 v24, v24, 0, s4
	v_add_nc_u32_e32 v3, v3, v24
	s_and_saveexec_b32 s11, s10
	s_cbranch_execz .LBB200_14
; %bb.13:                               ;   in Loop: Header=BB200_2 Depth=1
	ds_store_b32 v14, v3
.LBB200_14:                             ;   in Loop: Header=BB200_2 Depth=1
	s_or_b32 exec_lo, exec_lo, s11
	s_waitcnt lgkmcnt(0)
	s_barrier
	buffer_gl0_inv
	s_and_saveexec_b32 s11, s5
	s_cbranch_execz .LBB200_16
; %bb.15:                               ;   in Loop: Header=BB200_2 Depth=1
	ds_load_b32 v24, v20
	s_waitcnt lgkmcnt(0)
	v_mov_b32_dpp v25, v24 row_shr:1 row_mask:0xf bank_mask:0xf
	s_delay_alu instid0(VALU_DEP_1) | instskip(NEXT) | instid1(VALU_DEP_1)
	v_cndmask_b32_e64 v25, v25, 0, s8
	v_add_nc_u32_e32 v24, v25, v24
	s_delay_alu instid0(VALU_DEP_1) | instskip(NEXT) | instid1(VALU_DEP_1)
	v_mov_b32_dpp v25, v24 row_shr:2 row_mask:0xf bank_mask:0xf
	v_cndmask_b32_e64 v25, 0, v25, s9
	s_delay_alu instid0(VALU_DEP_1)
	v_add_nc_u32_e32 v24, v24, v25
	ds_store_b32 v20, v24
.LBB200_16:                             ;   in Loop: Header=BB200_2 Depth=1
	s_or_b32 exec_lo, exec_lo, s11
	v_mov_b32_e32 v24, 0
	s_waitcnt lgkmcnt(0)
	s_barrier
	buffer_gl0_inv
	s_and_saveexec_b32 s11, s6
	s_cbranch_execz .LBB200_18
; %bb.17:                               ;   in Loop: Header=BB200_2 Depth=1
	ds_load_b32 v24, v17
.LBB200_18:                             ;   in Loop: Header=BB200_2 Depth=1
	s_or_b32 exec_lo, exec_lo, s11
	s_waitcnt lgkmcnt(0)
	v_add_nc_u32_e32 v3, v24, v3
	ds_bpermute_b32 v3, v16, v3
	s_waitcnt lgkmcnt(0)
	v_cndmask_b32_e32 v3, v3, v24, vcc_lo
	s_delay_alu instid0(VALU_DEP_1) | instskip(NEXT) | instid1(VALU_DEP_1)
	v_cndmask_b32_e64 v3, v3, 0, s7
	v_add_nc_u32_e32 v4, v3, v4
	s_delay_alu instid0(VALU_DEP_1) | instskip(NEXT) | instid1(VALU_DEP_1)
	v_add_nc_u32_e32 v5, v4, v5
	v_add_nc_u32_e32 v6, v5, v6
	s_delay_alu instid0(VALU_DEP_1) | instskip(NEXT) | instid1(VALU_DEP_1)
	v_add_nc_u32_e32 v24, v6, v7
	v_add_nc_u32_e32 v25, v24, v0
	s_delay_alu instid0(VALU_DEP_1) | instskip(NEXT) | instid1(VALU_DEP_1)
	v_add_nc_u32_e32 v0, v25, v1
	v_add_nc_u32_e32 v1, v0, v2
	ds_store_2addr_b64 v13, v[3:4], v[5:6] offset0:2 offset1:3
	ds_store_2addr_b64 v15, v[24:25], v[0:1] offset0:2 offset1:3
	s_waitcnt lgkmcnt(0)
	s_barrier
	buffer_gl0_inv
	ds_load_b32 v0, v23
	v_lshlrev_b32_e32 v1, 2, v22
	s_waitcnt lgkmcnt(0)
	s_barrier
	buffer_gl0_inv
	v_lshl_add_u32 v0, v0, 2, v1
	ds_store_b32 v0, v21
	s_waitcnt lgkmcnt(0)
	s_barrier
	buffer_gl0_inv
	ds_load_b32 v21, v18
	s_waitcnt lgkmcnt(0)
	s_barrier
	buffer_gl0_inv
	v_bfe_u32 v0, v21, 16, 1
	v_lshrrev_b32_e32 v1, 16, v21
	s_delay_alu instid0(VALU_DEP_2) | instskip(NEXT) | instid1(VALU_DEP_1)
	v_add_co_u32 v0, s11, v0, -1
	v_cndmask_b32_e64 v2, 0, 1, s11
	s_delay_alu instid0(VALU_DEP_3)
	v_lshlrev_b32_e32 v3, 30, v1
	v_lshlrev_b32_e32 v4, 29, v1
	;; [unrolled: 1-line block ×4, first 2 shown]
	v_cmp_ne_u32_e64 s11, 0, v2
	v_not_b32_e32 v2, v3
	v_cmp_gt_i32_e64 s12, 0, v3
	v_not_b32_e32 v3, v4
	v_lshlrev_b32_e32 v7, 26, v1
	v_xor_b32_e32 v0, s11, v0
	v_ashrrev_i32_e32 v2, 31, v2
	v_cmp_gt_i32_e64 s11, 0, v4
	v_not_b32_e32 v4, v5
	v_ashrrev_i32_e32 v3, 31, v3
	v_and_b32_e32 v0, exec_lo, v0
	v_xor_b32_e32 v2, s12, v2
	v_cmp_gt_i32_e64 s12, 0, v5
	v_not_b32_e32 v5, v6
	v_ashrrev_i32_e32 v4, 31, v4
	v_xor_b32_e32 v3, s11, v3
	v_and_b32_e32 v0, v0, v2
	v_lshlrev_b32_e32 v22, 25, v1
	v_cmp_gt_i32_e64 s11, 0, v6
	v_not_b32_e32 v2, v7
	v_ashrrev_i32_e32 v5, 31, v5
	v_xor_b32_e32 v4, s12, v4
	v_and_b32_e32 v0, v0, v3
	v_lshlrev_b32_e32 v1, 24, v1
	v_cmp_gt_i32_e64 s12, 0, v7
	v_not_b32_e32 v3, v22
	v_ashrrev_i32_e32 v2, 31, v2
	v_xor_b32_e32 v5, s11, v5
	v_and_b32_e32 v0, v0, v4
	v_cmp_gt_i32_e64 s11, 0, v22
	v_not_b32_e32 v4, v1
	v_ashrrev_i32_e32 v3, 31, v3
	v_xor_b32_e32 v2, s12, v2
	v_and_b32_e32 v0, v0, v5
	v_cmp_gt_i32_e64 s12, 0, v1
	v_ashrrev_i32_e32 v1, 31, v4
	v_xor_b32_e32 v3, s11, v3
	v_lshrrev_b32_e32 v6, 14, v21
	v_and_b32_e32 v0, v0, v2
	s_delay_alu instid0(VALU_DEP_4) | instskip(SKIP_1) | instid1(VALU_DEP_3)
	v_xor_b32_e32 v5, s12, v1
	v_dual_mov_b32 v1, s20 :: v_dual_mov_b32 v2, s21
	v_dual_mov_b32 v3, s16 :: v_dual_and_b32 v0, v0, v3
	v_mov_b32_e32 v4, s17
	ds_store_2addr_b64 v13, v[1:2], v[3:4] offset0:2 offset1:3
	ds_store_2addr_b64 v15, v[1:2], v[3:4] offset0:2 offset1:3
	v_and_b32_e32 v0, v0, v5
	v_and_b32_e32 v5, 0x3fc, v6
	s_waitcnt lgkmcnt(0)
	s_barrier
	buffer_gl0_inv
	v_mbcnt_lo_u32_b32 v22, v0, 0
	v_add_nc_u32_e32 v1, v5, v19
	v_cmp_ne_u32_e64 s12, 0, v0
	; wave barrier
	s_delay_alu instid0(VALU_DEP_3) | instskip(NEXT) | instid1(VALU_DEP_3)
	v_cmp_eq_u32_e64 s11, 0, v22
	v_lshl_add_u32 v23, v1, 2, 16
	s_delay_alu instid0(VALU_DEP_2) | instskip(NEXT) | instid1(SALU_CYCLE_1)
	s_and_b32 s12, s12, s11
	s_and_saveexec_b32 s11, s12
	s_cbranch_execz .LBB200_20
; %bb.19:                               ;   in Loop: Header=BB200_2 Depth=1
	v_bcnt_u32_b32 v0, v0, 0
	ds_store_b32 v23, v0
.LBB200_20:                             ;   in Loop: Header=BB200_2 Depth=1
	s_or_b32 exec_lo, exec_lo, s11
	; wave barrier
	s_waitcnt lgkmcnt(0)
	s_barrier
	buffer_gl0_inv
	ds_load_2addr_b64 v[4:7], v13 offset0:2 offset1:3
	ds_load_2addr_b64 v[0:3], v15 offset0:2 offset1:3
	s_waitcnt lgkmcnt(1)
	v_add_nc_u32_e32 v24, v5, v4
	s_delay_alu instid0(VALU_DEP_1) | instskip(SKIP_1) | instid1(VALU_DEP_1)
	v_add3_u32 v24, v24, v6, v7
	s_waitcnt lgkmcnt(0)
	v_add3_u32 v24, v24, v0, v1
	s_delay_alu instid0(VALU_DEP_1) | instskip(NEXT) | instid1(VALU_DEP_1)
	v_add3_u32 v3, v24, v2, v3
	v_mov_b32_dpp v24, v3 row_shr:1 row_mask:0xf bank_mask:0xf
	s_delay_alu instid0(VALU_DEP_1) | instskip(NEXT) | instid1(VALU_DEP_1)
	v_cndmask_b32_e64 v24, v24, 0, s0
	v_add_nc_u32_e32 v3, v24, v3
	s_delay_alu instid0(VALU_DEP_1) | instskip(NEXT) | instid1(VALU_DEP_1)
	v_mov_b32_dpp v24, v3 row_shr:2 row_mask:0xf bank_mask:0xf
	v_cndmask_b32_e64 v24, 0, v24, s1
	s_delay_alu instid0(VALU_DEP_1) | instskip(NEXT) | instid1(VALU_DEP_1)
	v_add_nc_u32_e32 v3, v3, v24
	v_mov_b32_dpp v24, v3 row_shr:4 row_mask:0xf bank_mask:0xf
	s_delay_alu instid0(VALU_DEP_1) | instskip(NEXT) | instid1(VALU_DEP_1)
	v_cndmask_b32_e64 v24, 0, v24, s2
	v_add_nc_u32_e32 v3, v3, v24
	s_delay_alu instid0(VALU_DEP_1) | instskip(NEXT) | instid1(VALU_DEP_1)
	v_mov_b32_dpp v24, v3 row_shr:8 row_mask:0xf bank_mask:0xf
	v_cndmask_b32_e64 v24, 0, v24, s3
	s_delay_alu instid0(VALU_DEP_1) | instskip(SKIP_3) | instid1(VALU_DEP_1)
	v_add_nc_u32_e32 v3, v3, v24
	ds_swizzle_b32 v24, v3 offset:swizzle(BROADCAST,32,15)
	s_waitcnt lgkmcnt(0)
	v_cndmask_b32_e64 v24, v24, 0, s4
	v_add_nc_u32_e32 v3, v3, v24
	s_and_saveexec_b32 s11, s10
	s_cbranch_execz .LBB200_22
; %bb.21:                               ;   in Loop: Header=BB200_2 Depth=1
	ds_store_b32 v14, v3
.LBB200_22:                             ;   in Loop: Header=BB200_2 Depth=1
	s_or_b32 exec_lo, exec_lo, s11
	s_waitcnt lgkmcnt(0)
	s_barrier
	buffer_gl0_inv
	s_and_saveexec_b32 s11, s5
	s_cbranch_execz .LBB200_24
; %bb.23:                               ;   in Loop: Header=BB200_2 Depth=1
	ds_load_b32 v24, v20
	s_waitcnt lgkmcnt(0)
	v_mov_b32_dpp v25, v24 row_shr:1 row_mask:0xf bank_mask:0xf
	s_delay_alu instid0(VALU_DEP_1) | instskip(NEXT) | instid1(VALU_DEP_1)
	v_cndmask_b32_e64 v25, v25, 0, s8
	v_add_nc_u32_e32 v24, v25, v24
	s_delay_alu instid0(VALU_DEP_1) | instskip(NEXT) | instid1(VALU_DEP_1)
	v_mov_b32_dpp v25, v24 row_shr:2 row_mask:0xf bank_mask:0xf
	v_cndmask_b32_e64 v25, 0, v25, s9
	s_delay_alu instid0(VALU_DEP_1)
	v_add_nc_u32_e32 v24, v24, v25
	ds_store_b32 v20, v24
.LBB200_24:                             ;   in Loop: Header=BB200_2 Depth=1
	s_or_b32 exec_lo, exec_lo, s11
	v_mov_b32_e32 v24, 0
	s_waitcnt lgkmcnt(0)
	s_barrier
	buffer_gl0_inv
	s_and_saveexec_b32 s11, s6
	s_cbranch_execz .LBB200_26
; %bb.25:                               ;   in Loop: Header=BB200_2 Depth=1
	ds_load_b32 v24, v17
.LBB200_26:                             ;   in Loop: Header=BB200_2 Depth=1
	s_or_b32 exec_lo, exec_lo, s11
	s_waitcnt lgkmcnt(0)
	v_add_nc_u32_e32 v3, v24, v3
	ds_bpermute_b32 v3, v16, v3
	s_waitcnt lgkmcnt(0)
	v_cndmask_b32_e32 v3, v3, v24, vcc_lo
	s_delay_alu instid0(VALU_DEP_1) | instskip(NEXT) | instid1(VALU_DEP_1)
	v_cndmask_b32_e64 v3, v3, 0, s7
	v_add_nc_u32_e32 v4, v3, v4
	s_delay_alu instid0(VALU_DEP_1) | instskip(NEXT) | instid1(VALU_DEP_1)
	v_add_nc_u32_e32 v5, v4, v5
	v_add_nc_u32_e32 v6, v5, v6
	s_delay_alu instid0(VALU_DEP_1) | instskip(NEXT) | instid1(VALU_DEP_1)
	v_add_nc_u32_e32 v24, v6, v7
	;; [unrolled: 3-line block ×3, first 2 shown]
	v_add_nc_u32_e32 v1, v0, v2
	ds_store_2addr_b64 v13, v[3:4], v[5:6] offset0:2 offset1:3
	ds_store_2addr_b64 v15, v[24:25], v[0:1] offset0:2 offset1:3
	s_waitcnt lgkmcnt(0)
	s_barrier
	buffer_gl0_inv
	ds_load_b32 v0, v23
	v_lshlrev_b32_e32 v1, 2, v22
	s_waitcnt lgkmcnt(0)
	s_barrier
	buffer_gl0_inv
	v_lshl_add_u32 v0, v0, 2, v1
	ds_store_b32 v0, v21
	s_waitcnt lgkmcnt(0)
	s_barrier
	buffer_gl0_inv
	ds_load_b32 v21, v18
	s_waitcnt lgkmcnt(0)
	s_barrier
	buffer_gl0_inv
	v_bfe_u32 v0, v21, 24, 1
	v_lshrrev_b32_e32 v5, 24, v21
	s_delay_alu instid0(VALU_DEP_2) | instskip(NEXT) | instid1(VALU_DEP_1)
	v_add_co_u32 v0, s11, v0, -1
	v_cndmask_b32_e64 v1, 0, 1, s11
	s_delay_alu instid0(VALU_DEP_3)
	v_lshlrev_b32_e32 v2, 30, v5
	v_lshlrev_b32_e32 v3, 29, v5
	;; [unrolled: 1-line block ×4, first 2 shown]
	v_cmp_ne_u32_e64 s11, 0, v1
	v_not_b32_e32 v1, v2
	v_cmp_gt_i32_e64 s12, 0, v2
	v_not_b32_e32 v2, v3
	v_lshlrev_b32_e32 v7, 26, v5
	v_xor_b32_e32 v0, s11, v0
	v_ashrrev_i32_e32 v1, 31, v1
	v_cmp_gt_i32_e64 s11, 0, v3
	v_not_b32_e32 v3, v4
	v_ashrrev_i32_e32 v2, 31, v2
	v_and_b32_e32 v0, exec_lo, v0
	v_xor_b32_e32 v1, s12, v1
	v_cmp_gt_i32_e64 s12, 0, v4
	v_not_b32_e32 v4, v6
	v_ashrrev_i32_e32 v3, 31, v3
	v_xor_b32_e32 v2, s11, v2
	v_and_b32_e32 v0, v0, v1
	v_lshlrev_b32_e32 v22, 25, v5
	v_cmp_gt_i32_e64 s11, 0, v6
	v_not_b32_e32 v1, v7
	v_ashrrev_i32_e32 v4, 31, v4
	v_xor_b32_e32 v3, s12, v3
	v_and_b32_e32 v0, v0, v2
	v_cmp_gt_i32_e64 s12, 0, v7
	v_not_b32_e32 v2, v22
	v_ashrrev_i32_e32 v1, 31, v1
	v_xor_b32_e32 v4, s11, v4
	v_and_b32_e32 v0, v0, v3
	v_not_b32_e32 v3, v21
	v_cmp_gt_i32_e64 s11, 0, v22
	v_ashrrev_i32_e32 v2, 31, v2
	v_xor_b32_e32 v1, s12, v1
	v_and_b32_e32 v0, v0, v4
	v_cmp_gt_i32_e64 s12, 0, v21
	v_ashrrev_i32_e32 v3, 31, v3
	v_xor_b32_e32 v2, s11, v2
	s_delay_alu instid0(VALU_DEP_4) | instskip(NEXT) | instid1(VALU_DEP_3)
	v_and_b32_e32 v0, v0, v1
	v_xor_b32_e32 v3, s12, v3
	s_delay_alu instid0(VALU_DEP_2) | instskip(SKIP_1) | instid1(VALU_DEP_2)
	v_dual_mov_b32 v1, s20 :: v_dual_and_b32 v0, v0, v2
	v_mov_b32_e32 v2, s21
	v_dual_mov_b32 v3, s16 :: v_dual_and_b32 v0, v0, v3
	v_mov_b32_e32 v4, s17
	ds_store_2addr_b64 v13, v[1:2], v[3:4] offset0:2 offset1:3
	ds_store_2addr_b64 v15, v[1:2], v[3:4] offset0:2 offset1:3
	v_mbcnt_lo_u32_b32 v22, v0, 0
	v_lshl_add_u32 v1, v5, 2, v19
	v_cmp_ne_u32_e64 s12, 0, v0
	s_waitcnt lgkmcnt(0)
	s_barrier
	v_cmp_eq_u32_e64 s11, 0, v22
	v_lshl_add_u32 v23, v1, 2, 16
	buffer_gl0_inv
	; wave barrier
	s_and_b32 s12, s12, s11
	s_delay_alu instid0(SALU_CYCLE_1)
	s_and_saveexec_b32 s11, s12
	s_cbranch_execz .LBB200_28
; %bb.27:                               ;   in Loop: Header=BB200_2 Depth=1
	v_bcnt_u32_b32 v0, v0, 0
	ds_store_b32 v23, v0
.LBB200_28:                             ;   in Loop: Header=BB200_2 Depth=1
	s_or_b32 exec_lo, exec_lo, s11
	; wave barrier
	s_waitcnt lgkmcnt(0)
	s_barrier
	buffer_gl0_inv
	ds_load_2addr_b64 v[4:7], v13 offset0:2 offset1:3
	ds_load_2addr_b64 v[0:3], v15 offset0:2 offset1:3
	s_waitcnt lgkmcnt(1)
	v_add_nc_u32_e32 v24, v5, v4
	s_delay_alu instid0(VALU_DEP_1) | instskip(SKIP_1) | instid1(VALU_DEP_1)
	v_add3_u32 v24, v24, v6, v7
	s_waitcnt lgkmcnt(0)
	v_add3_u32 v24, v24, v0, v1
	s_delay_alu instid0(VALU_DEP_1) | instskip(NEXT) | instid1(VALU_DEP_1)
	v_add3_u32 v3, v24, v2, v3
	v_mov_b32_dpp v24, v3 row_shr:1 row_mask:0xf bank_mask:0xf
	s_delay_alu instid0(VALU_DEP_1) | instskip(NEXT) | instid1(VALU_DEP_1)
	v_cndmask_b32_e64 v24, v24, 0, s0
	v_add_nc_u32_e32 v3, v24, v3
	s_delay_alu instid0(VALU_DEP_1) | instskip(NEXT) | instid1(VALU_DEP_1)
	v_mov_b32_dpp v24, v3 row_shr:2 row_mask:0xf bank_mask:0xf
	v_cndmask_b32_e64 v24, 0, v24, s1
	s_delay_alu instid0(VALU_DEP_1) | instskip(NEXT) | instid1(VALU_DEP_1)
	v_add_nc_u32_e32 v3, v3, v24
	v_mov_b32_dpp v24, v3 row_shr:4 row_mask:0xf bank_mask:0xf
	s_delay_alu instid0(VALU_DEP_1) | instskip(NEXT) | instid1(VALU_DEP_1)
	v_cndmask_b32_e64 v24, 0, v24, s2
	v_add_nc_u32_e32 v3, v3, v24
	s_delay_alu instid0(VALU_DEP_1) | instskip(NEXT) | instid1(VALU_DEP_1)
	v_mov_b32_dpp v24, v3 row_shr:8 row_mask:0xf bank_mask:0xf
	v_cndmask_b32_e64 v24, 0, v24, s3
	s_delay_alu instid0(VALU_DEP_1) | instskip(SKIP_3) | instid1(VALU_DEP_1)
	v_add_nc_u32_e32 v3, v3, v24
	ds_swizzle_b32 v24, v3 offset:swizzle(BROADCAST,32,15)
	s_waitcnt lgkmcnt(0)
	v_cndmask_b32_e64 v24, v24, 0, s4
	v_add_nc_u32_e32 v3, v3, v24
	s_and_saveexec_b32 s11, s10
	s_cbranch_execz .LBB200_30
; %bb.29:                               ;   in Loop: Header=BB200_2 Depth=1
	ds_store_b32 v14, v3
.LBB200_30:                             ;   in Loop: Header=BB200_2 Depth=1
	s_or_b32 exec_lo, exec_lo, s11
	s_waitcnt lgkmcnt(0)
	s_barrier
	buffer_gl0_inv
	s_and_saveexec_b32 s11, s5
	s_cbranch_execz .LBB200_32
; %bb.31:                               ;   in Loop: Header=BB200_2 Depth=1
	ds_load_b32 v24, v20
	s_waitcnt lgkmcnt(0)
	v_mov_b32_dpp v25, v24 row_shr:1 row_mask:0xf bank_mask:0xf
	s_delay_alu instid0(VALU_DEP_1) | instskip(NEXT) | instid1(VALU_DEP_1)
	v_cndmask_b32_e64 v25, v25, 0, s8
	v_add_nc_u32_e32 v24, v25, v24
	s_delay_alu instid0(VALU_DEP_1) | instskip(NEXT) | instid1(VALU_DEP_1)
	v_mov_b32_dpp v25, v24 row_shr:2 row_mask:0xf bank_mask:0xf
	v_cndmask_b32_e64 v25, 0, v25, s9
	s_delay_alu instid0(VALU_DEP_1)
	v_add_nc_u32_e32 v24, v24, v25
	ds_store_b32 v20, v24
.LBB200_32:                             ;   in Loop: Header=BB200_2 Depth=1
	s_or_b32 exec_lo, exec_lo, s11
	v_mov_b32_e32 v24, 0
	s_waitcnt lgkmcnt(0)
	s_barrier
	buffer_gl0_inv
	s_and_saveexec_b32 s11, s6
	s_cbranch_execz .LBB200_1
; %bb.33:                               ;   in Loop: Header=BB200_2 Depth=1
	ds_load_b32 v24, v17
	s_branch .LBB200_1
.LBB200_34:
	s_waitcnt lgkmcnt(0)
	v_xor_b32_e32 v0, 0x80000000, v21
	v_lshlrev_b32_e32 v1, 2, v8
	s_add_u32 s0, s18, s14
	s_addc_u32 s1, s19, s15
	global_store_b32 v1, v0, s[0:1]
	s_nop 0
	s_sendmsg sendmsg(MSG_DEALLOC_VGPRS)
	s_endpgm
	.section	.rodata,"a",@progbits
	.p2align	6, 0x0
	.amdhsa_kernel _Z16sort_keys_kernelI22helper_blocked_stripediLj128ELj1ELj10EEvPKT0_PS1_
		.amdhsa_group_segment_fixed_size 4112
		.amdhsa_private_segment_fixed_size 0
		.amdhsa_kernarg_size 272
		.amdhsa_user_sgpr_count 15
		.amdhsa_user_sgpr_dispatch_ptr 0
		.amdhsa_user_sgpr_queue_ptr 0
		.amdhsa_user_sgpr_kernarg_segment_ptr 1
		.amdhsa_user_sgpr_dispatch_id 0
		.amdhsa_user_sgpr_private_segment_size 0
		.amdhsa_wavefront_size32 1
		.amdhsa_uses_dynamic_stack 0
		.amdhsa_enable_private_segment 0
		.amdhsa_system_sgpr_workgroup_id_x 1
		.amdhsa_system_sgpr_workgroup_id_y 0
		.amdhsa_system_sgpr_workgroup_id_z 0
		.amdhsa_system_sgpr_workgroup_info 0
		.amdhsa_system_vgpr_workitem_id 2
		.amdhsa_next_free_vgpr 26
		.amdhsa_next_free_sgpr 23
		.amdhsa_reserve_vcc 1
		.amdhsa_float_round_mode_32 0
		.amdhsa_float_round_mode_16_64 0
		.amdhsa_float_denorm_mode_32 3
		.amdhsa_float_denorm_mode_16_64 3
		.amdhsa_dx10_clamp 1
		.amdhsa_ieee_mode 1
		.amdhsa_fp16_overflow 0
		.amdhsa_workgroup_processor_mode 1
		.amdhsa_memory_ordered 1
		.amdhsa_forward_progress 0
		.amdhsa_shared_vgpr_count 0
		.amdhsa_exception_fp_ieee_invalid_op 0
		.amdhsa_exception_fp_denorm_src 0
		.amdhsa_exception_fp_ieee_div_zero 0
		.amdhsa_exception_fp_ieee_overflow 0
		.amdhsa_exception_fp_ieee_underflow 0
		.amdhsa_exception_fp_ieee_inexact 0
		.amdhsa_exception_int_div_zero 0
	.end_amdhsa_kernel
	.section	.text._Z16sort_keys_kernelI22helper_blocked_stripediLj128ELj1ELj10EEvPKT0_PS1_,"axG",@progbits,_Z16sort_keys_kernelI22helper_blocked_stripediLj128ELj1ELj10EEvPKT0_PS1_,comdat
.Lfunc_end200:
	.size	_Z16sort_keys_kernelI22helper_blocked_stripediLj128ELj1ELj10EEvPKT0_PS1_, .Lfunc_end200-_Z16sort_keys_kernelI22helper_blocked_stripediLj128ELj1ELj10EEvPKT0_PS1_
                                        ; -- End function
	.section	.AMDGPU.csdata,"",@progbits
; Kernel info:
; codeLenInByte = 4152
; NumSgprs: 25
; NumVgprs: 26
; ScratchSize: 0
; MemoryBound: 0
; FloatMode: 240
; IeeeMode: 1
; LDSByteSize: 4112 bytes/workgroup (compile time only)
; SGPRBlocks: 3
; VGPRBlocks: 3
; NumSGPRsForWavesPerEU: 25
; NumVGPRsForWavesPerEU: 26
; Occupancy: 16
; WaveLimiterHint : 0
; COMPUTE_PGM_RSRC2:SCRATCH_EN: 0
; COMPUTE_PGM_RSRC2:USER_SGPR: 15
; COMPUTE_PGM_RSRC2:TRAP_HANDLER: 0
; COMPUTE_PGM_RSRC2:TGID_X_EN: 1
; COMPUTE_PGM_RSRC2:TGID_Y_EN: 0
; COMPUTE_PGM_RSRC2:TGID_Z_EN: 0
; COMPUTE_PGM_RSRC2:TIDIG_COMP_CNT: 2
	.section	.text._Z17sort_pairs_kernelI22helper_blocked_stripediLj128ELj1ELj10EEvPKT0_PS1_,"axG",@progbits,_Z17sort_pairs_kernelI22helper_blocked_stripediLj128ELj1ELj10EEvPKT0_PS1_,comdat
	.protected	_Z17sort_pairs_kernelI22helper_blocked_stripediLj128ELj1ELj10EEvPKT0_PS1_ ; -- Begin function _Z17sort_pairs_kernelI22helper_blocked_stripediLj128ELj1ELj10EEvPKT0_PS1_
	.globl	_Z17sort_pairs_kernelI22helper_blocked_stripediLj128ELj1ELj10EEvPKT0_PS1_
	.p2align	8
	.type	_Z17sort_pairs_kernelI22helper_blocked_stripediLj128ELj1ELj10EEvPKT0_PS1_,@function
_Z17sort_pairs_kernelI22helper_blocked_stripediLj128ELj1ELj10EEvPKT0_PS1_: ; @_Z17sort_pairs_kernelI22helper_blocked_stripediLj128ELj1ELj10EEvPKT0_PS1_
; %bb.0:
	s_clause 0x1
	s_load_b128 s[16:19], s[0:1], 0x0
	s_load_b32 s10, s[0:1], 0x1c
	s_mov_b32 s21, 0
	s_lshl_b32 s20, s15, 7
	v_mbcnt_lo_u32_b32 v3, -1, 0
	s_lshl_b64 s[14:15], s[20:21], 2
	s_mov_b32 s20, s21
	s_mov_b32 s22, 10
	s_delay_alu instid0(VALU_DEP_1) | instskip(SKIP_3) | instid1(VALU_DEP_4)
	v_dual_mov_b32 v11, s20 :: v_dual_add_nc_u32 v6, -1, v3
	v_and_b32_e32 v4, 15, v3
	v_dual_mov_b32 v12, s21 :: v_dual_and_b32 v5, 16, v3
	v_and_b32_e32 v7, 3, v3
	v_cmp_gt_i32_e64 s7, 0, v6
	s_delay_alu instid0(VALU_DEP_4)
	v_cmp_lt_u32_e64 s2, 3, v4
	v_cmp_lt_u32_e64 s3, 7, v4
	v_cmp_eq_u32_e64 s4, 0, v5
	v_cmp_eq_u32_e64 s8, 0, v7
	v_cndmask_b32_e64 v5, v6, v3, s7
	s_waitcnt lgkmcnt(0)
	s_add_u32 s0, s16, s14
	s_addc_u32 s1, s17, s15
	s_mov_b32 s16, s21
	s_mov_b32 s17, s21
	v_dual_mov_b32 v9, s16 :: v_dual_and_b32 v8, 0x3ff, v0
	v_mov_b32_e32 v10, s17
	s_lshr_b32 s9, s10, 16
	s_and_b32 s10, s10, 0xffff
	s_delay_alu instid0(VALU_DEP_2)
	v_lshlrev_b32_e32 v1, 2, v8
	v_lshrrev_b32_e32 v6, 3, v8
	v_lshlrev_b32_e32 v13, 5, v8
	v_mul_i32_i24_e32 v20, 0xffffffe4, v8
	v_cmp_eq_u32_e32 vcc_lo, 0, v3
	global_load_b32 v2, v1, s[0:1]
	v_bfe_u32 v1, v0, 10, 10
	v_bfe_u32 v0, v0, 20, 10
	v_cmp_eq_u32_e64 s0, 0, v4
	v_cmp_lt_u32_e64 s1, 1, v4
	v_and_b32_e32 v4, 0x60, v8
	v_cmp_gt_u32_e64 s5, 4, v8
	v_mad_u32_u24 v14, v0, s9, v1
	v_cmp_lt_u32_e64 s9, 1, v7
	v_cmp_lt_u32_e64 s6, 31, v8
	v_or_b32_e32 v7, 31, v4
	v_cmp_eq_u32_e64 s7, 0, v8
	v_mad_u64_u32 v[0:1], null, v14, s10, v[8:9]
	v_and_b32_e32 v14, 12, v6
	v_or_b32_e32 v1, v3, v4
	v_or_b32_e32 v15, 16, v13
	v_lshlrev_b32_e32 v16, 2, v5
	v_cmp_eq_u32_e64 s10, v7, v8
	v_add_nc_u32_e32 v17, -4, v14
	v_lshlrev_b32_e32 v18, 2, v1
	v_lshrrev_b32_e32 v19, 5, v0
	v_add_nc_u32_e32 v20, v13, v20
	s_waitcnt vmcnt(0)
	v_add_nc_u32_e32 v21, 1, v2
	v_xor_b32_e32 v22, 0x80000000, v2
	s_branch .LBB201_2
.LBB201_1:                              ;   in Loop: Header=BB201_2 Depth=1
	s_or_b32 exec_lo, exec_lo, s11
	s_waitcnt lgkmcnt(0)
	v_add_nc_u32_e32 v3, v25, v3
	s_add_i32 s22, s22, -1
	s_delay_alu instid0(SALU_CYCLE_1) | instskip(SKIP_3) | instid1(VALU_DEP_1)
	s_cmp_lg_u32 s22, 0
	ds_bpermute_b32 v3, v16, v3
	s_waitcnt lgkmcnt(0)
	v_cndmask_b32_e32 v3, v3, v25, vcc_lo
	v_cndmask_b32_e64 v3, v3, 0, s7
	s_delay_alu instid0(VALU_DEP_1) | instskip(NEXT) | instid1(VALU_DEP_1)
	v_add_nc_u32_e32 v4, v3, v4
	v_add_nc_u32_e32 v5, v4, v5
	s_delay_alu instid0(VALU_DEP_1) | instskip(NEXT) | instid1(VALU_DEP_1)
	v_add_nc_u32_e32 v6, v5, v6
	v_add_nc_u32_e32 v25, v6, v7
	;; [unrolled: 3-line block ×3, first 2 shown]
	s_delay_alu instid0(VALU_DEP_1)
	v_add_nc_u32_e32 v1, v0, v2
	ds_store_2addr_b64 v13, v[3:4], v[5:6] offset0:2 offset1:3
	ds_store_2addr_b64 v15, v[25:26], v[0:1] offset0:2 offset1:3
	s_waitcnt lgkmcnt(0)
	s_barrier
	buffer_gl0_inv
	ds_load_b32 v0, v24
	v_lshlrev_b32_e32 v1, 2, v22
	s_waitcnt lgkmcnt(0)
	s_barrier
	buffer_gl0_inv
	v_lshl_add_u32 v0, v0, 2, v1
	ds_store_b32 v0, v21
	s_waitcnt lgkmcnt(0)
	s_barrier
	buffer_gl0_inv
	ds_load_b32 v22, v20
	s_waitcnt lgkmcnt(0)
	s_barrier
	buffer_gl0_inv
	ds_store_b32 v0, v23
	s_waitcnt lgkmcnt(0)
	s_barrier
	buffer_gl0_inv
	ds_load_b32 v21, v20
	s_cbranch_scc0 .LBB201_34
.LBB201_2:                              ; =>This Inner Loop Header: Depth=1
	s_delay_alu instid0(VALU_DEP_1)
	v_and_b32_e32 v0, 1, v22
	v_lshlrev_b32_e32 v1, 30, v22
	v_lshlrev_b32_e32 v2, 29, v22
	;; [unrolled: 1-line block ×4, first 2 shown]
	v_add_co_u32 v0, s11, v0, -1
	s_delay_alu instid0(VALU_DEP_1)
	v_cndmask_b32_e64 v3, 0, 1, s11
	v_not_b32_e32 v7, v1
	v_cmp_gt_i32_e64 s12, 0, v1
	v_not_b32_e32 v1, v2
	v_lshlrev_b32_e32 v6, 26, v22
	v_cmp_ne_u32_e64 s11, 0, v3
	v_ashrrev_i32_e32 v7, 31, v7
	v_lshlrev_b32_e32 v3, 25, v22
	v_ashrrev_i32_e32 v1, 31, v1
	v_cmp_gt_i32_e64 s13, 0, v5
	v_xor_b32_e32 v0, s11, v0
	v_cmp_gt_i32_e64 s11, 0, v2
	v_not_b32_e32 v2, v4
	v_xor_b32_e32 v7, s12, v7
	v_cmp_gt_i32_e64 s12, 0, v4
	v_and_b32_e32 v0, exec_lo, v0
	v_xor_b32_e32 v1, s11, v1
	v_ashrrev_i32_e32 v2, 31, v2
	v_not_b32_e32 v4, v5
	v_not_b32_e32 v5, v6
	v_and_b32_e32 v0, v0, v7
	v_cmp_gt_i32_e64 s11, 0, v6
	v_xor_b32_e32 v2, s12, v2
	v_not_b32_e32 v6, v3
	ds_store_2addr_b64 v13, v[11:12], v[9:10] offset0:2 offset1:3
	ds_store_2addr_b64 v15, v[11:12], v[9:10] offset0:2 offset1:3
	v_and_b32_e32 v0, v0, v1
	v_ashrrev_i32_e32 v1, 31, v4
	v_ashrrev_i32_e32 v4, 31, v5
	v_lshlrev_b32_e32 v5, 24, v22
	s_waitcnt lgkmcnt(0)
	v_and_b32_e32 v0, v0, v2
	v_xor_b32_e32 v1, s13, v1
	v_xor_b32_e32 v2, s11, v4
	v_cmp_gt_i32_e64 s11, 0, v3
	v_not_b32_e32 v3, v5
	v_ashrrev_i32_e32 v4, 31, v6
	v_and_b32_e32 v0, v0, v1
	v_cmp_gt_i32_e64 s12, 0, v5
	s_barrier
	v_ashrrev_i32_e32 v1, 31, v3
	v_xor_b32_e32 v3, s11, v4
	v_and_b32_e32 v0, v0, v2
	buffer_gl0_inv
	v_xor_b32_e32 v1, s12, v1
	; wave barrier
	v_and_b32_e32 v0, v0, v3
	s_delay_alu instid0(VALU_DEP_1) | instskip(SKIP_1) | instid1(VALU_DEP_2)
	v_and_b32_e32 v0, v0, v1
	v_and_b32_e32 v1, 0xff, v22
	v_mbcnt_lo_u32_b32 v23, v0, 0
	s_delay_alu instid0(VALU_DEP_2) | instskip(SKIP_1) | instid1(VALU_DEP_3)
	v_lshl_add_u32 v1, v1, 2, v19
	v_cmp_ne_u32_e64 s12, 0, v0
	v_cmp_eq_u32_e64 s11, 0, v23
	s_delay_alu instid0(VALU_DEP_3) | instskip(NEXT) | instid1(VALU_DEP_2)
	v_lshl_add_u32 v24, v1, 2, 16
	s_and_b32 s12, s12, s11
	s_delay_alu instid0(SALU_CYCLE_1)
	s_and_saveexec_b32 s11, s12
	s_cbranch_execz .LBB201_4
; %bb.3:                                ;   in Loop: Header=BB201_2 Depth=1
	v_bcnt_u32_b32 v0, v0, 0
	ds_store_b32 v24, v0
.LBB201_4:                              ;   in Loop: Header=BB201_2 Depth=1
	s_or_b32 exec_lo, exec_lo, s11
	; wave barrier
	s_waitcnt lgkmcnt(0)
	s_barrier
	buffer_gl0_inv
	ds_load_2addr_b64 v[4:7], v13 offset0:2 offset1:3
	ds_load_2addr_b64 v[0:3], v15 offset0:2 offset1:3
	s_waitcnt lgkmcnt(1)
	v_add_nc_u32_e32 v25, v5, v4
	s_delay_alu instid0(VALU_DEP_1) | instskip(SKIP_1) | instid1(VALU_DEP_1)
	v_add3_u32 v25, v25, v6, v7
	s_waitcnt lgkmcnt(0)
	v_add3_u32 v25, v25, v0, v1
	s_delay_alu instid0(VALU_DEP_1) | instskip(NEXT) | instid1(VALU_DEP_1)
	v_add3_u32 v3, v25, v2, v3
	v_mov_b32_dpp v25, v3 row_shr:1 row_mask:0xf bank_mask:0xf
	s_delay_alu instid0(VALU_DEP_1) | instskip(NEXT) | instid1(VALU_DEP_1)
	v_cndmask_b32_e64 v25, v25, 0, s0
	v_add_nc_u32_e32 v3, v25, v3
	s_delay_alu instid0(VALU_DEP_1) | instskip(NEXT) | instid1(VALU_DEP_1)
	v_mov_b32_dpp v25, v3 row_shr:2 row_mask:0xf bank_mask:0xf
	v_cndmask_b32_e64 v25, 0, v25, s1
	s_delay_alu instid0(VALU_DEP_1) | instskip(NEXT) | instid1(VALU_DEP_1)
	v_add_nc_u32_e32 v3, v3, v25
	v_mov_b32_dpp v25, v3 row_shr:4 row_mask:0xf bank_mask:0xf
	s_delay_alu instid0(VALU_DEP_1) | instskip(NEXT) | instid1(VALU_DEP_1)
	v_cndmask_b32_e64 v25, 0, v25, s2
	v_add_nc_u32_e32 v3, v3, v25
	s_delay_alu instid0(VALU_DEP_1) | instskip(NEXT) | instid1(VALU_DEP_1)
	v_mov_b32_dpp v25, v3 row_shr:8 row_mask:0xf bank_mask:0xf
	v_cndmask_b32_e64 v25, 0, v25, s3
	s_delay_alu instid0(VALU_DEP_1) | instskip(SKIP_3) | instid1(VALU_DEP_1)
	v_add_nc_u32_e32 v3, v3, v25
	ds_swizzle_b32 v25, v3 offset:swizzle(BROADCAST,32,15)
	s_waitcnt lgkmcnt(0)
	v_cndmask_b32_e64 v25, v25, 0, s4
	v_add_nc_u32_e32 v3, v3, v25
	s_and_saveexec_b32 s11, s10
	s_cbranch_execz .LBB201_6
; %bb.5:                                ;   in Loop: Header=BB201_2 Depth=1
	ds_store_b32 v14, v3
.LBB201_6:                              ;   in Loop: Header=BB201_2 Depth=1
	s_or_b32 exec_lo, exec_lo, s11
	s_waitcnt lgkmcnt(0)
	s_barrier
	buffer_gl0_inv
	s_and_saveexec_b32 s11, s5
	s_cbranch_execz .LBB201_8
; %bb.7:                                ;   in Loop: Header=BB201_2 Depth=1
	ds_load_b32 v25, v20
	s_waitcnt lgkmcnt(0)
	v_mov_b32_dpp v26, v25 row_shr:1 row_mask:0xf bank_mask:0xf
	s_delay_alu instid0(VALU_DEP_1) | instskip(NEXT) | instid1(VALU_DEP_1)
	v_cndmask_b32_e64 v26, v26, 0, s8
	v_add_nc_u32_e32 v25, v26, v25
	s_delay_alu instid0(VALU_DEP_1) | instskip(NEXT) | instid1(VALU_DEP_1)
	v_mov_b32_dpp v26, v25 row_shr:2 row_mask:0xf bank_mask:0xf
	v_cndmask_b32_e64 v26, 0, v26, s9
	s_delay_alu instid0(VALU_DEP_1)
	v_add_nc_u32_e32 v25, v25, v26
	ds_store_b32 v20, v25
.LBB201_8:                              ;   in Loop: Header=BB201_2 Depth=1
	s_or_b32 exec_lo, exec_lo, s11
	v_mov_b32_e32 v25, 0
	s_waitcnt lgkmcnt(0)
	s_barrier
	buffer_gl0_inv
	s_and_saveexec_b32 s11, s6
	s_cbranch_execz .LBB201_10
; %bb.9:                                ;   in Loop: Header=BB201_2 Depth=1
	ds_load_b32 v25, v17
.LBB201_10:                             ;   in Loop: Header=BB201_2 Depth=1
	s_or_b32 exec_lo, exec_lo, s11
	s_waitcnt lgkmcnt(0)
	v_add_nc_u32_e32 v3, v25, v3
	ds_bpermute_b32 v3, v16, v3
	s_waitcnt lgkmcnt(0)
	v_cndmask_b32_e32 v3, v3, v25, vcc_lo
	s_delay_alu instid0(VALU_DEP_1) | instskip(NEXT) | instid1(VALU_DEP_1)
	v_cndmask_b32_e64 v3, v3, 0, s7
	v_add_nc_u32_e32 v4, v3, v4
	s_delay_alu instid0(VALU_DEP_1) | instskip(NEXT) | instid1(VALU_DEP_1)
	v_add_nc_u32_e32 v5, v4, v5
	v_add_nc_u32_e32 v6, v5, v6
	s_delay_alu instid0(VALU_DEP_1) | instskip(NEXT) | instid1(VALU_DEP_1)
	v_add_nc_u32_e32 v25, v6, v7
	;; [unrolled: 3-line block ×3, first 2 shown]
	v_add_nc_u32_e32 v1, v0, v2
	ds_store_2addr_b64 v13, v[3:4], v[5:6] offset0:2 offset1:3
	ds_store_2addr_b64 v15, v[25:26], v[0:1] offset0:2 offset1:3
	s_waitcnt lgkmcnt(0)
	s_barrier
	buffer_gl0_inv
	ds_load_b32 v0, v24
	v_lshlrev_b32_e32 v1, 2, v23
	s_waitcnt lgkmcnt(0)
	s_barrier
	buffer_gl0_inv
	v_lshl_add_u32 v0, v0, 2, v1
	ds_store_b32 v0, v22
	s_waitcnt lgkmcnt(0)
	s_barrier
	buffer_gl0_inv
	ds_load_b32 v22, v18
	s_waitcnt lgkmcnt(0)
	s_barrier
	buffer_gl0_inv
	ds_store_b32 v0, v21
	s_waitcnt lgkmcnt(0)
	s_barrier
	buffer_gl0_inv
	v_bfe_u32 v1, v22, 8, 1
	v_lshrrev_b32_e32 v2, 8, v22
	s_delay_alu instid0(VALU_DEP_2) | instskip(NEXT) | instid1(VALU_DEP_1)
	v_add_co_u32 v1, s11, v1, -1
	v_cndmask_b32_e64 v3, 0, 1, s11
	s_delay_alu instid0(VALU_DEP_3)
	v_lshlrev_b32_e32 v4, 30, v2
	v_lshlrev_b32_e32 v5, 29, v2
	;; [unrolled: 1-line block ×4, first 2 shown]
	v_cmp_ne_u32_e64 s11, 0, v3
	v_not_b32_e32 v3, v4
	v_cmp_gt_i32_e64 s12, 0, v4
	v_not_b32_e32 v4, v5
	v_lshlrev_b32_e32 v23, 26, v2
	v_xor_b32_e32 v1, s11, v1
	v_ashrrev_i32_e32 v3, 31, v3
	v_cmp_gt_i32_e64 s11, 0, v5
	v_not_b32_e32 v5, v6
	v_ashrrev_i32_e32 v4, 31, v4
	v_and_b32_e32 v1, exec_lo, v1
	v_xor_b32_e32 v3, s12, v3
	v_cmp_gt_i32_e64 s12, 0, v6
	v_not_b32_e32 v6, v7
	v_ashrrev_i32_e32 v5, 31, v5
	v_xor_b32_e32 v4, s11, v4
	v_and_b32_e32 v1, v1, v3
	v_lshlrev_b32_e32 v24, 25, v2
	v_cmp_gt_i32_e64 s11, 0, v7
	v_not_b32_e32 v3, v23
	v_ashrrev_i32_e32 v6, 31, v6
	v_xor_b32_e32 v5, s12, v5
	v_and_b32_e32 v1, v1, v4
	v_lshlrev_b32_e32 v2, 24, v2
	v_cmp_gt_i32_e64 s12, 0, v23
	v_not_b32_e32 v4, v24
	v_ashrrev_i32_e32 v3, 31, v3
	v_xor_b32_e32 v6, s11, v6
	v_and_b32_e32 v1, v1, v5
	v_cmp_gt_i32_e64 s11, 0, v24
	v_not_b32_e32 v5, v2
	v_ashrrev_i32_e32 v4, 31, v4
	v_xor_b32_e32 v3, s12, v3
	v_and_b32_e32 v1, v1, v6
	v_cmp_gt_i32_e64 s12, 0, v2
	v_ashrrev_i32_e32 v2, 31, v5
	v_xor_b32_e32 v4, s11, v4
	ds_load_b32 v23, v18
	v_and_b32_e32 v1, v1, v3
	s_waitcnt lgkmcnt(0)
	v_xor_b32_e32 v0, s12, v2
	v_lshrrev_b32_e32 v2, 6, v22
	s_barrier
	v_and_b32_e32 v1, v1, v4
	buffer_gl0_inv
	ds_store_2addr_b64 v13, v[11:12], v[9:10] offset0:2 offset1:3
	ds_store_2addr_b64 v15, v[11:12], v[9:10] offset0:2 offset1:3
	s_waitcnt lgkmcnt(0)
	s_barrier
	v_and_b32_e32 v0, v1, v0
	v_and_b32_e32 v1, 0x3fc, v2
	buffer_gl0_inv
	; wave barrier
	v_mbcnt_lo_u32_b32 v21, v0, 0
	v_add_nc_u32_e32 v1, v1, v19
	v_cmp_ne_u32_e64 s12, 0, v0
	s_delay_alu instid0(VALU_DEP_3) | instskip(NEXT) | instid1(VALU_DEP_3)
	v_cmp_eq_u32_e64 s11, 0, v21
	v_lshl_add_u32 v24, v1, 2, 16
	s_delay_alu instid0(VALU_DEP_2) | instskip(NEXT) | instid1(SALU_CYCLE_1)
	s_and_b32 s12, s12, s11
	s_and_saveexec_b32 s11, s12
	s_cbranch_execz .LBB201_12
; %bb.11:                               ;   in Loop: Header=BB201_2 Depth=1
	v_bcnt_u32_b32 v0, v0, 0
	ds_store_b32 v24, v0
.LBB201_12:                             ;   in Loop: Header=BB201_2 Depth=1
	s_or_b32 exec_lo, exec_lo, s11
	; wave barrier
	s_waitcnt lgkmcnt(0)
	s_barrier
	buffer_gl0_inv
	ds_load_2addr_b64 v[4:7], v13 offset0:2 offset1:3
	ds_load_2addr_b64 v[0:3], v15 offset0:2 offset1:3
	s_waitcnt lgkmcnt(1)
	v_add_nc_u32_e32 v25, v5, v4
	s_delay_alu instid0(VALU_DEP_1) | instskip(SKIP_1) | instid1(VALU_DEP_1)
	v_add3_u32 v25, v25, v6, v7
	s_waitcnt lgkmcnt(0)
	v_add3_u32 v25, v25, v0, v1
	s_delay_alu instid0(VALU_DEP_1) | instskip(NEXT) | instid1(VALU_DEP_1)
	v_add3_u32 v3, v25, v2, v3
	v_mov_b32_dpp v25, v3 row_shr:1 row_mask:0xf bank_mask:0xf
	s_delay_alu instid0(VALU_DEP_1) | instskip(NEXT) | instid1(VALU_DEP_1)
	v_cndmask_b32_e64 v25, v25, 0, s0
	v_add_nc_u32_e32 v3, v25, v3
	s_delay_alu instid0(VALU_DEP_1) | instskip(NEXT) | instid1(VALU_DEP_1)
	v_mov_b32_dpp v25, v3 row_shr:2 row_mask:0xf bank_mask:0xf
	v_cndmask_b32_e64 v25, 0, v25, s1
	s_delay_alu instid0(VALU_DEP_1) | instskip(NEXT) | instid1(VALU_DEP_1)
	v_add_nc_u32_e32 v3, v3, v25
	v_mov_b32_dpp v25, v3 row_shr:4 row_mask:0xf bank_mask:0xf
	s_delay_alu instid0(VALU_DEP_1) | instskip(NEXT) | instid1(VALU_DEP_1)
	v_cndmask_b32_e64 v25, 0, v25, s2
	v_add_nc_u32_e32 v3, v3, v25
	s_delay_alu instid0(VALU_DEP_1) | instskip(NEXT) | instid1(VALU_DEP_1)
	v_mov_b32_dpp v25, v3 row_shr:8 row_mask:0xf bank_mask:0xf
	v_cndmask_b32_e64 v25, 0, v25, s3
	s_delay_alu instid0(VALU_DEP_1) | instskip(SKIP_3) | instid1(VALU_DEP_1)
	v_add_nc_u32_e32 v3, v3, v25
	ds_swizzle_b32 v25, v3 offset:swizzle(BROADCAST,32,15)
	s_waitcnt lgkmcnt(0)
	v_cndmask_b32_e64 v25, v25, 0, s4
	v_add_nc_u32_e32 v3, v3, v25
	s_and_saveexec_b32 s11, s10
	s_cbranch_execz .LBB201_14
; %bb.13:                               ;   in Loop: Header=BB201_2 Depth=1
	ds_store_b32 v14, v3
.LBB201_14:                             ;   in Loop: Header=BB201_2 Depth=1
	s_or_b32 exec_lo, exec_lo, s11
	s_waitcnt lgkmcnt(0)
	s_barrier
	buffer_gl0_inv
	s_and_saveexec_b32 s11, s5
	s_cbranch_execz .LBB201_16
; %bb.15:                               ;   in Loop: Header=BB201_2 Depth=1
	ds_load_b32 v25, v20
	s_waitcnt lgkmcnt(0)
	v_mov_b32_dpp v26, v25 row_shr:1 row_mask:0xf bank_mask:0xf
	s_delay_alu instid0(VALU_DEP_1) | instskip(NEXT) | instid1(VALU_DEP_1)
	v_cndmask_b32_e64 v26, v26, 0, s8
	v_add_nc_u32_e32 v25, v26, v25
	s_delay_alu instid0(VALU_DEP_1) | instskip(NEXT) | instid1(VALU_DEP_1)
	v_mov_b32_dpp v26, v25 row_shr:2 row_mask:0xf bank_mask:0xf
	v_cndmask_b32_e64 v26, 0, v26, s9
	s_delay_alu instid0(VALU_DEP_1)
	v_add_nc_u32_e32 v25, v25, v26
	ds_store_b32 v20, v25
.LBB201_16:                             ;   in Loop: Header=BB201_2 Depth=1
	s_or_b32 exec_lo, exec_lo, s11
	v_mov_b32_e32 v25, 0
	s_waitcnt lgkmcnt(0)
	s_barrier
	buffer_gl0_inv
	s_and_saveexec_b32 s11, s6
	s_cbranch_execz .LBB201_18
; %bb.17:                               ;   in Loop: Header=BB201_2 Depth=1
	ds_load_b32 v25, v17
.LBB201_18:                             ;   in Loop: Header=BB201_2 Depth=1
	s_or_b32 exec_lo, exec_lo, s11
	s_waitcnt lgkmcnt(0)
	v_add_nc_u32_e32 v3, v25, v3
	ds_bpermute_b32 v3, v16, v3
	s_waitcnt lgkmcnt(0)
	v_cndmask_b32_e32 v3, v3, v25, vcc_lo
	s_delay_alu instid0(VALU_DEP_1) | instskip(NEXT) | instid1(VALU_DEP_1)
	v_cndmask_b32_e64 v3, v3, 0, s7
	v_add_nc_u32_e32 v4, v3, v4
	s_delay_alu instid0(VALU_DEP_1) | instskip(NEXT) | instid1(VALU_DEP_1)
	v_add_nc_u32_e32 v5, v4, v5
	v_add_nc_u32_e32 v6, v5, v6
	s_delay_alu instid0(VALU_DEP_1) | instskip(NEXT) | instid1(VALU_DEP_1)
	v_add_nc_u32_e32 v25, v6, v7
	;; [unrolled: 3-line block ×3, first 2 shown]
	v_add_nc_u32_e32 v1, v0, v2
	ds_store_2addr_b64 v13, v[3:4], v[5:6] offset0:2 offset1:3
	ds_store_2addr_b64 v15, v[25:26], v[0:1] offset0:2 offset1:3
	s_waitcnt lgkmcnt(0)
	s_barrier
	buffer_gl0_inv
	ds_load_b32 v0, v24
	v_lshlrev_b32_e32 v1, 2, v21
	s_waitcnt lgkmcnt(0)
	s_barrier
	buffer_gl0_inv
	v_lshl_add_u32 v0, v0, 2, v1
	v_dual_mov_b32 v1, s20 :: v_dual_mov_b32 v2, s21
	ds_store_b32 v0, v22
	s_waitcnt lgkmcnt(0)
	s_barrier
	buffer_gl0_inv
	ds_load_b32 v21, v18
	s_waitcnt lgkmcnt(0)
	s_barrier
	buffer_gl0_inv
	ds_store_b32 v0, v23
	s_waitcnt lgkmcnt(0)
	s_barrier
	buffer_gl0_inv
	v_bfe_u32 v3, v21, 16, 1
	v_lshrrev_b32_e32 v4, 16, v21
	s_delay_alu instid0(VALU_DEP_2) | instskip(NEXT) | instid1(VALU_DEP_1)
	v_add_co_u32 v3, s11, v3, -1
	v_cndmask_b32_e64 v5, 0, 1, s11
	s_delay_alu instid0(VALU_DEP_3)
	v_lshlrev_b32_e32 v6, 30, v4
	v_lshlrev_b32_e32 v7, 29, v4
	;; [unrolled: 1-line block ×4, first 2 shown]
	v_cmp_ne_u32_e64 s11, 0, v5
	v_not_b32_e32 v5, v6
	v_cmp_gt_i32_e64 s12, 0, v6
	v_not_b32_e32 v6, v7
	v_lshlrev_b32_e32 v25, 26, v4
	v_xor_b32_e32 v3, s11, v3
	v_ashrrev_i32_e32 v5, 31, v5
	v_cmp_gt_i32_e64 s11, 0, v7
	v_not_b32_e32 v7, v22
	v_ashrrev_i32_e32 v6, 31, v6
	v_and_b32_e32 v3, exec_lo, v3
	v_xor_b32_e32 v5, s12, v5
	v_cmp_gt_i32_e64 s12, 0, v22
	v_not_b32_e32 v22, v24
	v_ashrrev_i32_e32 v7, 31, v7
	v_xor_b32_e32 v6, s11, v6
	v_and_b32_e32 v3, v3, v5
	v_lshlrev_b32_e32 v26, 25, v4
	v_cmp_gt_i32_e64 s11, 0, v24
	v_not_b32_e32 v5, v25
	v_ashrrev_i32_e32 v22, 31, v22
	v_xor_b32_e32 v7, s12, v7
	v_and_b32_e32 v3, v3, v6
	v_lshlrev_b32_e32 v4, 24, v4
	v_cmp_gt_i32_e64 s12, 0, v25
	v_not_b32_e32 v6, v26
	v_ashrrev_i32_e32 v5, 31, v5
	v_xor_b32_e32 v22, s11, v22
	v_and_b32_e32 v3, v3, v7
	v_cmp_gt_i32_e64 s11, 0, v26
	v_not_b32_e32 v7, v4
	v_ashrrev_i32_e32 v6, 31, v6
	v_xor_b32_e32 v5, s12, v5
	v_and_b32_e32 v3, v3, v22
	v_cmp_gt_i32_e64 s12, 0, v4
	v_ashrrev_i32_e32 v4, 31, v7
	v_xor_b32_e32 v6, s11, v6
	ds_load_b32 v22, v18
	v_and_b32_e32 v3, v3, v5
	s_waitcnt lgkmcnt(0)
	v_xor_b32_e32 v0, s12, v4
	s_barrier
	buffer_gl0_inv
	v_and_b32_e32 v5, v3, v6
	v_mov_b32_e32 v3, s16
	v_lshrrev_b32_e32 v6, 14, v21
	v_mov_b32_e32 v4, s17
	ds_store_2addr_b64 v13, v[1:2], v[3:4] offset0:2 offset1:3
	ds_store_2addr_b64 v15, v[1:2], v[3:4] offset0:2 offset1:3
	v_and_b32_e32 v0, v5, v0
	v_and_b32_e32 v5, 0x3fc, v6
	s_waitcnt lgkmcnt(0)
	s_barrier
	buffer_gl0_inv
	v_mbcnt_lo_u32_b32 v23, v0, 0
	v_add_nc_u32_e32 v1, v5, v19
	v_cmp_ne_u32_e64 s12, 0, v0
	; wave barrier
	s_delay_alu instid0(VALU_DEP_3) | instskip(NEXT) | instid1(VALU_DEP_3)
	v_cmp_eq_u32_e64 s11, 0, v23
	v_lshl_add_u32 v24, v1, 2, 16
	s_delay_alu instid0(VALU_DEP_2) | instskip(NEXT) | instid1(SALU_CYCLE_1)
	s_and_b32 s12, s12, s11
	s_and_saveexec_b32 s11, s12
	s_cbranch_execz .LBB201_20
; %bb.19:                               ;   in Loop: Header=BB201_2 Depth=1
	v_bcnt_u32_b32 v0, v0, 0
	ds_store_b32 v24, v0
.LBB201_20:                             ;   in Loop: Header=BB201_2 Depth=1
	s_or_b32 exec_lo, exec_lo, s11
	; wave barrier
	s_waitcnt lgkmcnt(0)
	s_barrier
	buffer_gl0_inv
	ds_load_2addr_b64 v[4:7], v13 offset0:2 offset1:3
	ds_load_2addr_b64 v[0:3], v15 offset0:2 offset1:3
	s_waitcnt lgkmcnt(1)
	v_add_nc_u32_e32 v25, v5, v4
	s_delay_alu instid0(VALU_DEP_1) | instskip(SKIP_1) | instid1(VALU_DEP_1)
	v_add3_u32 v25, v25, v6, v7
	s_waitcnt lgkmcnt(0)
	v_add3_u32 v25, v25, v0, v1
	s_delay_alu instid0(VALU_DEP_1) | instskip(NEXT) | instid1(VALU_DEP_1)
	v_add3_u32 v3, v25, v2, v3
	v_mov_b32_dpp v25, v3 row_shr:1 row_mask:0xf bank_mask:0xf
	s_delay_alu instid0(VALU_DEP_1) | instskip(NEXT) | instid1(VALU_DEP_1)
	v_cndmask_b32_e64 v25, v25, 0, s0
	v_add_nc_u32_e32 v3, v25, v3
	s_delay_alu instid0(VALU_DEP_1) | instskip(NEXT) | instid1(VALU_DEP_1)
	v_mov_b32_dpp v25, v3 row_shr:2 row_mask:0xf bank_mask:0xf
	v_cndmask_b32_e64 v25, 0, v25, s1
	s_delay_alu instid0(VALU_DEP_1) | instskip(NEXT) | instid1(VALU_DEP_1)
	v_add_nc_u32_e32 v3, v3, v25
	v_mov_b32_dpp v25, v3 row_shr:4 row_mask:0xf bank_mask:0xf
	s_delay_alu instid0(VALU_DEP_1) | instskip(NEXT) | instid1(VALU_DEP_1)
	v_cndmask_b32_e64 v25, 0, v25, s2
	v_add_nc_u32_e32 v3, v3, v25
	s_delay_alu instid0(VALU_DEP_1) | instskip(NEXT) | instid1(VALU_DEP_1)
	v_mov_b32_dpp v25, v3 row_shr:8 row_mask:0xf bank_mask:0xf
	v_cndmask_b32_e64 v25, 0, v25, s3
	s_delay_alu instid0(VALU_DEP_1) | instskip(SKIP_3) | instid1(VALU_DEP_1)
	v_add_nc_u32_e32 v3, v3, v25
	ds_swizzle_b32 v25, v3 offset:swizzle(BROADCAST,32,15)
	s_waitcnt lgkmcnt(0)
	v_cndmask_b32_e64 v25, v25, 0, s4
	v_add_nc_u32_e32 v3, v3, v25
	s_and_saveexec_b32 s11, s10
	s_cbranch_execz .LBB201_22
; %bb.21:                               ;   in Loop: Header=BB201_2 Depth=1
	ds_store_b32 v14, v3
.LBB201_22:                             ;   in Loop: Header=BB201_2 Depth=1
	s_or_b32 exec_lo, exec_lo, s11
	s_waitcnt lgkmcnt(0)
	s_barrier
	buffer_gl0_inv
	s_and_saveexec_b32 s11, s5
	s_cbranch_execz .LBB201_24
; %bb.23:                               ;   in Loop: Header=BB201_2 Depth=1
	ds_load_b32 v25, v20
	s_waitcnt lgkmcnt(0)
	v_mov_b32_dpp v26, v25 row_shr:1 row_mask:0xf bank_mask:0xf
	s_delay_alu instid0(VALU_DEP_1) | instskip(NEXT) | instid1(VALU_DEP_1)
	v_cndmask_b32_e64 v26, v26, 0, s8
	v_add_nc_u32_e32 v25, v26, v25
	s_delay_alu instid0(VALU_DEP_1) | instskip(NEXT) | instid1(VALU_DEP_1)
	v_mov_b32_dpp v26, v25 row_shr:2 row_mask:0xf bank_mask:0xf
	v_cndmask_b32_e64 v26, 0, v26, s9
	s_delay_alu instid0(VALU_DEP_1)
	v_add_nc_u32_e32 v25, v25, v26
	ds_store_b32 v20, v25
.LBB201_24:                             ;   in Loop: Header=BB201_2 Depth=1
	s_or_b32 exec_lo, exec_lo, s11
	v_mov_b32_e32 v25, 0
	s_waitcnt lgkmcnt(0)
	s_barrier
	buffer_gl0_inv
	s_and_saveexec_b32 s11, s6
	s_cbranch_execz .LBB201_26
; %bb.25:                               ;   in Loop: Header=BB201_2 Depth=1
	ds_load_b32 v25, v17
.LBB201_26:                             ;   in Loop: Header=BB201_2 Depth=1
	s_or_b32 exec_lo, exec_lo, s11
	s_waitcnt lgkmcnt(0)
	v_add_nc_u32_e32 v3, v25, v3
	ds_bpermute_b32 v3, v16, v3
	s_waitcnt lgkmcnt(0)
	v_cndmask_b32_e32 v3, v3, v25, vcc_lo
	s_delay_alu instid0(VALU_DEP_1) | instskip(NEXT) | instid1(VALU_DEP_1)
	v_cndmask_b32_e64 v3, v3, 0, s7
	v_add_nc_u32_e32 v4, v3, v4
	s_delay_alu instid0(VALU_DEP_1) | instskip(NEXT) | instid1(VALU_DEP_1)
	v_add_nc_u32_e32 v5, v4, v5
	v_add_nc_u32_e32 v6, v5, v6
	s_delay_alu instid0(VALU_DEP_1) | instskip(NEXT) | instid1(VALU_DEP_1)
	v_add_nc_u32_e32 v25, v6, v7
	;; [unrolled: 3-line block ×3, first 2 shown]
	v_add_nc_u32_e32 v1, v0, v2
	ds_store_2addr_b64 v13, v[3:4], v[5:6] offset0:2 offset1:3
	ds_store_2addr_b64 v15, v[25:26], v[0:1] offset0:2 offset1:3
	s_waitcnt lgkmcnt(0)
	s_barrier
	buffer_gl0_inv
	ds_load_b32 v0, v24
	v_lshlrev_b32_e32 v1, 2, v23
	s_waitcnt lgkmcnt(0)
	s_barrier
	buffer_gl0_inv
	v_lshl_add_u32 v0, v0, 2, v1
	ds_store_b32 v0, v21
	s_waitcnt lgkmcnt(0)
	s_barrier
	buffer_gl0_inv
	ds_load_b32 v21, v18
	s_waitcnt lgkmcnt(0)
	s_barrier
	buffer_gl0_inv
	ds_store_b32 v0, v22
	s_waitcnt lgkmcnt(0)
	s_barrier
	buffer_gl0_inv
	v_bfe_u32 v1, v21, 24, 1
	v_lshrrev_b32_e32 v5, 24, v21
	s_delay_alu instid0(VALU_DEP_2) | instskip(NEXT) | instid1(VALU_DEP_1)
	v_add_co_u32 v1, s11, v1, -1
	v_cndmask_b32_e64 v2, 0, 1, s11
	s_delay_alu instid0(VALU_DEP_3)
	v_lshlrev_b32_e32 v3, 30, v5
	v_lshlrev_b32_e32 v4, 29, v5
	;; [unrolled: 1-line block ×4, first 2 shown]
	v_cmp_ne_u32_e64 s11, 0, v2
	v_not_b32_e32 v2, v3
	v_cmp_gt_i32_e64 s12, 0, v3
	v_not_b32_e32 v3, v4
	v_lshlrev_b32_e32 v23, 26, v5
	v_xor_b32_e32 v1, s11, v1
	v_ashrrev_i32_e32 v2, 31, v2
	v_cmp_gt_i32_e64 s11, 0, v4
	v_not_b32_e32 v4, v6
	v_ashrrev_i32_e32 v3, 31, v3
	v_and_b32_e32 v1, exec_lo, v1
	v_xor_b32_e32 v2, s12, v2
	v_cmp_gt_i32_e64 s12, 0, v6
	v_not_b32_e32 v6, v7
	v_ashrrev_i32_e32 v4, 31, v4
	v_xor_b32_e32 v3, s11, v3
	v_and_b32_e32 v1, v1, v2
	v_lshlrev_b32_e32 v24, 25, v5
	v_cmp_gt_i32_e64 s11, 0, v7
	v_not_b32_e32 v2, v23
	v_ashrrev_i32_e32 v6, 31, v6
	v_xor_b32_e32 v4, s12, v4
	v_and_b32_e32 v1, v1, v3
	v_cmp_gt_i32_e64 s12, 0, v23
	v_not_b32_e32 v3, v24
	v_ashrrev_i32_e32 v2, 31, v2
	v_xor_b32_e32 v6, s11, v6
	v_and_b32_e32 v1, v1, v4
	v_not_b32_e32 v4, v21
	v_cmp_gt_i32_e64 s11, 0, v24
	v_ashrrev_i32_e32 v3, 31, v3
	v_xor_b32_e32 v2, s12, v2
	v_and_b32_e32 v1, v1, v6
	v_cmp_gt_i32_e64 s12, 0, v21
	v_ashrrev_i32_e32 v4, 31, v4
	v_xor_b32_e32 v3, s11, v3
	ds_load_b32 v23, v18
	v_and_b32_e32 v1, v1, v2
	s_waitcnt lgkmcnt(0)
	v_xor_b32_e32 v0, s12, v4
	s_barrier
	buffer_gl0_inv
	v_and_b32_e32 v3, v1, v3
	v_dual_mov_b32 v1, s20 :: v_dual_mov_b32 v2, s21
	s_delay_alu instid0(VALU_DEP_2)
	v_dual_mov_b32 v3, s16 :: v_dual_and_b32 v0, v3, v0
	v_mov_b32_e32 v4, s17
	ds_store_2addr_b64 v13, v[1:2], v[3:4] offset0:2 offset1:3
	ds_store_2addr_b64 v15, v[1:2], v[3:4] offset0:2 offset1:3
	v_mbcnt_lo_u32_b32 v22, v0, 0
	v_lshl_add_u32 v1, v5, 2, v19
	v_cmp_ne_u32_e64 s12, 0, v0
	s_waitcnt lgkmcnt(0)
	s_barrier
	v_cmp_eq_u32_e64 s11, 0, v22
	v_lshl_add_u32 v24, v1, 2, 16
	buffer_gl0_inv
	; wave barrier
	s_and_b32 s12, s12, s11
	s_delay_alu instid0(SALU_CYCLE_1)
	s_and_saveexec_b32 s11, s12
	s_cbranch_execz .LBB201_28
; %bb.27:                               ;   in Loop: Header=BB201_2 Depth=1
	v_bcnt_u32_b32 v0, v0, 0
	ds_store_b32 v24, v0
.LBB201_28:                             ;   in Loop: Header=BB201_2 Depth=1
	s_or_b32 exec_lo, exec_lo, s11
	; wave barrier
	s_waitcnt lgkmcnt(0)
	s_barrier
	buffer_gl0_inv
	ds_load_2addr_b64 v[4:7], v13 offset0:2 offset1:3
	ds_load_2addr_b64 v[0:3], v15 offset0:2 offset1:3
	s_waitcnt lgkmcnt(1)
	v_add_nc_u32_e32 v25, v5, v4
	s_delay_alu instid0(VALU_DEP_1) | instskip(SKIP_1) | instid1(VALU_DEP_1)
	v_add3_u32 v25, v25, v6, v7
	s_waitcnt lgkmcnt(0)
	v_add3_u32 v25, v25, v0, v1
	s_delay_alu instid0(VALU_DEP_1) | instskip(NEXT) | instid1(VALU_DEP_1)
	v_add3_u32 v3, v25, v2, v3
	v_mov_b32_dpp v25, v3 row_shr:1 row_mask:0xf bank_mask:0xf
	s_delay_alu instid0(VALU_DEP_1) | instskip(NEXT) | instid1(VALU_DEP_1)
	v_cndmask_b32_e64 v25, v25, 0, s0
	v_add_nc_u32_e32 v3, v25, v3
	s_delay_alu instid0(VALU_DEP_1) | instskip(NEXT) | instid1(VALU_DEP_1)
	v_mov_b32_dpp v25, v3 row_shr:2 row_mask:0xf bank_mask:0xf
	v_cndmask_b32_e64 v25, 0, v25, s1
	s_delay_alu instid0(VALU_DEP_1) | instskip(NEXT) | instid1(VALU_DEP_1)
	v_add_nc_u32_e32 v3, v3, v25
	v_mov_b32_dpp v25, v3 row_shr:4 row_mask:0xf bank_mask:0xf
	s_delay_alu instid0(VALU_DEP_1) | instskip(NEXT) | instid1(VALU_DEP_1)
	v_cndmask_b32_e64 v25, 0, v25, s2
	v_add_nc_u32_e32 v3, v3, v25
	s_delay_alu instid0(VALU_DEP_1) | instskip(NEXT) | instid1(VALU_DEP_1)
	v_mov_b32_dpp v25, v3 row_shr:8 row_mask:0xf bank_mask:0xf
	v_cndmask_b32_e64 v25, 0, v25, s3
	s_delay_alu instid0(VALU_DEP_1) | instskip(SKIP_3) | instid1(VALU_DEP_1)
	v_add_nc_u32_e32 v3, v3, v25
	ds_swizzle_b32 v25, v3 offset:swizzle(BROADCAST,32,15)
	s_waitcnt lgkmcnt(0)
	v_cndmask_b32_e64 v25, v25, 0, s4
	v_add_nc_u32_e32 v3, v3, v25
	s_and_saveexec_b32 s11, s10
	s_cbranch_execz .LBB201_30
; %bb.29:                               ;   in Loop: Header=BB201_2 Depth=1
	ds_store_b32 v14, v3
.LBB201_30:                             ;   in Loop: Header=BB201_2 Depth=1
	s_or_b32 exec_lo, exec_lo, s11
	s_waitcnt lgkmcnt(0)
	s_barrier
	buffer_gl0_inv
	s_and_saveexec_b32 s11, s5
	s_cbranch_execz .LBB201_32
; %bb.31:                               ;   in Loop: Header=BB201_2 Depth=1
	ds_load_b32 v25, v20
	s_waitcnt lgkmcnt(0)
	v_mov_b32_dpp v26, v25 row_shr:1 row_mask:0xf bank_mask:0xf
	s_delay_alu instid0(VALU_DEP_1) | instskip(NEXT) | instid1(VALU_DEP_1)
	v_cndmask_b32_e64 v26, v26, 0, s8
	v_add_nc_u32_e32 v25, v26, v25
	s_delay_alu instid0(VALU_DEP_1) | instskip(NEXT) | instid1(VALU_DEP_1)
	v_mov_b32_dpp v26, v25 row_shr:2 row_mask:0xf bank_mask:0xf
	v_cndmask_b32_e64 v26, 0, v26, s9
	s_delay_alu instid0(VALU_DEP_1)
	v_add_nc_u32_e32 v25, v25, v26
	ds_store_b32 v20, v25
.LBB201_32:                             ;   in Loop: Header=BB201_2 Depth=1
	s_or_b32 exec_lo, exec_lo, s11
	v_mov_b32_e32 v25, 0
	s_waitcnt lgkmcnt(0)
	s_barrier
	buffer_gl0_inv
	s_and_saveexec_b32 s11, s6
	s_cbranch_execz .LBB201_1
; %bb.33:                               ;   in Loop: Header=BB201_2 Depth=1
	ds_load_b32 v25, v17
	s_branch .LBB201_1
.LBB201_34:
	s_waitcnt lgkmcnt(0)
	v_add3_u32 v0, v21, v22, 0x80000000
	v_lshlrev_b32_e32 v1, 2, v8
	s_add_u32 s0, s18, s14
	s_addc_u32 s1, s19, s15
	global_store_b32 v1, v0, s[0:1]
	s_nop 0
	s_sendmsg sendmsg(MSG_DEALLOC_VGPRS)
	s_endpgm
	.section	.rodata,"a",@progbits
	.p2align	6, 0x0
	.amdhsa_kernel _Z17sort_pairs_kernelI22helper_blocked_stripediLj128ELj1ELj10EEvPKT0_PS1_
		.amdhsa_group_segment_fixed_size 4112
		.amdhsa_private_segment_fixed_size 0
		.amdhsa_kernarg_size 272
		.amdhsa_user_sgpr_count 15
		.amdhsa_user_sgpr_dispatch_ptr 0
		.amdhsa_user_sgpr_queue_ptr 0
		.amdhsa_user_sgpr_kernarg_segment_ptr 1
		.amdhsa_user_sgpr_dispatch_id 0
		.amdhsa_user_sgpr_private_segment_size 0
		.amdhsa_wavefront_size32 1
		.amdhsa_uses_dynamic_stack 0
		.amdhsa_enable_private_segment 0
		.amdhsa_system_sgpr_workgroup_id_x 1
		.amdhsa_system_sgpr_workgroup_id_y 0
		.amdhsa_system_sgpr_workgroup_id_z 0
		.amdhsa_system_sgpr_workgroup_info 0
		.amdhsa_system_vgpr_workitem_id 2
		.amdhsa_next_free_vgpr 27
		.amdhsa_next_free_sgpr 23
		.amdhsa_reserve_vcc 1
		.amdhsa_float_round_mode_32 0
		.amdhsa_float_round_mode_16_64 0
		.amdhsa_float_denorm_mode_32 3
		.amdhsa_float_denorm_mode_16_64 3
		.amdhsa_dx10_clamp 1
		.amdhsa_ieee_mode 1
		.amdhsa_fp16_overflow 0
		.amdhsa_workgroup_processor_mode 1
		.amdhsa_memory_ordered 1
		.amdhsa_forward_progress 0
		.amdhsa_shared_vgpr_count 0
		.amdhsa_exception_fp_ieee_invalid_op 0
		.amdhsa_exception_fp_denorm_src 0
		.amdhsa_exception_fp_ieee_div_zero 0
		.amdhsa_exception_fp_ieee_overflow 0
		.amdhsa_exception_fp_ieee_underflow 0
		.amdhsa_exception_fp_ieee_inexact 0
		.amdhsa_exception_int_div_zero 0
	.end_amdhsa_kernel
	.section	.text._Z17sort_pairs_kernelI22helper_blocked_stripediLj128ELj1ELj10EEvPKT0_PS1_,"axG",@progbits,_Z17sort_pairs_kernelI22helper_blocked_stripediLj128ELj1ELj10EEvPKT0_PS1_,comdat
.Lfunc_end201:
	.size	_Z17sort_pairs_kernelI22helper_blocked_stripediLj128ELj1ELj10EEvPKT0_PS1_, .Lfunc_end201-_Z17sort_pairs_kernelI22helper_blocked_stripediLj128ELj1ELj10EEvPKT0_PS1_
                                        ; -- End function
	.section	.AMDGPU.csdata,"",@progbits
; Kernel info:
; codeLenInByte = 4324
; NumSgprs: 25
; NumVgprs: 27
; ScratchSize: 0
; MemoryBound: 0
; FloatMode: 240
; IeeeMode: 1
; LDSByteSize: 4112 bytes/workgroup (compile time only)
; SGPRBlocks: 3
; VGPRBlocks: 3
; NumSGPRsForWavesPerEU: 25
; NumVGPRsForWavesPerEU: 27
; Occupancy: 16
; WaveLimiterHint : 0
; COMPUTE_PGM_RSRC2:SCRATCH_EN: 0
; COMPUTE_PGM_RSRC2:USER_SGPR: 15
; COMPUTE_PGM_RSRC2:TRAP_HANDLER: 0
; COMPUTE_PGM_RSRC2:TGID_X_EN: 1
; COMPUTE_PGM_RSRC2:TGID_Y_EN: 0
; COMPUTE_PGM_RSRC2:TGID_Z_EN: 0
; COMPUTE_PGM_RSRC2:TIDIG_COMP_CNT: 2
	.section	.text._Z16sort_keys_kernelI22helper_blocked_stripediLj128ELj3ELj10EEvPKT0_PS1_,"axG",@progbits,_Z16sort_keys_kernelI22helper_blocked_stripediLj128ELj3ELj10EEvPKT0_PS1_,comdat
	.protected	_Z16sort_keys_kernelI22helper_blocked_stripediLj128ELj3ELj10EEvPKT0_PS1_ ; -- Begin function _Z16sort_keys_kernelI22helper_blocked_stripediLj128ELj3ELj10EEvPKT0_PS1_
	.globl	_Z16sort_keys_kernelI22helper_blocked_stripediLj128ELj3ELj10EEvPKT0_PS1_
	.p2align	8
	.type	_Z16sort_keys_kernelI22helper_blocked_stripediLj128ELj3ELj10EEvPKT0_PS1_,@function
_Z16sort_keys_kernelI22helper_blocked_stripediLj128ELj3ELj10EEvPKT0_PS1_: ; @_Z16sort_keys_kernelI22helper_blocked_stripediLj128ELj3ELj10EEvPKT0_PS1_
; %bb.0:
	s_clause 0x1
	s_load_b128 s[16:19], s[0:1], 0x0
	s_load_b32 s2, s[0:1], 0x1c
	s_mul_i32 s12, s15, 0x180
	s_mov_b32 s13, 0
	v_bfe_u32 v4, v0, 10, 10
	s_lshl_b64 s[14:15], s[12:13], 2
	s_mov_b32 s12, s13
	v_and_b32_e32 v8, 0x3ff, v0
	v_bfe_u32 v0, v0, 20, 10
	v_mbcnt_lo_u32_b32 v9, -1, 0
	s_delay_alu instid0(VALU_DEP_3) | instskip(SKIP_1) | instid1(VALU_DEP_3)
	v_mul_u32_u24_e32 v1, 3, v8
	v_lshrrev_b32_e32 v6, 5, v8
	v_cmp_eq_u32_e64 s8, 0, v9
	s_delay_alu instid0(VALU_DEP_3) | instskip(NEXT) | instid1(VALU_DEP_3)
	v_lshlrev_b32_e32 v1, 2, v1
	v_mul_u32_u24_e32 v7, 0x60, v6
	v_lshlrev_b32_e32 v19, 2, v6
	s_waitcnt lgkmcnt(0)
	s_add_u32 s0, s16, s14
	s_addc_u32 s1, s17, s15
	s_mov_b32 s16, s13
	global_load_b96 v[1:3], v1, s[0:1]
	s_lshr_b32 s0, s2, 16
	s_mov_b32 s17, s13
	v_mad_u32_u24 v0, v0, s0, v4
	s_and_b32 s0, s2, 0xffff
	v_dual_mov_b32 v11, s16 :: v_dual_lshlrev_b32 v10, 2, v7
	v_add_nc_u32_e32 v20, -4, v19
	s_delay_alu instid0(VALU_DEP_3)
	v_mad_u64_u32 v[4:5], null, v0, s0, v[8:9]
	v_or_b32_e32 v0, v9, v7
	v_and_b32_e32 v5, 15, v9
	v_mad_u32_u24 v14, v9, 12, v10
	v_dual_mov_b32 v12, s17 :: v_dual_and_b32 v7, 16, v9
	v_lshrrev_b32_e32 v17, 5, v4
	v_add_nc_u32_e32 v4, -1, v9
	v_cmp_eq_u32_e64 s0, 0, v5
	v_cmp_lt_u32_e64 s1, 1, v5
	v_cmp_lt_u32_e64 s2, 3, v5
	v_cmp_lt_u32_e64 s3, 7, v5
	v_cmp_gt_i32_e32 vcc_lo, 0, v4
	v_lshlrev_b32_e32 v15, 2, v0
	v_and_b32_e32 v0, 0x60, v8
	v_cmp_eq_u32_e64 s4, 0, v7
	v_cndmask_b32_e32 v4, v4, v9, vcc_lo
	s_delay_alu instid0(VALU_DEP_3) | instskip(SKIP_1) | instid1(VALU_DEP_3)
	v_or_b32_e32 v10, 31, v0
	v_mul_u32_u24_e32 v0, 3, v0
	v_lshlrev_b32_e32 v18, 2, v4
	v_and_b32_e32 v4, 3, v9
	s_delay_alu instid0(VALU_DEP_4) | instskip(NEXT) | instid1(VALU_DEP_4)
	v_cmp_eq_u32_e64 s5, v10, v8
	v_or_b32_e32 v0, v9, v0
	v_mov_b32_e32 v9, s12
	v_lshlrev_b32_e32 v13, 5, v8
	v_mul_i32_i24_e32 v5, 0xffffffe4, v8
	v_cmp_gt_u32_e64 s6, 4, v8
	v_cmp_lt_u32_e64 s7, 31, v8
	v_cmp_eq_u32_e64 s9, 0, v8
	v_or_b32_e32 v16, 16, v13
	v_cmp_eq_u32_e64 s10, 0, v4
	v_cmp_lt_u32_e64 s11, 1, v4
	v_dual_mov_b32 v10, s13 :: v_dual_lshlrev_b32 v21, 2, v0
	v_add_nc_u32_e32 v22, v13, v5
	s_branch .LBB202_2
.LBB202_1:                              ;   in Loop: Header=BB202_2 Depth=1
	v_lshlrev_b32_e32 v0, 2, v5
	v_lshlrev_b32_e32 v1, 2, v4
	;; [unrolled: 1-line block ×3, first 2 shown]
	s_barrier
	buffer_gl0_inv
	ds_store_b32 v0, v23
	ds_store_b32 v1, v25
	;; [unrolled: 1-line block ×3, first 2 shown]
	s_waitcnt lgkmcnt(0)
	s_barrier
	buffer_gl0_inv
	ds_load_2addr_stride64_b32 v[1:2], v22 offset1:2
	ds_load_b32 v0, v22 offset:1024
	s_add_i32 s13, s13, 1
	s_delay_alu instid0(SALU_CYCLE_1)
	s_cmp_eq_u32 s13, 10
	s_waitcnt lgkmcnt(1)
	v_xor_b32_e32 v1, 0x80000000, v1
	v_xor_b32_e32 v2, 0x80000000, v2
	s_waitcnt lgkmcnt(0)
	v_xor_b32_e32 v3, 0x80000000, v0
	s_cbranch_scc1 .LBB202_18
.LBB202_2:                              ; =>This Loop Header: Depth=1
                                        ;     Child Loop BB202_4 Depth 2
	s_waitcnt vmcnt(0)
	v_xor_b32_e32 v0, 0x80000000, v1
	v_xor_b32_e32 v1, 0x80000000, v2
	;; [unrolled: 1-line block ×3, first 2 shown]
	s_mov_b32 s16, 0
	ds_store_2addr_b32 v14, v0, v1 offset1:1
	ds_store_b32 v14, v2 offset:8
	; wave barrier
	ds_load_2addr_b32 v[0:1], v15 offset1:32
	ds_load_b32 v2, v15 offset:256
	s_waitcnt lgkmcnt(0)
	s_barrier
	buffer_gl0_inv
	; wave barrier
	s_barrier
	s_branch .LBB202_4
.LBB202_3:                              ;   in Loop: Header=BB202_4 Depth=2
	v_lshlrev_b32_e32 v0, 2, v5
	v_lshlrev_b32_e32 v1, 2, v4
	s_delay_alu instid0(VALU_DEP_3)
	v_lshlrev_b32_e32 v2, 2, v3
	s_barrier
	buffer_gl0_inv
	ds_store_b32 v0, v23
	ds_store_b32 v1, v25
	;; [unrolled: 1-line block ×3, first 2 shown]
	s_waitcnt lgkmcnt(0)
	s_barrier
	buffer_gl0_inv
	ds_load_2addr_b32 v[0:1], v21 offset1:32
	ds_load_b32 v2, v21 offset:256
	s_add_i32 s16, s16, 8
	s_waitcnt lgkmcnt(0)
	s_barrier
	s_cbranch_execz .LBB202_1
.LBB202_4:                              ;   Parent Loop BB202_2 Depth=1
                                        ; =>  This Inner Loop Header: Depth=2
	v_mov_b32_e32 v23, v0
	buffer_gl0_inv
	ds_store_2addr_b64 v13, v[9:10], v[11:12] offset0:2 offset1:3
	ds_store_2addr_b64 v16, v[9:10], v[11:12] offset0:2 offset1:3
	s_waitcnt lgkmcnt(0)
	s_barrier
	v_lshrrev_b32_e32 v3, s16, v23
	buffer_gl0_inv
	; wave barrier
	v_lshlrev_b32_e32 v6, 29, v3
	v_bfe_u32 v0, v23, s16, 1
	v_lshlrev_b32_e32 v5, 30, v3
	v_lshlrev_b32_e32 v7, 28, v3
	;; [unrolled: 1-line block ×4, first 2 shown]
	v_add_co_u32 v0, s12, v0, -1
	s_delay_alu instid0(VALU_DEP_1) | instskip(SKIP_3) | instid1(VALU_DEP_4)
	v_cndmask_b32_e64 v4, 0, 1, s12
	v_cmp_gt_i32_e64 s12, 0, v5
	v_lshlrev_b32_e32 v26, 25, v3
	v_lshlrev_b32_e32 v3, 24, v3
	v_cmp_ne_u32_e32 vcc_lo, 0, v4
	v_not_b32_e32 v4, v5
	v_not_b32_e32 v5, v6
	v_xor_b32_e32 v0, vcc_lo, v0
	s_delay_alu instid0(VALU_DEP_3)
	v_ashrrev_i32_e32 v4, 31, v4
	v_cmp_gt_i32_e32 vcc_lo, 0, v6
	v_not_b32_e32 v6, v7
	v_ashrrev_i32_e32 v5, 31, v5
	v_and_b32_e32 v0, exec_lo, v0
	v_xor_b32_e32 v4, s12, v4
	v_cmp_gt_i32_e64 s12, 0, v7
	v_ashrrev_i32_e32 v6, 31, v6
	v_xor_b32_e32 v5, vcc_lo, v5
	s_delay_alu instid0(VALU_DEP_4) | instskip(SKIP_1) | instid1(VALU_DEP_4)
	v_and_b32_e32 v0, v0, v4
	v_not_b32_e32 v4, v25
	v_xor_b32_e32 v6, s12, v6
	v_cmp_gt_i32_e64 s12, 0, v25
	v_mov_b32_e32 v25, v1
	v_not_b32_e32 v7, v24
	v_cmp_gt_i32_e32 vcc_lo, 0, v24
	v_and_b32_e32 v0, v0, v5
	v_not_b32_e32 v5, v26
	v_ashrrev_i32_e32 v4, 31, v4
	v_ashrrev_i32_e32 v7, 31, v7
	v_bfe_u32 v1, v23, s16, 8
	v_and_b32_e32 v0, v0, v6
	v_not_b32_e32 v6, v3
	v_ashrrev_i32_e32 v5, 31, v5
	v_xor_b32_e32 v7, vcc_lo, v7
	v_cmp_gt_i32_e32 vcc_lo, 0, v26
	v_xor_b32_e32 v4, s12, v4
	v_cmp_gt_i32_e64 s12, 0, v3
	v_ashrrev_i32_e32 v3, 31, v6
	v_and_b32_e32 v0, v0, v7
	v_xor_b32_e32 v5, vcc_lo, v5
	v_lshl_add_u32 v1, v1, 2, v17
	v_mov_b32_e32 v24, v2
	v_xor_b32_e32 v3, s12, v3
	v_and_b32_e32 v0, v0, v4
	s_delay_alu instid0(VALU_DEP_4) | instskip(NEXT) | instid1(VALU_DEP_2)
	v_lshl_add_u32 v27, v1, 2, 16
	v_and_b32_e32 v0, v0, v5
	s_delay_alu instid0(VALU_DEP_1) | instskip(NEXT) | instid1(VALU_DEP_1)
	v_and_b32_e32 v0, v0, v3
	v_mbcnt_lo_u32_b32 v26, v0, 0
	v_cmp_ne_u32_e64 s12, 0, v0
	s_delay_alu instid0(VALU_DEP_2) | instskip(NEXT) | instid1(VALU_DEP_2)
	v_cmp_eq_u32_e32 vcc_lo, 0, v26
	s_and_b32 s17, s12, vcc_lo
	s_delay_alu instid0(SALU_CYCLE_1)
	s_and_saveexec_b32 s12, s17
	s_cbranch_execz .LBB202_6
; %bb.5:                                ;   in Loop: Header=BB202_4 Depth=2
	v_bcnt_u32_b32 v0, v0, 0
	ds_store_b32 v27, v0
.LBB202_6:                              ;   in Loop: Header=BB202_4 Depth=2
	s_or_b32 exec_lo, exec_lo, s12
	v_bfe_u32 v0, v25, s16, 1
	v_lshrrev_b32_e32 v1, s16, v25
	; wave barrier
	s_delay_alu instid0(VALU_DEP_2) | instskip(NEXT) | instid1(VALU_DEP_1)
	v_add_co_u32 v0, s12, v0, -1
	v_cndmask_b32_e64 v2, 0, 1, s12
	s_delay_alu instid0(VALU_DEP_3)
	v_lshlrev_b32_e32 v3, 30, v1
	v_lshlrev_b32_e32 v4, 29, v1
	v_lshlrev_b32_e32 v5, 28, v1
	v_lshlrev_b32_e32 v6, 27, v1
	v_cmp_ne_u32_e32 vcc_lo, 0, v2
	v_not_b32_e32 v2, v3
	v_cmp_gt_i32_e64 s12, 0, v3
	v_not_b32_e32 v3, v4
	v_lshlrev_b32_e32 v7, 26, v1
	v_xor_b32_e32 v0, vcc_lo, v0
	v_ashrrev_i32_e32 v2, 31, v2
	v_cmp_gt_i32_e32 vcc_lo, 0, v4
	v_not_b32_e32 v4, v5
	v_ashrrev_i32_e32 v3, 31, v3
	v_and_b32_e32 v0, exec_lo, v0
	v_xor_b32_e32 v2, s12, v2
	v_cmp_gt_i32_e64 s12, 0, v5
	v_not_b32_e32 v5, v6
	v_ashrrev_i32_e32 v4, 31, v4
	v_xor_b32_e32 v3, vcc_lo, v3
	v_and_b32_e32 v0, v0, v2
	v_cmp_gt_i32_e32 vcc_lo, 0, v6
	v_not_b32_e32 v2, v7
	v_ashrrev_i32_e32 v5, 31, v5
	v_xor_b32_e32 v4, s12, v4
	v_and_b32_e32 v0, v0, v3
	v_lshlrev_b32_e32 v3, 25, v1
	v_cmp_gt_i32_e64 s12, 0, v7
	v_ashrrev_i32_e32 v2, 31, v2
	v_xor_b32_e32 v5, vcc_lo, v5
	v_and_b32_e32 v0, v0, v4
	v_not_b32_e32 v6, v3
	v_lshlrev_b32_e32 v1, 24, v1
	v_bfe_u32 v4, v25, s16, 8
	v_xor_b32_e32 v2, s12, v2
	v_and_b32_e32 v0, v0, v5
	v_cmp_gt_i32_e32 vcc_lo, 0, v3
	v_ashrrev_i32_e32 v3, 31, v6
	v_not_b32_e32 v5, v1
	v_lshlrev_b32_e32 v4, 2, v4
	v_and_b32_e32 v0, v0, v2
	s_delay_alu instid0(VALU_DEP_4) | instskip(SKIP_3) | instid1(VALU_DEP_4)
	v_xor_b32_e32 v2, vcc_lo, v3
	v_cmp_gt_i32_e32 vcc_lo, 0, v1
	v_ashrrev_i32_e32 v1, 31, v5
	v_add_lshl_u32 v3, v4, v17, 2
	v_and_b32_e32 v0, v0, v2
	s_delay_alu instid0(VALU_DEP_3) | instskip(SKIP_3) | instid1(VALU_DEP_1)
	v_xor_b32_e32 v1, vcc_lo, v1
	ds_load_b32 v28, v3 offset:16
	v_add_nc_u32_e32 v30, 16, v3
	; wave barrier
	v_and_b32_e32 v0, v0, v1
	v_mbcnt_lo_u32_b32 v29, v0, 0
	v_cmp_ne_u32_e64 s12, 0, v0
	s_delay_alu instid0(VALU_DEP_2) | instskip(NEXT) | instid1(VALU_DEP_2)
	v_cmp_eq_u32_e32 vcc_lo, 0, v29
	s_and_b32 s17, s12, vcc_lo
	s_delay_alu instid0(SALU_CYCLE_1)
	s_and_saveexec_b32 s12, s17
	s_cbranch_execz .LBB202_8
; %bb.7:                                ;   in Loop: Header=BB202_4 Depth=2
	s_waitcnt lgkmcnt(0)
	v_bcnt_u32_b32 v0, v0, v28
	ds_store_b32 v30, v0
.LBB202_8:                              ;   in Loop: Header=BB202_4 Depth=2
	s_or_b32 exec_lo, exec_lo, s12
	v_bfe_u32 v0, v24, s16, 1
	v_lshrrev_b32_e32 v1, s16, v24
	; wave barrier
	s_delay_alu instid0(VALU_DEP_2) | instskip(NEXT) | instid1(VALU_DEP_1)
	v_add_co_u32 v0, s12, v0, -1
	v_cndmask_b32_e64 v2, 0, 1, s12
	s_delay_alu instid0(VALU_DEP_3)
	v_lshlrev_b32_e32 v3, 30, v1
	v_lshlrev_b32_e32 v4, 29, v1
	;; [unrolled: 1-line block ×4, first 2 shown]
	v_cmp_ne_u32_e32 vcc_lo, 0, v2
	v_not_b32_e32 v2, v3
	v_cmp_gt_i32_e64 s12, 0, v3
	v_not_b32_e32 v3, v4
	v_lshlrev_b32_e32 v7, 26, v1
	v_xor_b32_e32 v0, vcc_lo, v0
	v_ashrrev_i32_e32 v2, 31, v2
	v_cmp_gt_i32_e32 vcc_lo, 0, v4
	v_not_b32_e32 v4, v5
	v_ashrrev_i32_e32 v3, 31, v3
	v_and_b32_e32 v0, exec_lo, v0
	v_xor_b32_e32 v2, s12, v2
	v_cmp_gt_i32_e64 s12, 0, v5
	v_not_b32_e32 v5, v6
	v_ashrrev_i32_e32 v4, 31, v4
	v_xor_b32_e32 v3, vcc_lo, v3
	v_and_b32_e32 v0, v0, v2
	v_cmp_gt_i32_e32 vcc_lo, 0, v6
	v_not_b32_e32 v2, v7
	v_ashrrev_i32_e32 v5, 31, v5
	v_xor_b32_e32 v4, s12, v4
	v_and_b32_e32 v0, v0, v3
	v_lshlrev_b32_e32 v3, 25, v1
	v_cmp_gt_i32_e64 s12, 0, v7
	v_ashrrev_i32_e32 v2, 31, v2
	v_xor_b32_e32 v5, vcc_lo, v5
	v_and_b32_e32 v0, v0, v4
	v_not_b32_e32 v6, v3
	v_lshlrev_b32_e32 v1, 24, v1
	v_bfe_u32 v4, v24, s16, 8
	v_xor_b32_e32 v2, s12, v2
	v_and_b32_e32 v0, v0, v5
	v_cmp_gt_i32_e32 vcc_lo, 0, v3
	v_ashrrev_i32_e32 v3, 31, v6
	v_not_b32_e32 v5, v1
	v_lshlrev_b32_e32 v4, 2, v4
	v_and_b32_e32 v0, v0, v2
	s_delay_alu instid0(VALU_DEP_4) | instskip(SKIP_3) | instid1(VALU_DEP_4)
	v_xor_b32_e32 v2, vcc_lo, v3
	v_cmp_gt_i32_e32 vcc_lo, 0, v1
	v_ashrrev_i32_e32 v1, 31, v5
	v_add_lshl_u32 v3, v4, v17, 2
	v_and_b32_e32 v0, v0, v2
	s_delay_alu instid0(VALU_DEP_3) | instskip(SKIP_3) | instid1(VALU_DEP_1)
	v_xor_b32_e32 v1, vcc_lo, v1
	ds_load_b32 v31, v3 offset:16
	v_add_nc_u32_e32 v33, 16, v3
	; wave barrier
	v_and_b32_e32 v0, v0, v1
	v_mbcnt_lo_u32_b32 v32, v0, 0
	v_cmp_ne_u32_e64 s12, 0, v0
	s_delay_alu instid0(VALU_DEP_2) | instskip(NEXT) | instid1(VALU_DEP_2)
	v_cmp_eq_u32_e32 vcc_lo, 0, v32
	s_and_b32 s17, s12, vcc_lo
	s_delay_alu instid0(SALU_CYCLE_1)
	s_and_saveexec_b32 s12, s17
	s_cbranch_execz .LBB202_10
; %bb.9:                                ;   in Loop: Header=BB202_4 Depth=2
	s_waitcnt lgkmcnt(0)
	v_bcnt_u32_b32 v0, v0, v31
	ds_store_b32 v33, v0
.LBB202_10:                             ;   in Loop: Header=BB202_4 Depth=2
	s_or_b32 exec_lo, exec_lo, s12
	; wave barrier
	s_waitcnt lgkmcnt(0)
	s_barrier
	buffer_gl0_inv
	ds_load_2addr_b64 v[4:7], v13 offset0:2 offset1:3
	ds_load_2addr_b64 v[0:3], v16 offset0:2 offset1:3
	s_waitcnt lgkmcnt(1)
	v_add_nc_u32_e32 v34, v5, v4
	s_delay_alu instid0(VALU_DEP_1) | instskip(SKIP_1) | instid1(VALU_DEP_1)
	v_add3_u32 v34, v34, v6, v7
	s_waitcnt lgkmcnt(0)
	v_add3_u32 v34, v34, v0, v1
	s_delay_alu instid0(VALU_DEP_1) | instskip(NEXT) | instid1(VALU_DEP_1)
	v_add3_u32 v3, v34, v2, v3
	v_mov_b32_dpp v34, v3 row_shr:1 row_mask:0xf bank_mask:0xf
	s_delay_alu instid0(VALU_DEP_1) | instskip(NEXT) | instid1(VALU_DEP_1)
	v_cndmask_b32_e64 v34, v34, 0, s0
	v_add_nc_u32_e32 v3, v34, v3
	s_delay_alu instid0(VALU_DEP_1) | instskip(NEXT) | instid1(VALU_DEP_1)
	v_mov_b32_dpp v34, v3 row_shr:2 row_mask:0xf bank_mask:0xf
	v_cndmask_b32_e64 v34, 0, v34, s1
	s_delay_alu instid0(VALU_DEP_1) | instskip(NEXT) | instid1(VALU_DEP_1)
	v_add_nc_u32_e32 v3, v3, v34
	v_mov_b32_dpp v34, v3 row_shr:4 row_mask:0xf bank_mask:0xf
	s_delay_alu instid0(VALU_DEP_1) | instskip(NEXT) | instid1(VALU_DEP_1)
	v_cndmask_b32_e64 v34, 0, v34, s2
	v_add_nc_u32_e32 v3, v3, v34
	s_delay_alu instid0(VALU_DEP_1) | instskip(NEXT) | instid1(VALU_DEP_1)
	v_mov_b32_dpp v34, v3 row_shr:8 row_mask:0xf bank_mask:0xf
	v_cndmask_b32_e64 v34, 0, v34, s3
	s_delay_alu instid0(VALU_DEP_1) | instskip(SKIP_3) | instid1(VALU_DEP_1)
	v_add_nc_u32_e32 v3, v3, v34
	ds_swizzle_b32 v34, v3 offset:swizzle(BROADCAST,32,15)
	s_waitcnt lgkmcnt(0)
	v_cndmask_b32_e64 v34, v34, 0, s4
	v_add_nc_u32_e32 v3, v3, v34
	s_and_saveexec_b32 s12, s5
	s_cbranch_execz .LBB202_12
; %bb.11:                               ;   in Loop: Header=BB202_4 Depth=2
	ds_store_b32 v19, v3
.LBB202_12:                             ;   in Loop: Header=BB202_4 Depth=2
	s_or_b32 exec_lo, exec_lo, s12
	s_waitcnt lgkmcnt(0)
	s_barrier
	buffer_gl0_inv
	s_and_saveexec_b32 s12, s6
	s_cbranch_execz .LBB202_14
; %bb.13:                               ;   in Loop: Header=BB202_4 Depth=2
	ds_load_b32 v34, v22
	s_waitcnt lgkmcnt(0)
	v_mov_b32_dpp v35, v34 row_shr:1 row_mask:0xf bank_mask:0xf
	s_delay_alu instid0(VALU_DEP_1) | instskip(NEXT) | instid1(VALU_DEP_1)
	v_cndmask_b32_e64 v35, v35, 0, s10
	v_add_nc_u32_e32 v34, v35, v34
	s_delay_alu instid0(VALU_DEP_1) | instskip(NEXT) | instid1(VALU_DEP_1)
	v_mov_b32_dpp v35, v34 row_shr:2 row_mask:0xf bank_mask:0xf
	v_cndmask_b32_e64 v35, 0, v35, s11
	s_delay_alu instid0(VALU_DEP_1)
	v_add_nc_u32_e32 v34, v34, v35
	ds_store_b32 v22, v34
.LBB202_14:                             ;   in Loop: Header=BB202_4 Depth=2
	s_or_b32 exec_lo, exec_lo, s12
	v_mov_b32_e32 v34, 0
	s_waitcnt lgkmcnt(0)
	s_barrier
	buffer_gl0_inv
	s_and_saveexec_b32 s12, s7
	s_cbranch_execz .LBB202_16
; %bb.15:                               ;   in Loop: Header=BB202_4 Depth=2
	ds_load_b32 v34, v20
.LBB202_16:                             ;   in Loop: Header=BB202_4 Depth=2
	s_or_b32 exec_lo, exec_lo, s12
	s_waitcnt lgkmcnt(0)
	v_add_nc_u32_e32 v3, v34, v3
	s_cmp_gt_u32 s16, 23
	ds_bpermute_b32 v3, v18, v3
	s_waitcnt lgkmcnt(0)
	v_cndmask_b32_e64 v3, v3, v34, s8
	s_delay_alu instid0(VALU_DEP_1) | instskip(NEXT) | instid1(VALU_DEP_1)
	v_cndmask_b32_e64 v3, v3, 0, s9
	v_add_nc_u32_e32 v4, v3, v4
	s_delay_alu instid0(VALU_DEP_1) | instskip(NEXT) | instid1(VALU_DEP_1)
	v_add_nc_u32_e32 v5, v4, v5
	v_add_nc_u32_e32 v6, v5, v6
	s_delay_alu instid0(VALU_DEP_1) | instskip(NEXT) | instid1(VALU_DEP_1)
	v_add_nc_u32_e32 v34, v6, v7
	;; [unrolled: 3-line block ×3, first 2 shown]
	v_add_nc_u32_e32 v1, v0, v2
	ds_store_2addr_b64 v13, v[3:4], v[5:6] offset0:2 offset1:3
	ds_store_2addr_b64 v16, v[34:35], v[0:1] offset0:2 offset1:3
	s_waitcnt lgkmcnt(0)
	s_barrier
	buffer_gl0_inv
	ds_load_b32 v0, v27
	ds_load_b32 v1, v30
	;; [unrolled: 1-line block ×3, first 2 shown]
	s_waitcnt lgkmcnt(2)
	v_add_nc_u32_e32 v5, v0, v26
	s_waitcnt lgkmcnt(1)
	v_add3_u32 v4, v29, v28, v1
	s_waitcnt lgkmcnt(0)
	v_add3_u32 v3, v32, v31, v2
	s_cbranch_scc0 .LBB202_3
; %bb.17:                               ;   in Loop: Header=BB202_2 Depth=1
                                        ; implicit-def: $vgpr2
                                        ; implicit-def: $vgpr1
                                        ; implicit-def: $sgpr16
	s_branch .LBB202_1
.LBB202_18:
	v_lshlrev_b32_e32 v0, 2, v8
	s_add_u32 s0, s18, s14
	s_addc_u32 s1, s19, s15
	s_clause 0x2
	global_store_b32 v0, v1, s[0:1]
	global_store_b32 v0, v2, s[0:1] offset:512
	global_store_b32 v0, v3, s[0:1] offset:1024
	s_nop 0
	s_sendmsg sendmsg(MSG_DEALLOC_VGPRS)
	s_endpgm
	.section	.rodata,"a",@progbits
	.p2align	6, 0x0
	.amdhsa_kernel _Z16sort_keys_kernelI22helper_blocked_stripediLj128ELj3ELj10EEvPKT0_PS1_
		.amdhsa_group_segment_fixed_size 4112
		.amdhsa_private_segment_fixed_size 0
		.amdhsa_kernarg_size 272
		.amdhsa_user_sgpr_count 15
		.amdhsa_user_sgpr_dispatch_ptr 0
		.amdhsa_user_sgpr_queue_ptr 0
		.amdhsa_user_sgpr_kernarg_segment_ptr 1
		.amdhsa_user_sgpr_dispatch_id 0
		.amdhsa_user_sgpr_private_segment_size 0
		.amdhsa_wavefront_size32 1
		.amdhsa_uses_dynamic_stack 0
		.amdhsa_enable_private_segment 0
		.amdhsa_system_sgpr_workgroup_id_x 1
		.amdhsa_system_sgpr_workgroup_id_y 0
		.amdhsa_system_sgpr_workgroup_id_z 0
		.amdhsa_system_sgpr_workgroup_info 0
		.amdhsa_system_vgpr_workitem_id 2
		.amdhsa_next_free_vgpr 36
		.amdhsa_next_free_sgpr 20
		.amdhsa_reserve_vcc 1
		.amdhsa_float_round_mode_32 0
		.amdhsa_float_round_mode_16_64 0
		.amdhsa_float_denorm_mode_32 3
		.amdhsa_float_denorm_mode_16_64 3
		.amdhsa_dx10_clamp 1
		.amdhsa_ieee_mode 1
		.amdhsa_fp16_overflow 0
		.amdhsa_workgroup_processor_mode 1
		.amdhsa_memory_ordered 1
		.amdhsa_forward_progress 0
		.amdhsa_shared_vgpr_count 0
		.amdhsa_exception_fp_ieee_invalid_op 0
		.amdhsa_exception_fp_denorm_src 0
		.amdhsa_exception_fp_ieee_div_zero 0
		.amdhsa_exception_fp_ieee_overflow 0
		.amdhsa_exception_fp_ieee_underflow 0
		.amdhsa_exception_fp_ieee_inexact 0
		.amdhsa_exception_int_div_zero 0
	.end_amdhsa_kernel
	.section	.text._Z16sort_keys_kernelI22helper_blocked_stripediLj128ELj3ELj10EEvPKT0_PS1_,"axG",@progbits,_Z16sort_keys_kernelI22helper_blocked_stripediLj128ELj3ELj10EEvPKT0_PS1_,comdat
.Lfunc_end202:
	.size	_Z16sort_keys_kernelI22helper_blocked_stripediLj128ELj3ELj10EEvPKT0_PS1_, .Lfunc_end202-_Z16sort_keys_kernelI22helper_blocked_stripediLj128ELj3ELj10EEvPKT0_PS1_
                                        ; -- End function
	.section	.AMDGPU.csdata,"",@progbits
; Kernel info:
; codeLenInByte = 2344
; NumSgprs: 22
; NumVgprs: 36
; ScratchSize: 0
; MemoryBound: 0
; FloatMode: 240
; IeeeMode: 1
; LDSByteSize: 4112 bytes/workgroup (compile time only)
; SGPRBlocks: 2
; VGPRBlocks: 4
; NumSGPRsForWavesPerEU: 22
; NumVGPRsForWavesPerEU: 36
; Occupancy: 16
; WaveLimiterHint : 1
; COMPUTE_PGM_RSRC2:SCRATCH_EN: 0
; COMPUTE_PGM_RSRC2:USER_SGPR: 15
; COMPUTE_PGM_RSRC2:TRAP_HANDLER: 0
; COMPUTE_PGM_RSRC2:TGID_X_EN: 1
; COMPUTE_PGM_RSRC2:TGID_Y_EN: 0
; COMPUTE_PGM_RSRC2:TGID_Z_EN: 0
; COMPUTE_PGM_RSRC2:TIDIG_COMP_CNT: 2
	.section	.text._Z17sort_pairs_kernelI22helper_blocked_stripediLj128ELj3ELj10EEvPKT0_PS1_,"axG",@progbits,_Z17sort_pairs_kernelI22helper_blocked_stripediLj128ELj3ELj10EEvPKT0_PS1_,comdat
	.protected	_Z17sort_pairs_kernelI22helper_blocked_stripediLj128ELj3ELj10EEvPKT0_PS1_ ; -- Begin function _Z17sort_pairs_kernelI22helper_blocked_stripediLj128ELj3ELj10EEvPKT0_PS1_
	.globl	_Z17sort_pairs_kernelI22helper_blocked_stripediLj128ELj3ELj10EEvPKT0_PS1_
	.p2align	8
	.type	_Z17sort_pairs_kernelI22helper_blocked_stripediLj128ELj3ELj10EEvPKT0_PS1_,@function
_Z17sort_pairs_kernelI22helper_blocked_stripediLj128ELj3ELj10EEvPKT0_PS1_: ; @_Z17sort_pairs_kernelI22helper_blocked_stripediLj128ELj3ELj10EEvPKT0_PS1_
; %bb.0:
	s_clause 0x1
	s_load_b128 s[16:19], s[0:1], 0x0
	s_load_b32 s11, s[0:1], 0x1c
	s_mov_b32 s13, 0
	s_mul_i32 s12, s15, 0x180
	v_mbcnt_lo_u32_b32 v6, -1, 0
	s_lshl_b64 s[14:15], s[12:13], 2
	s_mov_b32 s12, s13
	s_delay_alu instid0(SALU_CYCLE_1) | instskip(NEXT) | instid1(VALU_DEP_2)
	v_dual_mov_b32 v9, s12 :: v_dual_and_b32 v8, 0x3ff, v0
	v_add_nc_u32_e32 v11, -1, v6
	v_and_b32_e32 v7, 16, v6
	v_bfe_u32 v4, v0, 10, 10
	s_delay_alu instid0(VALU_DEP_4)
	v_mul_u32_u24_e32 v1, 3, v8
	v_mov_b32_e32 v10, s13
	v_lshrrev_b32_e32 v17, 5, v8
	v_cmp_gt_i32_e32 vcc_lo, 0, v11
	v_bfe_u32 v0, v0, 20, 10
	v_lshlrev_b32_e32 v1, 2, v1
	v_cmp_eq_u32_e64 s5, 0, v7
	v_and_b32_e32 v12, 3, v6
	s_waitcnt lgkmcnt(0)
	s_add_u32 s0, s16, s14
	s_addc_u32 s1, s17, s15
	s_mov_b32 s16, s13
	global_load_b96 v[1:3], v1, s[0:1]
	s_mov_b32 s17, s13
	v_and_b32_e32 v5, 15, v6
	v_cndmask_b32_e32 v7, v11, v6, vcc_lo
	v_mul_u32_u24_e32 v11, 0x60, v17
	s_lshr_b32 s12, s11, 16
	v_lshlrev_b32_e32 v17, 2, v17
	v_cmp_eq_u32_e64 s1, 0, v5
	v_cmp_lt_u32_e64 s2, 1, v5
	v_cmp_lt_u32_e64 s3, 3, v5
	v_cmp_lt_u32_e64 s4, 7, v5
	v_add_nc_u32_e32 v18, -4, v17
	v_and_b32_e32 v5, 0x60, v8
	v_mad_u32_u24 v0, v0, s12, v4
	v_lshlrev_b32_e32 v16, 2, v7
	s_and_b32 s11, s11, 0xffff
	v_cmp_eq_u32_e64 s9, 0, v12
	v_mul_u32_u24_e32 v7, 3, v5
	v_cmp_lt_u32_e64 s10, 1, v12
	v_or_b32_e32 v12, 31, v5
	v_mad_u64_u32 v[4:5], null, v0, s11, v[8:9]
	v_lshlrev_b32_e32 v13, 5, v8
	v_lshlrev_b32_e32 v19, 2, v11
	v_or_b32_e32 v0, v6, v11
	v_or_b32_e32 v5, v6, v7
	v_cmp_eq_u32_e64 s11, v12, v8
	v_mov_b32_e32 v11, s16
	v_cmp_eq_u32_e64 s0, 0, v6
	v_cmp_gt_u32_e64 s6, 4, v8
	v_cmp_lt_u32_e64 s7, 31, v8
	v_cmp_eq_u32_e64 s8, 0, v8
	v_mul_i32_i24_e32 v14, 0xffffffe4, v8
	v_or_b32_e32 v15, 16, v13
	v_mad_u32_u24 v19, v6, 12, v19
	v_lshlrev_b32_e32 v20, 2, v0
	v_lshlrev_b32_e32 v21, 2, v5
	v_lshrrev_b32_e32 v22, 5, v4
	v_mov_b32_e32 v12, s17
	s_waitcnt vmcnt(0)
	v_add_nc_u32_e32 v4, 1, v1
	v_add_nc_u32_e32 v5, 1, v2
	;; [unrolled: 1-line block ×3, first 2 shown]
	s_branch .LBB203_2
.LBB203_1:                              ;   in Loop: Header=BB203_2 Depth=1
	v_lshlrev_b32_e32 v0, 2, v29
	s_delay_alu instid0(VALU_DEP_2)
	v_lshlrev_b32_e32 v4, 2, v5
	v_add_nc_u32_e32 v6, v13, v14
	v_lshlrev_b32_e32 v3, 2, v7
	s_barrier
	buffer_gl0_inv
	ds_store_b32 v0, v23
	ds_store_b32 v3, v28
	;; [unrolled: 1-line block ×3, first 2 shown]
	s_waitcnt lgkmcnt(0)
	s_barrier
	buffer_gl0_inv
	ds_load_2addr_stride64_b32 v[1:2], v6 offset1:2
	ds_load_b32 v23, v6 offset:1024
	s_waitcnt lgkmcnt(0)
	s_barrier
	buffer_gl0_inv
	ds_store_b32 v0, v26
	ds_store_b32 v3, v25
	;; [unrolled: 1-line block ×3, first 2 shown]
	s_waitcnt lgkmcnt(0)
	s_barrier
	buffer_gl0_inv
	ds_load_2addr_stride64_b32 v[4:5], v6 offset1:2
	ds_load_b32 v7, v6 offset:1024
	s_add_i32 s13, s13, 1
	s_delay_alu instid0(SALU_CYCLE_1)
	s_cmp_eq_u32 s13, 10
	v_xor_b32_e32 v1, 0x80000000, v1
	v_xor_b32_e32 v2, 0x80000000, v2
	;; [unrolled: 1-line block ×3, first 2 shown]
	s_cbranch_scc1 .LBB203_18
.LBB203_2:                              ; =>This Loop Header: Depth=1
                                        ;     Child Loop BB203_4 Depth 2
	s_delay_alu instid0(VALU_DEP_3) | instskip(NEXT) | instid1(VALU_DEP_3)
	v_xor_b32_e32 v0, 0x80000000, v1
	v_xor_b32_e32 v1, 0x80000000, v2
	s_delay_alu instid0(VALU_DEP_3)
	v_xor_b32_e32 v2, 0x80000000, v3
	s_mov_b32 s16, 0
	ds_store_2addr_b32 v19, v0, v1 offset1:1
	ds_store_b32 v19, v2 offset:8
	; wave barrier
	ds_load_2addr_b32 v[0:1], v20 offset1:32
	ds_load_b32 v6, v20 offset:256
	; wave barrier
	s_waitcnt lgkmcnt(5)
	ds_store_2addr_b32 v19, v4, v5 offset1:1
	s_waitcnt lgkmcnt(5)
	ds_store_b32 v19, v7 offset:8
	; wave barrier
	ds_load_2addr_b32 v[2:3], v20 offset1:32
	ds_load_b32 v4, v20 offset:256
	s_waitcnt lgkmcnt(0)
	s_barrier
	s_branch .LBB203_4
.LBB203_3:                              ;   in Loop: Header=BB203_4 Depth=2
	v_lshlrev_b32_e32 v2, 2, v29
	v_lshlrev_b32_e32 v3, 2, v7
	s_delay_alu instid0(VALU_DEP_3)
	v_lshlrev_b32_e32 v4, 2, v5
	s_barrier
	buffer_gl0_inv
	ds_store_b32 v2, v23
	ds_store_b32 v3, v28
	;; [unrolled: 1-line block ×3, first 2 shown]
	s_waitcnt lgkmcnt(0)
	s_barrier
	buffer_gl0_inv
	ds_load_2addr_b32 v[0:1], v21 offset1:32
	ds_load_b32 v6, v21 offset:256
	s_waitcnt lgkmcnt(0)
	s_barrier
	buffer_gl0_inv
	ds_store_b32 v2, v26
	ds_store_b32 v3, v25
	;; [unrolled: 1-line block ×3, first 2 shown]
	s_waitcnt lgkmcnt(0)
	s_barrier
	buffer_gl0_inv
	ds_load_2addr_b32 v[2:3], v21 offset1:32
	ds_load_b32 v4, v21 offset:256
	s_add_i32 s16, s16, 8
	s_waitcnt lgkmcnt(0)
	s_barrier
	s_cbranch_execz .LBB203_1
.LBB203_4:                              ;   Parent Loop BB203_2 Depth=1
                                        ; =>  This Inner Loop Header: Depth=2
	v_mov_b32_e32 v23, v0
	buffer_gl0_inv
	ds_store_2addr_b64 v13, v[9:10], v[11:12] offset0:2 offset1:3
	ds_store_2addr_b64 v15, v[9:10], v[11:12] offset0:2 offset1:3
	s_waitcnt lgkmcnt(0)
	s_barrier
	v_lshrrev_b32_e32 v5, s16, v23
	buffer_gl0_inv
	; wave barrier
	v_lshlrev_b32_e32 v24, 30, v5
	v_bfe_u32 v0, v23, s16, 1
	v_lshlrev_b32_e32 v25, 29, v5
	v_lshlrev_b32_e32 v26, 28, v5
	;; [unrolled: 1-line block ×4, first 2 shown]
	v_add_co_u32 v0, s12, v0, -1
	s_delay_alu instid0(VALU_DEP_1) | instskip(SKIP_3) | instid1(VALU_DEP_4)
	v_cndmask_b32_e64 v7, 0, 1, s12
	v_cmp_gt_i32_e64 s12, 0, v24
	v_lshlrev_b32_e32 v29, 25, v5
	v_lshlrev_b32_e32 v5, 24, v5
	v_cmp_ne_u32_e32 vcc_lo, 0, v7
	v_not_b32_e32 v7, v24
	v_not_b32_e32 v24, v25
	v_xor_b32_e32 v0, vcc_lo, v0
	s_delay_alu instid0(VALU_DEP_3)
	v_ashrrev_i32_e32 v7, 31, v7
	v_cmp_gt_i32_e32 vcc_lo, 0, v25
	v_not_b32_e32 v25, v26
	v_ashrrev_i32_e32 v24, 31, v24
	v_and_b32_e32 v0, exec_lo, v0
	v_xor_b32_e32 v7, s12, v7
	v_cmp_gt_i32_e64 s12, 0, v26
	v_not_b32_e32 v26, v27
	v_ashrrev_i32_e32 v25, 31, v25
	v_xor_b32_e32 v24, vcc_lo, v24
	v_and_b32_e32 v0, v0, v7
	v_cmp_gt_i32_e32 vcc_lo, 0, v27
	v_ashrrev_i32_e32 v26, 31, v26
	v_xor_b32_e32 v25, s12, v25
	v_not_b32_e32 v7, v28
	v_and_b32_e32 v0, v0, v24
	v_cmp_gt_i32_e64 s12, 0, v28
	v_xor_b32_e32 v26, vcc_lo, v26
	v_mov_b32_e32 v28, v1
	v_ashrrev_i32_e32 v7, 31, v7
	v_and_b32_e32 v0, v0, v25
	v_not_b32_e32 v25, v5
	v_bfe_u32 v1, v23, s16, 8
	v_mov_b32_e32 v27, v6
	v_xor_b32_e32 v7, s12, v7
	v_and_b32_e32 v0, v0, v26
	v_mov_b32_e32 v26, v2
	v_not_b32_e32 v24, v29
	v_cmp_gt_i32_e32 vcc_lo, 0, v29
	v_cmp_gt_i32_e64 s12, 0, v5
	v_ashrrev_i32_e32 v5, 31, v25
	v_and_b32_e32 v0, v0, v7
	v_ashrrev_i32_e32 v24, 31, v24
	v_lshl_add_u32 v1, v1, 2, v22
	v_mov_b32_e32 v25, v3
	v_xor_b32_e32 v5, s12, v5
	s_delay_alu instid0(VALU_DEP_4) | instskip(NEXT) | instid1(VALU_DEP_4)
	v_xor_b32_e32 v24, vcc_lo, v24
	v_lshl_add_u32 v30, v1, 2, 16
	s_delay_alu instid0(VALU_DEP_2) | instskip(SKIP_1) | instid1(VALU_DEP_2)
	v_and_b32_e32 v0, v0, v24
	v_mov_b32_e32 v24, v4
	v_and_b32_e32 v0, v0, v5
	s_delay_alu instid0(VALU_DEP_1) | instskip(SKIP_1) | instid1(VALU_DEP_2)
	v_mbcnt_lo_u32_b32 v29, v0, 0
	v_cmp_ne_u32_e64 s12, 0, v0
	v_cmp_eq_u32_e32 vcc_lo, 0, v29
	s_delay_alu instid0(VALU_DEP_2) | instskip(NEXT) | instid1(SALU_CYCLE_1)
	s_and_b32 s17, s12, vcc_lo
	s_and_saveexec_b32 s12, s17
	s_cbranch_execz .LBB203_6
; %bb.5:                                ;   in Loop: Header=BB203_4 Depth=2
	v_bcnt_u32_b32 v0, v0, 0
	ds_store_b32 v30, v0
.LBB203_6:                              ;   in Loop: Header=BB203_4 Depth=2
	s_or_b32 exec_lo, exec_lo, s12
	v_bfe_u32 v0, v28, s16, 1
	v_lshrrev_b32_e32 v1, s16, v28
	; wave barrier
	s_delay_alu instid0(VALU_DEP_2) | instskip(NEXT) | instid1(VALU_DEP_1)
	v_add_co_u32 v0, s12, v0, -1
	v_cndmask_b32_e64 v2, 0, 1, s12
	s_delay_alu instid0(VALU_DEP_3)
	v_lshlrev_b32_e32 v3, 30, v1
	v_lshlrev_b32_e32 v4, 29, v1
	;; [unrolled: 1-line block ×4, first 2 shown]
	v_cmp_ne_u32_e32 vcc_lo, 0, v2
	v_not_b32_e32 v2, v3
	v_cmp_gt_i32_e64 s12, 0, v3
	v_not_b32_e32 v3, v4
	v_lshlrev_b32_e32 v7, 26, v1
	v_xor_b32_e32 v0, vcc_lo, v0
	v_ashrrev_i32_e32 v2, 31, v2
	v_cmp_gt_i32_e32 vcc_lo, 0, v4
	v_not_b32_e32 v4, v5
	v_ashrrev_i32_e32 v3, 31, v3
	v_and_b32_e32 v0, exec_lo, v0
	v_xor_b32_e32 v2, s12, v2
	v_cmp_gt_i32_e64 s12, 0, v5
	v_not_b32_e32 v5, v6
	v_ashrrev_i32_e32 v4, 31, v4
	v_xor_b32_e32 v3, vcc_lo, v3
	v_and_b32_e32 v0, v0, v2
	v_cmp_gt_i32_e32 vcc_lo, 0, v6
	v_not_b32_e32 v2, v7
	v_ashrrev_i32_e32 v5, 31, v5
	v_xor_b32_e32 v4, s12, v4
	v_and_b32_e32 v0, v0, v3
	v_lshlrev_b32_e32 v3, 25, v1
	v_cmp_gt_i32_e64 s12, 0, v7
	v_ashrrev_i32_e32 v2, 31, v2
	v_xor_b32_e32 v5, vcc_lo, v5
	v_and_b32_e32 v0, v0, v4
	v_not_b32_e32 v6, v3
	v_lshlrev_b32_e32 v1, 24, v1
	v_bfe_u32 v4, v28, s16, 8
	v_xor_b32_e32 v2, s12, v2
	v_and_b32_e32 v0, v0, v5
	v_cmp_gt_i32_e32 vcc_lo, 0, v3
	v_ashrrev_i32_e32 v3, 31, v6
	v_not_b32_e32 v5, v1
	v_lshlrev_b32_e32 v4, 2, v4
	v_and_b32_e32 v0, v0, v2
	s_delay_alu instid0(VALU_DEP_4) | instskip(SKIP_3) | instid1(VALU_DEP_4)
	v_xor_b32_e32 v2, vcc_lo, v3
	v_cmp_gt_i32_e32 vcc_lo, 0, v1
	v_ashrrev_i32_e32 v1, 31, v5
	v_add_lshl_u32 v3, v4, v22, 2
	v_and_b32_e32 v0, v0, v2
	s_delay_alu instid0(VALU_DEP_3) | instskip(SKIP_3) | instid1(VALU_DEP_1)
	v_xor_b32_e32 v1, vcc_lo, v1
	ds_load_b32 v31, v3 offset:16
	v_add_nc_u32_e32 v33, 16, v3
	; wave barrier
	v_and_b32_e32 v0, v0, v1
	v_mbcnt_lo_u32_b32 v32, v0, 0
	v_cmp_ne_u32_e64 s12, 0, v0
	s_delay_alu instid0(VALU_DEP_2) | instskip(NEXT) | instid1(VALU_DEP_2)
	v_cmp_eq_u32_e32 vcc_lo, 0, v32
	s_and_b32 s17, s12, vcc_lo
	s_delay_alu instid0(SALU_CYCLE_1)
	s_and_saveexec_b32 s12, s17
	s_cbranch_execz .LBB203_8
; %bb.7:                                ;   in Loop: Header=BB203_4 Depth=2
	s_waitcnt lgkmcnt(0)
	v_bcnt_u32_b32 v0, v0, v31
	ds_store_b32 v33, v0
.LBB203_8:                              ;   in Loop: Header=BB203_4 Depth=2
	s_or_b32 exec_lo, exec_lo, s12
	v_bfe_u32 v0, v27, s16, 1
	v_lshrrev_b32_e32 v1, s16, v27
	; wave barrier
	s_delay_alu instid0(VALU_DEP_2) | instskip(NEXT) | instid1(VALU_DEP_1)
	v_add_co_u32 v0, s12, v0, -1
	v_cndmask_b32_e64 v2, 0, 1, s12
	s_delay_alu instid0(VALU_DEP_3)
	v_lshlrev_b32_e32 v3, 30, v1
	v_lshlrev_b32_e32 v4, 29, v1
	;; [unrolled: 1-line block ×4, first 2 shown]
	v_cmp_ne_u32_e32 vcc_lo, 0, v2
	v_not_b32_e32 v2, v3
	v_cmp_gt_i32_e64 s12, 0, v3
	v_not_b32_e32 v3, v4
	v_lshlrev_b32_e32 v7, 26, v1
	v_xor_b32_e32 v0, vcc_lo, v0
	v_ashrrev_i32_e32 v2, 31, v2
	v_cmp_gt_i32_e32 vcc_lo, 0, v4
	v_not_b32_e32 v4, v5
	v_ashrrev_i32_e32 v3, 31, v3
	v_and_b32_e32 v0, exec_lo, v0
	v_xor_b32_e32 v2, s12, v2
	v_cmp_gt_i32_e64 s12, 0, v5
	v_not_b32_e32 v5, v6
	v_ashrrev_i32_e32 v4, 31, v4
	v_xor_b32_e32 v3, vcc_lo, v3
	v_and_b32_e32 v0, v0, v2
	v_cmp_gt_i32_e32 vcc_lo, 0, v6
	v_not_b32_e32 v2, v7
	v_ashrrev_i32_e32 v5, 31, v5
	v_xor_b32_e32 v4, s12, v4
	v_and_b32_e32 v0, v0, v3
	v_lshlrev_b32_e32 v3, 25, v1
	v_cmp_gt_i32_e64 s12, 0, v7
	v_ashrrev_i32_e32 v2, 31, v2
	v_xor_b32_e32 v5, vcc_lo, v5
	v_and_b32_e32 v0, v0, v4
	v_not_b32_e32 v6, v3
	v_lshlrev_b32_e32 v1, 24, v1
	v_bfe_u32 v4, v27, s16, 8
	v_xor_b32_e32 v2, s12, v2
	v_and_b32_e32 v0, v0, v5
	v_cmp_gt_i32_e32 vcc_lo, 0, v3
	v_ashrrev_i32_e32 v3, 31, v6
	v_not_b32_e32 v5, v1
	v_lshlrev_b32_e32 v4, 2, v4
	v_and_b32_e32 v0, v0, v2
	s_delay_alu instid0(VALU_DEP_4) | instskip(SKIP_3) | instid1(VALU_DEP_4)
	v_xor_b32_e32 v2, vcc_lo, v3
	v_cmp_gt_i32_e32 vcc_lo, 0, v1
	v_ashrrev_i32_e32 v1, 31, v5
	v_add_lshl_u32 v3, v4, v22, 2
	v_and_b32_e32 v0, v0, v2
	s_delay_alu instid0(VALU_DEP_3) | instskip(SKIP_3) | instid1(VALU_DEP_1)
	v_xor_b32_e32 v1, vcc_lo, v1
	ds_load_b32 v34, v3 offset:16
	v_add_nc_u32_e32 v36, 16, v3
	; wave barrier
	v_and_b32_e32 v0, v0, v1
	v_mbcnt_lo_u32_b32 v35, v0, 0
	v_cmp_ne_u32_e64 s12, 0, v0
	s_delay_alu instid0(VALU_DEP_2) | instskip(NEXT) | instid1(VALU_DEP_2)
	v_cmp_eq_u32_e32 vcc_lo, 0, v35
	s_and_b32 s17, s12, vcc_lo
	s_delay_alu instid0(SALU_CYCLE_1)
	s_and_saveexec_b32 s12, s17
	s_cbranch_execz .LBB203_10
; %bb.9:                                ;   in Loop: Header=BB203_4 Depth=2
	s_waitcnt lgkmcnt(0)
	v_bcnt_u32_b32 v0, v0, v34
	ds_store_b32 v36, v0
.LBB203_10:                             ;   in Loop: Header=BB203_4 Depth=2
	s_or_b32 exec_lo, exec_lo, s12
	; wave barrier
	s_waitcnt lgkmcnt(0)
	s_barrier
	buffer_gl0_inv
	ds_load_2addr_b64 v[4:7], v13 offset0:2 offset1:3
	ds_load_2addr_b64 v[0:3], v15 offset0:2 offset1:3
	s_waitcnt lgkmcnt(1)
	v_add_nc_u32_e32 v37, v5, v4
	s_delay_alu instid0(VALU_DEP_1) | instskip(SKIP_1) | instid1(VALU_DEP_1)
	v_add3_u32 v37, v37, v6, v7
	s_waitcnt lgkmcnt(0)
	v_add3_u32 v37, v37, v0, v1
	s_delay_alu instid0(VALU_DEP_1) | instskip(NEXT) | instid1(VALU_DEP_1)
	v_add3_u32 v3, v37, v2, v3
	v_mov_b32_dpp v37, v3 row_shr:1 row_mask:0xf bank_mask:0xf
	s_delay_alu instid0(VALU_DEP_1) | instskip(NEXT) | instid1(VALU_DEP_1)
	v_cndmask_b32_e64 v37, v37, 0, s1
	v_add_nc_u32_e32 v3, v37, v3
	s_delay_alu instid0(VALU_DEP_1) | instskip(NEXT) | instid1(VALU_DEP_1)
	v_mov_b32_dpp v37, v3 row_shr:2 row_mask:0xf bank_mask:0xf
	v_cndmask_b32_e64 v37, 0, v37, s2
	s_delay_alu instid0(VALU_DEP_1) | instskip(NEXT) | instid1(VALU_DEP_1)
	v_add_nc_u32_e32 v3, v3, v37
	v_mov_b32_dpp v37, v3 row_shr:4 row_mask:0xf bank_mask:0xf
	s_delay_alu instid0(VALU_DEP_1) | instskip(NEXT) | instid1(VALU_DEP_1)
	v_cndmask_b32_e64 v37, 0, v37, s3
	v_add_nc_u32_e32 v3, v3, v37
	s_delay_alu instid0(VALU_DEP_1) | instskip(NEXT) | instid1(VALU_DEP_1)
	v_mov_b32_dpp v37, v3 row_shr:8 row_mask:0xf bank_mask:0xf
	v_cndmask_b32_e64 v37, 0, v37, s4
	s_delay_alu instid0(VALU_DEP_1) | instskip(SKIP_3) | instid1(VALU_DEP_1)
	v_add_nc_u32_e32 v3, v3, v37
	ds_swizzle_b32 v37, v3 offset:swizzle(BROADCAST,32,15)
	s_waitcnt lgkmcnt(0)
	v_cndmask_b32_e64 v37, v37, 0, s5
	v_add_nc_u32_e32 v3, v3, v37
	s_and_saveexec_b32 s12, s11
	s_cbranch_execz .LBB203_12
; %bb.11:                               ;   in Loop: Header=BB203_4 Depth=2
	ds_store_b32 v17, v3
.LBB203_12:                             ;   in Loop: Header=BB203_4 Depth=2
	s_or_b32 exec_lo, exec_lo, s12
	s_waitcnt lgkmcnt(0)
	s_barrier
	buffer_gl0_inv
	s_and_saveexec_b32 s12, s6
	s_cbranch_execz .LBB203_14
; %bb.13:                               ;   in Loop: Header=BB203_4 Depth=2
	v_add_nc_u32_e32 v37, v13, v14
	ds_load_b32 v38, v37
	s_waitcnt lgkmcnt(0)
	v_mov_b32_dpp v39, v38 row_shr:1 row_mask:0xf bank_mask:0xf
	s_delay_alu instid0(VALU_DEP_1) | instskip(NEXT) | instid1(VALU_DEP_1)
	v_cndmask_b32_e64 v39, v39, 0, s9
	v_add_nc_u32_e32 v38, v39, v38
	s_delay_alu instid0(VALU_DEP_1) | instskip(NEXT) | instid1(VALU_DEP_1)
	v_mov_b32_dpp v39, v38 row_shr:2 row_mask:0xf bank_mask:0xf
	v_cndmask_b32_e64 v39, 0, v39, s10
	s_delay_alu instid0(VALU_DEP_1)
	v_add_nc_u32_e32 v38, v38, v39
	ds_store_b32 v37, v38
.LBB203_14:                             ;   in Loop: Header=BB203_4 Depth=2
	s_or_b32 exec_lo, exec_lo, s12
	v_mov_b32_e32 v37, 0
	s_waitcnt lgkmcnt(0)
	s_barrier
	buffer_gl0_inv
	s_and_saveexec_b32 s12, s7
	s_cbranch_execz .LBB203_16
; %bb.15:                               ;   in Loop: Header=BB203_4 Depth=2
	ds_load_b32 v37, v18
.LBB203_16:                             ;   in Loop: Header=BB203_4 Depth=2
	s_or_b32 exec_lo, exec_lo, s12
	s_waitcnt lgkmcnt(0)
	v_add_nc_u32_e32 v3, v37, v3
	s_cmp_gt_u32 s16, 23
	ds_bpermute_b32 v3, v16, v3
	s_waitcnt lgkmcnt(0)
	v_cndmask_b32_e64 v3, v3, v37, s0
	s_delay_alu instid0(VALU_DEP_1) | instskip(NEXT) | instid1(VALU_DEP_1)
	v_cndmask_b32_e64 v3, v3, 0, s8
	v_add_nc_u32_e32 v4, v3, v4
	s_delay_alu instid0(VALU_DEP_1) | instskip(NEXT) | instid1(VALU_DEP_1)
	v_add_nc_u32_e32 v5, v4, v5
	v_add_nc_u32_e32 v6, v5, v6
	s_delay_alu instid0(VALU_DEP_1) | instskip(NEXT) | instid1(VALU_DEP_1)
	v_add_nc_u32_e32 v37, v6, v7
	;; [unrolled: 3-line block ×3, first 2 shown]
	v_add_nc_u32_e32 v1, v0, v2
	ds_store_2addr_b64 v13, v[3:4], v[5:6] offset0:2 offset1:3
	ds_store_2addr_b64 v15, v[37:38], v[0:1] offset0:2 offset1:3
	s_waitcnt lgkmcnt(0)
	s_barrier
	buffer_gl0_inv
	ds_load_b32 v0, v30
	ds_load_b32 v1, v33
	;; [unrolled: 1-line block ×3, first 2 shown]
	s_waitcnt lgkmcnt(2)
	v_add_nc_u32_e32 v29, v0, v29
	s_waitcnt lgkmcnt(1)
	v_add3_u32 v7, v32, v31, v1
	s_waitcnt lgkmcnt(0)
	v_add3_u32 v5, v35, v34, v2
	s_cbranch_scc0 .LBB203_3
; %bb.17:                               ;   in Loop: Header=BB203_2 Depth=1
                                        ; implicit-def: $vgpr6
                                        ; implicit-def: $vgpr1
                                        ; implicit-def: $vgpr4
                                        ; implicit-def: $vgpr3
                                        ; implicit-def: $sgpr16
	s_branch .LBB203_1
.LBB203_18:
	s_waitcnt lgkmcnt(1)
	v_add_nc_u32_e32 v0, v1, v4
	v_add_nc_u32_e32 v1, v2, v5
	v_lshlrev_b32_e32 v2, 2, v8
	s_waitcnt lgkmcnt(0)
	v_add_nc_u32_e32 v3, v3, v7
	s_add_u32 s0, s18, s14
	s_addc_u32 s1, s19, s15
	s_clause 0x2
	global_store_b32 v2, v0, s[0:1]
	global_store_b32 v2, v1, s[0:1] offset:512
	global_store_b32 v2, v3, s[0:1] offset:1024
	s_nop 0
	s_sendmsg sendmsg(MSG_DEALLOC_VGPRS)
	s_endpgm
	.section	.rodata,"a",@progbits
	.p2align	6, 0x0
	.amdhsa_kernel _Z17sort_pairs_kernelI22helper_blocked_stripediLj128ELj3ELj10EEvPKT0_PS1_
		.amdhsa_group_segment_fixed_size 4112
		.amdhsa_private_segment_fixed_size 0
		.amdhsa_kernarg_size 272
		.amdhsa_user_sgpr_count 15
		.amdhsa_user_sgpr_dispatch_ptr 0
		.amdhsa_user_sgpr_queue_ptr 0
		.amdhsa_user_sgpr_kernarg_segment_ptr 1
		.amdhsa_user_sgpr_dispatch_id 0
		.amdhsa_user_sgpr_private_segment_size 0
		.amdhsa_wavefront_size32 1
		.amdhsa_uses_dynamic_stack 0
		.amdhsa_enable_private_segment 0
		.amdhsa_system_sgpr_workgroup_id_x 1
		.amdhsa_system_sgpr_workgroup_id_y 0
		.amdhsa_system_sgpr_workgroup_id_z 0
		.amdhsa_system_sgpr_workgroup_info 0
		.amdhsa_system_vgpr_workitem_id 2
		.amdhsa_next_free_vgpr 40
		.amdhsa_next_free_sgpr 20
		.amdhsa_reserve_vcc 1
		.amdhsa_float_round_mode_32 0
		.amdhsa_float_round_mode_16_64 0
		.amdhsa_float_denorm_mode_32 3
		.amdhsa_float_denorm_mode_16_64 3
		.amdhsa_dx10_clamp 1
		.amdhsa_ieee_mode 1
		.amdhsa_fp16_overflow 0
		.amdhsa_workgroup_processor_mode 1
		.amdhsa_memory_ordered 1
		.amdhsa_forward_progress 0
		.amdhsa_shared_vgpr_count 0
		.amdhsa_exception_fp_ieee_invalid_op 0
		.amdhsa_exception_fp_denorm_src 0
		.amdhsa_exception_fp_ieee_div_zero 0
		.amdhsa_exception_fp_ieee_overflow 0
		.amdhsa_exception_fp_ieee_underflow 0
		.amdhsa_exception_fp_ieee_inexact 0
		.amdhsa_exception_int_div_zero 0
	.end_amdhsa_kernel
	.section	.text._Z17sort_pairs_kernelI22helper_blocked_stripediLj128ELj3ELj10EEvPKT0_PS1_,"axG",@progbits,_Z17sort_pairs_kernelI22helper_blocked_stripediLj128ELj3ELj10EEvPKT0_PS1_,comdat
.Lfunc_end203:
	.size	_Z17sort_pairs_kernelI22helper_blocked_stripediLj128ELj3ELj10EEvPKT0_PS1_, .Lfunc_end203-_Z17sort_pairs_kernelI22helper_blocked_stripediLj128ELj3ELj10EEvPKT0_PS1_
                                        ; -- End function
	.section	.AMDGPU.csdata,"",@progbits
; Kernel info:
; codeLenInByte = 2552
; NumSgprs: 22
; NumVgprs: 40
; ScratchSize: 0
; MemoryBound: 0
; FloatMode: 240
; IeeeMode: 1
; LDSByteSize: 4112 bytes/workgroup (compile time only)
; SGPRBlocks: 2
; VGPRBlocks: 4
; NumSGPRsForWavesPerEU: 22
; NumVGPRsForWavesPerEU: 40
; Occupancy: 16
; WaveLimiterHint : 1
; COMPUTE_PGM_RSRC2:SCRATCH_EN: 0
; COMPUTE_PGM_RSRC2:USER_SGPR: 15
; COMPUTE_PGM_RSRC2:TRAP_HANDLER: 0
; COMPUTE_PGM_RSRC2:TGID_X_EN: 1
; COMPUTE_PGM_RSRC2:TGID_Y_EN: 0
; COMPUTE_PGM_RSRC2:TGID_Z_EN: 0
; COMPUTE_PGM_RSRC2:TIDIG_COMP_CNT: 2
	.section	.text._Z16sort_keys_kernelI22helper_blocked_stripediLj128ELj4ELj10EEvPKT0_PS1_,"axG",@progbits,_Z16sort_keys_kernelI22helper_blocked_stripediLj128ELj4ELj10EEvPKT0_PS1_,comdat
	.protected	_Z16sort_keys_kernelI22helper_blocked_stripediLj128ELj4ELj10EEvPKT0_PS1_ ; -- Begin function _Z16sort_keys_kernelI22helper_blocked_stripediLj128ELj4ELj10EEvPKT0_PS1_
	.globl	_Z16sort_keys_kernelI22helper_blocked_stripediLj128ELj4ELj10EEvPKT0_PS1_
	.p2align	8
	.type	_Z16sort_keys_kernelI22helper_blocked_stripediLj128ELj4ELj10EEvPKT0_PS1_,@function
_Z16sort_keys_kernelI22helper_blocked_stripediLj128ELj4ELj10EEvPKT0_PS1_: ; @_Z16sort_keys_kernelI22helper_blocked_stripediLj128ELj4ELj10EEvPKT0_PS1_
; %bb.0:
	s_clause 0x1
	s_load_b128 s[16:19], s[0:1], 0x0
	s_load_b32 s3, s[0:1], 0x1c
	s_lshl_b32 s20, s15, 9
	s_mov_b32 s21, 0
	v_bfe_u32 v6, v0, 10, 10
	s_lshl_b64 s[22:23], s[20:21], 2
	s_mov_b32 s20, s21
	v_and_b32_e32 v5, 0x3ff, v0
	v_bfe_u32 v0, v0, 20, 10
	v_mbcnt_lo_u32_b32 v8, -1, 0
	s_delay_alu instid0(VALU_DEP_3) | instskip(NEXT) | instid1(VALU_DEP_2)
	v_lshlrev_b32_e32 v12, 2, v5
	v_and_b32_e32 v13, 28, v8
	v_cmp_eq_u32_e64 s12, 0, v8
	s_delay_alu instid0(VALU_DEP_2)
	v_or_b32_e32 v15, 32, v13
	s_waitcnt lgkmcnt(0)
	s_add_u32 s0, s16, s22
	s_addc_u32 s1, s17, s23
	s_lshr_b32 s2, s3, 16
	s_and_b32 s3, s3, 0xffff
	v_mad_u32_u24 v0, v0, s2, v6
	s_mov_b32 s16, s21
	s_mov_b32 s17, s21
	v_and_b32_e32 v9, 3, v8
	v_or_b32_e32 v16, 64, v13
	v_mad_u64_u32 v[6:7], null, v0, s3, v[5:6]
	v_add_nc_u32_e32 v7, -1, v8
	v_and_b32_e32 v0, 15, v8
	v_cmp_eq_u32_e64 s2, 1, v9
	v_cmp_eq_u32_e64 s3, 0, v9
	v_cmp_lt_u32_e64 s14, 1, v9
	v_cmp_gt_i32_e32 vcc_lo, 0, v7
	v_lshlrev_b32_e32 v1, 4, v5
	v_cmp_eq_u32_e64 s4, 0, v0
	v_cmp_lt_u32_e64 s5, 1, v0
	v_cmp_lt_u32_e64 s6, 3, v0
	;; [unrolled: 1-line block ×3, first 2 shown]
	v_cndmask_b32_e32 v0, v7, v8, vcc_lo
	global_load_b128 v[1:4], v1, s[0:1]
	v_lshrrev_b32_e32 v19, 5, v6
	v_and_b32_e32 v6, 16, v8
	v_cmp_eq_u32_e64 s0, 3, v9
	v_cmp_eq_u32_e64 s1, 2, v9
	v_lshlrev_b32_e32 v20, 2, v0
	v_and_or_b32 v0, 0x180, v12, v8
	v_cmp_eq_u32_e64 s8, 0, v6
	v_mov_b32_e32 v8, s20
	v_lshrrev_b32_e32 v6, 3, v5
	v_or_b32_e32 v10, 31, v5
	v_lshlrev_b32_e32 v14, 5, v5
	v_or_b32_e32 v17, 0x60, v13
	v_cmp_gt_u32_e64 s10, 4, v5
	v_and_b32_e32 v21, 12, v6
	v_cmp_eq_u32_e64 s9, v10, v5
	v_dual_mov_b32 v10, s16 :: v_dual_mov_b32 v11, s17
	v_or_b32_e32 v18, 16, v14
	v_cmp_lt_u32_e64 s11, 31, v5
	v_cmp_eq_u32_e64 s13, 0, v5
	v_mul_i32_i24_e32 v22, 0xffffffe4, v5
	v_add_nc_u32_e32 v23, -4, v21
	v_dual_mov_b32 v9, s21 :: v_dual_lshlrev_b32 v24, 2, v0
	s_branch .LBB204_2
.LBB204_1:                              ;   in Loop: Header=BB204_2 Depth=1
	v_lshlrev_b32_e32 v0, 2, v7
	v_lshlrev_b32_e32 v1, 2, v6
	;; [unrolled: 1-line block ×3, first 2 shown]
	s_barrier
	buffer_gl0_inv
	v_lshlrev_b32_e32 v3, 2, v4
	ds_store_b32 v0, v25
	ds_store_b32 v1, v28
	;; [unrolled: 1-line block ×3, first 2 shown]
	v_add_nc_u32_e32 v0, v14, v22
	s_add_i32 s21, s21, 1
	ds_store_b32 v3, v26
	s_waitcnt lgkmcnt(0)
	s_barrier
	buffer_gl0_inv
	ds_load_2addr_stride64_b32 v[1:2], v0 offset1:2
	ds_load_2addr_stride64_b32 v[3:4], v0 offset0:4 offset1:6
	s_cmp_eq_u32 s21, 10
	s_waitcnt lgkmcnt(1)
	v_xor_b32_e32 v1, 0x80000000, v1
	v_xor_b32_e32 v2, 0x80000000, v2
	s_waitcnt lgkmcnt(0)
	v_xor_b32_e32 v3, 0x80000000, v3
	v_xor_b32_e32 v4, 0x80000000, v4
	s_cbranch_scc1 .LBB204_20
.LBB204_2:                              ; =>This Loop Header: Depth=1
                                        ;     Child Loop BB204_4 Depth 2
	s_waitcnt vmcnt(0)
	v_xor_b32_e32 v0, 0x80000000, v1
	v_xor_b32_e32 v1, 0x80000000, v2
	;; [unrolled: 1-line block ×4, first 2 shown]
	s_mov_b32 s16, 0
	ds_bpermute_b32 v3, v13, v0
	ds_bpermute_b32 v5, v13, v1
	;; [unrolled: 1-line block ×16, first 2 shown]
	s_waitcnt lgkmcnt(0)
	s_barrier
	v_cndmask_b32_e64 v3, v3, v5, s2
	v_cndmask_b32_e64 v5, v6, v7, s2
	;; [unrolled: 1-line block ×4, first 2 shown]
	s_delay_alu instid0(VALU_DEP_4) | instskip(NEXT) | instid1(VALU_DEP_4)
	v_cndmask_b32_e64 v1, v3, v27, s1
	v_cndmask_b32_e64 v3, v5, v28, s1
	s_delay_alu instid0(VALU_DEP_4) | instskip(NEXT) | instid1(VALU_DEP_4)
	v_cndmask_b32_e64 v5, v6, v29, s1
	v_cndmask_b32_e64 v6, v0, v2, s1
	;; [unrolled: 3-line block ×4, first 2 shown]
	s_branch .LBB204_4
.LBB204_3:                              ;   in Loop: Header=BB204_4 Depth=2
	v_lshlrev_b32_e32 v0, 2, v7
	v_lshlrev_b32_e32 v1, 2, v6
	;; [unrolled: 1-line block ×4, first 2 shown]
	s_barrier
	buffer_gl0_inv
	ds_store_b32 v0, v25
	ds_store_b32 v1, v28
	;; [unrolled: 1-line block ×4, first 2 shown]
	s_waitcnt lgkmcnt(0)
	s_barrier
	buffer_gl0_inv
	ds_load_2addr_b32 v[0:1], v24 offset1:32
	ds_load_2addr_b32 v[2:3], v24 offset0:64 offset1:96
	s_add_i32 s16, s16, 8
	s_waitcnt lgkmcnt(0)
	s_barrier
	s_cbranch_execz .LBB204_1
.LBB204_4:                              ;   Parent Loop BB204_2 Depth=1
                                        ; =>  This Inner Loop Header: Depth=2
	v_mov_b32_e32 v25, v0
	buffer_gl0_inv
	ds_store_2addr_b64 v14, v[8:9], v[10:11] offset0:2 offset1:3
	ds_store_2addr_b64 v18, v[8:9], v[10:11] offset0:2 offset1:3
	s_waitcnt lgkmcnt(0)
	s_barrier
	v_lshrrev_b32_e32 v4, s16, v25
	buffer_gl0_inv
	; wave barrier
	v_lshlrev_b32_e32 v6, 30, v4
	v_bfe_u32 v0, v25, s16, 1
	v_lshlrev_b32_e32 v7, 29, v4
	v_lshlrev_b32_e32 v26, 28, v4
	;; [unrolled: 1-line block ×4, first 2 shown]
	v_add_co_u32 v0, s15, v0, -1
	s_delay_alu instid0(VALU_DEP_1) | instskip(SKIP_3) | instid1(VALU_DEP_4)
	v_cndmask_b32_e64 v5, 0, 1, s15
	v_cmp_gt_i32_e64 s15, 0, v6
	v_lshlrev_b32_e32 v29, 25, v4
	v_lshlrev_b32_e32 v4, 24, v4
	v_cmp_ne_u32_e32 vcc_lo, 0, v5
	v_not_b32_e32 v5, v6
	v_not_b32_e32 v6, v7
	v_xor_b32_e32 v0, vcc_lo, v0
	s_delay_alu instid0(VALU_DEP_3)
	v_ashrrev_i32_e32 v5, 31, v5
	v_cmp_gt_i32_e32 vcc_lo, 0, v7
	v_not_b32_e32 v7, v26
	v_ashrrev_i32_e32 v6, 31, v6
	v_and_b32_e32 v0, exec_lo, v0
	v_xor_b32_e32 v5, s15, v5
	v_cmp_gt_i32_e64 s15, 0, v26
	v_ashrrev_i32_e32 v7, 31, v7
	v_xor_b32_e32 v6, vcc_lo, v6
	s_delay_alu instid0(VALU_DEP_4) | instskip(SKIP_1) | instid1(VALU_DEP_4)
	v_and_b32_e32 v0, v0, v5
	v_not_b32_e32 v5, v28
	v_xor_b32_e32 v7, s15, v7
	v_cmp_gt_i32_e64 s15, 0, v28
	v_mov_b32_e32 v28, v1
	v_not_b32_e32 v26, v27
	v_cmp_gt_i32_e32 vcc_lo, 0, v27
	v_and_b32_e32 v0, v0, v6
	v_not_b32_e32 v6, v29
	v_ashrrev_i32_e32 v5, 31, v5
	v_ashrrev_i32_e32 v26, 31, v26
	v_bfe_u32 v1, v25, s16, 8
	v_and_b32_e32 v0, v0, v7
	v_not_b32_e32 v7, v4
	v_ashrrev_i32_e32 v6, 31, v6
	v_xor_b32_e32 v26, vcc_lo, v26
	v_cmp_gt_i32_e32 vcc_lo, 0, v29
	v_xor_b32_e32 v5, s15, v5
	v_cmp_gt_i32_e64 s15, 0, v4
	v_ashrrev_i32_e32 v4, 31, v7
	v_and_b32_e32 v0, v0, v26
	v_xor_b32_e32 v6, vcc_lo, v6
	v_lshl_add_u32 v1, v1, 2, v19
	v_mov_b32_e32 v26, v3
	v_xor_b32_e32 v4, s15, v4
	v_dual_mov_b32 v27, v2 :: v_dual_and_b32 v0, v0, v5
	s_delay_alu instid0(VALU_DEP_4) | instskip(NEXT) | instid1(VALU_DEP_2)
	v_lshl_add_u32 v30, v1, 2, 16
	v_and_b32_e32 v0, v0, v6
	s_delay_alu instid0(VALU_DEP_1) | instskip(NEXT) | instid1(VALU_DEP_1)
	v_and_b32_e32 v0, v0, v4
	v_mbcnt_lo_u32_b32 v29, v0, 0
	v_cmp_ne_u32_e64 s15, 0, v0
	s_delay_alu instid0(VALU_DEP_2) | instskip(NEXT) | instid1(VALU_DEP_2)
	v_cmp_eq_u32_e32 vcc_lo, 0, v29
	s_and_b32 s17, s15, vcc_lo
	s_delay_alu instid0(SALU_CYCLE_1)
	s_and_saveexec_b32 s15, s17
	s_cbranch_execz .LBB204_6
; %bb.5:                                ;   in Loop: Header=BB204_4 Depth=2
	v_bcnt_u32_b32 v0, v0, 0
	ds_store_b32 v30, v0
.LBB204_6:                              ;   in Loop: Header=BB204_4 Depth=2
	s_or_b32 exec_lo, exec_lo, s15
	v_bfe_u32 v0, v28, s16, 1
	v_lshrrev_b32_e32 v1, s16, v28
	; wave barrier
	s_delay_alu instid0(VALU_DEP_2) | instskip(NEXT) | instid1(VALU_DEP_1)
	v_add_co_u32 v0, s15, v0, -1
	v_cndmask_b32_e64 v2, 0, 1, s15
	s_delay_alu instid0(VALU_DEP_3)
	v_lshlrev_b32_e32 v3, 30, v1
	v_lshlrev_b32_e32 v4, 29, v1
	;; [unrolled: 1-line block ×4, first 2 shown]
	v_cmp_ne_u32_e32 vcc_lo, 0, v2
	v_not_b32_e32 v2, v3
	v_cmp_gt_i32_e64 s15, 0, v3
	v_not_b32_e32 v3, v4
	v_lshlrev_b32_e32 v7, 26, v1
	v_xor_b32_e32 v0, vcc_lo, v0
	v_ashrrev_i32_e32 v2, 31, v2
	v_cmp_gt_i32_e32 vcc_lo, 0, v4
	v_not_b32_e32 v4, v5
	v_ashrrev_i32_e32 v3, 31, v3
	v_and_b32_e32 v0, exec_lo, v0
	v_xor_b32_e32 v2, s15, v2
	v_cmp_gt_i32_e64 s15, 0, v5
	v_not_b32_e32 v5, v6
	v_ashrrev_i32_e32 v4, 31, v4
	v_xor_b32_e32 v3, vcc_lo, v3
	v_and_b32_e32 v0, v0, v2
	v_cmp_gt_i32_e32 vcc_lo, 0, v6
	v_not_b32_e32 v2, v7
	v_ashrrev_i32_e32 v5, 31, v5
	v_xor_b32_e32 v4, s15, v4
	v_and_b32_e32 v0, v0, v3
	v_lshlrev_b32_e32 v3, 25, v1
	v_cmp_gt_i32_e64 s15, 0, v7
	v_ashrrev_i32_e32 v2, 31, v2
	v_xor_b32_e32 v5, vcc_lo, v5
	v_and_b32_e32 v0, v0, v4
	v_not_b32_e32 v6, v3
	v_lshlrev_b32_e32 v1, 24, v1
	v_bfe_u32 v4, v28, s16, 8
	v_xor_b32_e32 v2, s15, v2
	v_and_b32_e32 v0, v0, v5
	v_cmp_gt_i32_e32 vcc_lo, 0, v3
	v_ashrrev_i32_e32 v3, 31, v6
	v_not_b32_e32 v5, v1
	v_lshlrev_b32_e32 v4, 2, v4
	v_and_b32_e32 v0, v0, v2
	s_delay_alu instid0(VALU_DEP_4) | instskip(SKIP_3) | instid1(VALU_DEP_4)
	v_xor_b32_e32 v2, vcc_lo, v3
	v_cmp_gt_i32_e32 vcc_lo, 0, v1
	v_ashrrev_i32_e32 v1, 31, v5
	v_add_lshl_u32 v3, v4, v19, 2
	v_and_b32_e32 v0, v0, v2
	s_delay_alu instid0(VALU_DEP_3) | instskip(SKIP_3) | instid1(VALU_DEP_1)
	v_xor_b32_e32 v1, vcc_lo, v1
	ds_load_b32 v31, v3 offset:16
	v_add_nc_u32_e32 v33, 16, v3
	; wave barrier
	v_and_b32_e32 v0, v0, v1
	v_mbcnt_lo_u32_b32 v32, v0, 0
	v_cmp_ne_u32_e64 s15, 0, v0
	s_delay_alu instid0(VALU_DEP_2) | instskip(NEXT) | instid1(VALU_DEP_2)
	v_cmp_eq_u32_e32 vcc_lo, 0, v32
	s_and_b32 s17, s15, vcc_lo
	s_delay_alu instid0(SALU_CYCLE_1)
	s_and_saveexec_b32 s15, s17
	s_cbranch_execz .LBB204_8
; %bb.7:                                ;   in Loop: Header=BB204_4 Depth=2
	s_waitcnt lgkmcnt(0)
	v_bcnt_u32_b32 v0, v0, v31
	ds_store_b32 v33, v0
.LBB204_8:                              ;   in Loop: Header=BB204_4 Depth=2
	s_or_b32 exec_lo, exec_lo, s15
	v_bfe_u32 v0, v27, s16, 1
	v_lshrrev_b32_e32 v1, s16, v27
	; wave barrier
	s_delay_alu instid0(VALU_DEP_2) | instskip(NEXT) | instid1(VALU_DEP_1)
	v_add_co_u32 v0, s15, v0, -1
	v_cndmask_b32_e64 v2, 0, 1, s15
	s_delay_alu instid0(VALU_DEP_3)
	v_lshlrev_b32_e32 v3, 30, v1
	v_lshlrev_b32_e32 v4, 29, v1
	v_lshlrev_b32_e32 v5, 28, v1
	v_lshlrev_b32_e32 v6, 27, v1
	v_cmp_ne_u32_e32 vcc_lo, 0, v2
	v_not_b32_e32 v2, v3
	v_cmp_gt_i32_e64 s15, 0, v3
	v_not_b32_e32 v3, v4
	v_lshlrev_b32_e32 v7, 26, v1
	v_xor_b32_e32 v0, vcc_lo, v0
	v_ashrrev_i32_e32 v2, 31, v2
	v_cmp_gt_i32_e32 vcc_lo, 0, v4
	v_not_b32_e32 v4, v5
	v_ashrrev_i32_e32 v3, 31, v3
	v_and_b32_e32 v0, exec_lo, v0
	v_xor_b32_e32 v2, s15, v2
	v_cmp_gt_i32_e64 s15, 0, v5
	v_not_b32_e32 v5, v6
	v_ashrrev_i32_e32 v4, 31, v4
	v_xor_b32_e32 v3, vcc_lo, v3
	v_and_b32_e32 v0, v0, v2
	v_cmp_gt_i32_e32 vcc_lo, 0, v6
	v_not_b32_e32 v2, v7
	v_ashrrev_i32_e32 v5, 31, v5
	v_xor_b32_e32 v4, s15, v4
	v_and_b32_e32 v0, v0, v3
	v_lshlrev_b32_e32 v3, 25, v1
	v_cmp_gt_i32_e64 s15, 0, v7
	v_ashrrev_i32_e32 v2, 31, v2
	v_xor_b32_e32 v5, vcc_lo, v5
	v_and_b32_e32 v0, v0, v4
	v_not_b32_e32 v6, v3
	v_lshlrev_b32_e32 v1, 24, v1
	v_bfe_u32 v4, v27, s16, 8
	v_xor_b32_e32 v2, s15, v2
	v_and_b32_e32 v0, v0, v5
	v_cmp_gt_i32_e32 vcc_lo, 0, v3
	v_ashrrev_i32_e32 v3, 31, v6
	v_not_b32_e32 v5, v1
	v_lshlrev_b32_e32 v4, 2, v4
	v_and_b32_e32 v0, v0, v2
	s_delay_alu instid0(VALU_DEP_4) | instskip(SKIP_3) | instid1(VALU_DEP_4)
	v_xor_b32_e32 v2, vcc_lo, v3
	v_cmp_gt_i32_e32 vcc_lo, 0, v1
	v_ashrrev_i32_e32 v1, 31, v5
	v_add_lshl_u32 v3, v4, v19, 2
	v_and_b32_e32 v0, v0, v2
	s_delay_alu instid0(VALU_DEP_3) | instskip(SKIP_3) | instid1(VALU_DEP_1)
	v_xor_b32_e32 v1, vcc_lo, v1
	ds_load_b32 v34, v3 offset:16
	v_add_nc_u32_e32 v36, 16, v3
	; wave barrier
	v_and_b32_e32 v0, v0, v1
	v_mbcnt_lo_u32_b32 v35, v0, 0
	v_cmp_ne_u32_e64 s15, 0, v0
	s_delay_alu instid0(VALU_DEP_2) | instskip(NEXT) | instid1(VALU_DEP_2)
	v_cmp_eq_u32_e32 vcc_lo, 0, v35
	s_and_b32 s17, s15, vcc_lo
	s_delay_alu instid0(SALU_CYCLE_1)
	s_and_saveexec_b32 s15, s17
	s_cbranch_execz .LBB204_10
; %bb.9:                                ;   in Loop: Header=BB204_4 Depth=2
	s_waitcnt lgkmcnt(0)
	v_bcnt_u32_b32 v0, v0, v34
	ds_store_b32 v36, v0
.LBB204_10:                             ;   in Loop: Header=BB204_4 Depth=2
	s_or_b32 exec_lo, exec_lo, s15
	v_bfe_u32 v0, v26, s16, 1
	v_lshrrev_b32_e32 v1, s16, v26
	; wave barrier
	s_delay_alu instid0(VALU_DEP_2) | instskip(NEXT) | instid1(VALU_DEP_1)
	v_add_co_u32 v0, s15, v0, -1
	v_cndmask_b32_e64 v2, 0, 1, s15
	s_delay_alu instid0(VALU_DEP_3)
	v_lshlrev_b32_e32 v3, 30, v1
	v_lshlrev_b32_e32 v4, 29, v1
	;; [unrolled: 1-line block ×4, first 2 shown]
	v_cmp_ne_u32_e32 vcc_lo, 0, v2
	v_not_b32_e32 v2, v3
	v_cmp_gt_i32_e64 s15, 0, v3
	v_not_b32_e32 v3, v4
	v_lshlrev_b32_e32 v7, 26, v1
	v_xor_b32_e32 v0, vcc_lo, v0
	v_ashrrev_i32_e32 v2, 31, v2
	v_cmp_gt_i32_e32 vcc_lo, 0, v4
	v_not_b32_e32 v4, v5
	v_ashrrev_i32_e32 v3, 31, v3
	v_and_b32_e32 v0, exec_lo, v0
	v_xor_b32_e32 v2, s15, v2
	v_cmp_gt_i32_e64 s15, 0, v5
	v_not_b32_e32 v5, v6
	v_ashrrev_i32_e32 v4, 31, v4
	v_xor_b32_e32 v3, vcc_lo, v3
	v_and_b32_e32 v0, v0, v2
	v_cmp_gt_i32_e32 vcc_lo, 0, v6
	v_not_b32_e32 v2, v7
	v_ashrrev_i32_e32 v5, 31, v5
	v_xor_b32_e32 v4, s15, v4
	v_and_b32_e32 v0, v0, v3
	v_lshlrev_b32_e32 v3, 25, v1
	v_cmp_gt_i32_e64 s15, 0, v7
	v_ashrrev_i32_e32 v2, 31, v2
	v_xor_b32_e32 v5, vcc_lo, v5
	v_and_b32_e32 v0, v0, v4
	v_not_b32_e32 v6, v3
	v_lshlrev_b32_e32 v1, 24, v1
	v_bfe_u32 v4, v26, s16, 8
	v_xor_b32_e32 v2, s15, v2
	v_and_b32_e32 v0, v0, v5
	v_cmp_gt_i32_e32 vcc_lo, 0, v3
	v_ashrrev_i32_e32 v3, 31, v6
	v_not_b32_e32 v5, v1
	v_lshlrev_b32_e32 v4, 2, v4
	v_and_b32_e32 v0, v0, v2
	s_delay_alu instid0(VALU_DEP_4) | instskip(SKIP_3) | instid1(VALU_DEP_4)
	v_xor_b32_e32 v2, vcc_lo, v3
	v_cmp_gt_i32_e32 vcc_lo, 0, v1
	v_ashrrev_i32_e32 v1, 31, v5
	v_add_lshl_u32 v3, v4, v19, 2
	v_and_b32_e32 v0, v0, v2
	s_delay_alu instid0(VALU_DEP_3) | instskip(SKIP_3) | instid1(VALU_DEP_1)
	v_xor_b32_e32 v1, vcc_lo, v1
	ds_load_b32 v37, v3 offset:16
	v_add_nc_u32_e32 v39, 16, v3
	; wave barrier
	v_and_b32_e32 v0, v0, v1
	v_mbcnt_lo_u32_b32 v38, v0, 0
	v_cmp_ne_u32_e64 s15, 0, v0
	s_delay_alu instid0(VALU_DEP_2) | instskip(NEXT) | instid1(VALU_DEP_2)
	v_cmp_eq_u32_e32 vcc_lo, 0, v38
	s_and_b32 s17, s15, vcc_lo
	s_delay_alu instid0(SALU_CYCLE_1)
	s_and_saveexec_b32 s15, s17
	s_cbranch_execz .LBB204_12
; %bb.11:                               ;   in Loop: Header=BB204_4 Depth=2
	s_waitcnt lgkmcnt(0)
	v_bcnt_u32_b32 v0, v0, v37
	ds_store_b32 v39, v0
.LBB204_12:                             ;   in Loop: Header=BB204_4 Depth=2
	s_or_b32 exec_lo, exec_lo, s15
	; wave barrier
	s_waitcnt lgkmcnt(0)
	s_barrier
	buffer_gl0_inv
	ds_load_2addr_b64 v[4:7], v14 offset0:2 offset1:3
	ds_load_2addr_b64 v[0:3], v18 offset0:2 offset1:3
	s_waitcnt lgkmcnt(1)
	v_add_nc_u32_e32 v40, v5, v4
	s_delay_alu instid0(VALU_DEP_1) | instskip(SKIP_1) | instid1(VALU_DEP_1)
	v_add3_u32 v40, v40, v6, v7
	s_waitcnt lgkmcnt(0)
	v_add3_u32 v40, v40, v0, v1
	s_delay_alu instid0(VALU_DEP_1) | instskip(NEXT) | instid1(VALU_DEP_1)
	v_add3_u32 v3, v40, v2, v3
	v_mov_b32_dpp v40, v3 row_shr:1 row_mask:0xf bank_mask:0xf
	s_delay_alu instid0(VALU_DEP_1) | instskip(NEXT) | instid1(VALU_DEP_1)
	v_cndmask_b32_e64 v40, v40, 0, s4
	v_add_nc_u32_e32 v3, v40, v3
	s_delay_alu instid0(VALU_DEP_1) | instskip(NEXT) | instid1(VALU_DEP_1)
	v_mov_b32_dpp v40, v3 row_shr:2 row_mask:0xf bank_mask:0xf
	v_cndmask_b32_e64 v40, 0, v40, s5
	s_delay_alu instid0(VALU_DEP_1) | instskip(NEXT) | instid1(VALU_DEP_1)
	v_add_nc_u32_e32 v3, v3, v40
	v_mov_b32_dpp v40, v3 row_shr:4 row_mask:0xf bank_mask:0xf
	s_delay_alu instid0(VALU_DEP_1) | instskip(NEXT) | instid1(VALU_DEP_1)
	v_cndmask_b32_e64 v40, 0, v40, s6
	v_add_nc_u32_e32 v3, v3, v40
	s_delay_alu instid0(VALU_DEP_1) | instskip(NEXT) | instid1(VALU_DEP_1)
	v_mov_b32_dpp v40, v3 row_shr:8 row_mask:0xf bank_mask:0xf
	v_cndmask_b32_e64 v40, 0, v40, s7
	s_delay_alu instid0(VALU_DEP_1) | instskip(SKIP_3) | instid1(VALU_DEP_1)
	v_add_nc_u32_e32 v3, v3, v40
	ds_swizzle_b32 v40, v3 offset:swizzle(BROADCAST,32,15)
	s_waitcnt lgkmcnt(0)
	v_cndmask_b32_e64 v40, v40, 0, s8
	v_add_nc_u32_e32 v3, v3, v40
	s_and_saveexec_b32 s15, s9
	s_cbranch_execz .LBB204_14
; %bb.13:                               ;   in Loop: Header=BB204_4 Depth=2
	ds_store_b32 v21, v3
.LBB204_14:                             ;   in Loop: Header=BB204_4 Depth=2
	s_or_b32 exec_lo, exec_lo, s15
	s_waitcnt lgkmcnt(0)
	s_barrier
	buffer_gl0_inv
	s_and_saveexec_b32 s15, s10
	s_cbranch_execz .LBB204_16
; %bb.15:                               ;   in Loop: Header=BB204_4 Depth=2
	v_add_nc_u32_e32 v40, v14, v22
	ds_load_b32 v41, v40
	s_waitcnt lgkmcnt(0)
	v_mov_b32_dpp v42, v41 row_shr:1 row_mask:0xf bank_mask:0xf
	s_delay_alu instid0(VALU_DEP_1) | instskip(NEXT) | instid1(VALU_DEP_1)
	v_cndmask_b32_e64 v42, v42, 0, s3
	v_add_nc_u32_e32 v41, v42, v41
	s_delay_alu instid0(VALU_DEP_1) | instskip(NEXT) | instid1(VALU_DEP_1)
	v_mov_b32_dpp v42, v41 row_shr:2 row_mask:0xf bank_mask:0xf
	v_cndmask_b32_e64 v42, 0, v42, s14
	s_delay_alu instid0(VALU_DEP_1)
	v_add_nc_u32_e32 v41, v41, v42
	ds_store_b32 v40, v41
.LBB204_16:                             ;   in Loop: Header=BB204_4 Depth=2
	s_or_b32 exec_lo, exec_lo, s15
	v_mov_b32_e32 v40, 0
	s_waitcnt lgkmcnt(0)
	s_barrier
	buffer_gl0_inv
	s_and_saveexec_b32 s15, s11
	s_cbranch_execz .LBB204_18
; %bb.17:                               ;   in Loop: Header=BB204_4 Depth=2
	ds_load_b32 v40, v23
.LBB204_18:                             ;   in Loop: Header=BB204_4 Depth=2
	s_or_b32 exec_lo, exec_lo, s15
	s_waitcnt lgkmcnt(0)
	v_add_nc_u32_e32 v3, v40, v3
	s_cmp_gt_u32 s16, 23
	ds_bpermute_b32 v3, v20, v3
	s_waitcnt lgkmcnt(0)
	v_cndmask_b32_e64 v3, v3, v40, s12
	s_delay_alu instid0(VALU_DEP_1) | instskip(NEXT) | instid1(VALU_DEP_1)
	v_cndmask_b32_e64 v3, v3, 0, s13
	v_add_nc_u32_e32 v4, v3, v4
	s_delay_alu instid0(VALU_DEP_1) | instskip(NEXT) | instid1(VALU_DEP_1)
	v_add_nc_u32_e32 v5, v4, v5
	v_add_nc_u32_e32 v6, v5, v6
	s_delay_alu instid0(VALU_DEP_1) | instskip(NEXT) | instid1(VALU_DEP_1)
	v_add_nc_u32_e32 v40, v6, v7
	;; [unrolled: 3-line block ×3, first 2 shown]
	v_add_nc_u32_e32 v1, v0, v2
	ds_store_2addr_b64 v14, v[3:4], v[5:6] offset0:2 offset1:3
	ds_store_2addr_b64 v18, v[40:41], v[0:1] offset0:2 offset1:3
	s_waitcnt lgkmcnt(0)
	s_barrier
	buffer_gl0_inv
	ds_load_b32 v0, v30
	ds_load_b32 v1, v33
	;; [unrolled: 1-line block ×4, first 2 shown]
	s_waitcnt lgkmcnt(3)
	v_add_nc_u32_e32 v7, v0, v29
	s_waitcnt lgkmcnt(2)
	v_add3_u32 v6, v32, v31, v1
	s_waitcnt lgkmcnt(1)
	v_add3_u32 v5, v35, v34, v2
	;; [unrolled: 2-line block ×3, first 2 shown]
	s_cbranch_scc0 .LBB204_3
; %bb.19:                               ;   in Loop: Header=BB204_2 Depth=1
                                        ; implicit-def: $vgpr3
                                        ; implicit-def: $vgpr1
                                        ; implicit-def: $sgpr16
	s_branch .LBB204_1
.LBB204_20:
	s_add_u32 s0, s18, s22
	s_addc_u32 s1, s19, s23
	s_clause 0x3
	global_store_b32 v12, v1, s[0:1]
	global_store_b32 v12, v2, s[0:1] offset:512
	global_store_b32 v12, v3, s[0:1] offset:1024
	;; [unrolled: 1-line block ×3, first 2 shown]
	s_nop 0
	s_sendmsg sendmsg(MSG_DEALLOC_VGPRS)
	s_endpgm
	.section	.rodata,"a",@progbits
	.p2align	6, 0x0
	.amdhsa_kernel _Z16sort_keys_kernelI22helper_blocked_stripediLj128ELj4ELj10EEvPKT0_PS1_
		.amdhsa_group_segment_fixed_size 4112
		.amdhsa_private_segment_fixed_size 0
		.amdhsa_kernarg_size 272
		.amdhsa_user_sgpr_count 15
		.amdhsa_user_sgpr_dispatch_ptr 0
		.amdhsa_user_sgpr_queue_ptr 0
		.amdhsa_user_sgpr_kernarg_segment_ptr 1
		.amdhsa_user_sgpr_dispatch_id 0
		.amdhsa_user_sgpr_private_segment_size 0
		.amdhsa_wavefront_size32 1
		.amdhsa_uses_dynamic_stack 0
		.amdhsa_enable_private_segment 0
		.amdhsa_system_sgpr_workgroup_id_x 1
		.amdhsa_system_sgpr_workgroup_id_y 0
		.amdhsa_system_sgpr_workgroup_id_z 0
		.amdhsa_system_sgpr_workgroup_info 0
		.amdhsa_system_vgpr_workitem_id 2
		.amdhsa_next_free_vgpr 43
		.amdhsa_next_free_sgpr 24
		.amdhsa_reserve_vcc 1
		.amdhsa_float_round_mode_32 0
		.amdhsa_float_round_mode_16_64 0
		.amdhsa_float_denorm_mode_32 3
		.amdhsa_float_denorm_mode_16_64 3
		.amdhsa_dx10_clamp 1
		.amdhsa_ieee_mode 1
		.amdhsa_fp16_overflow 0
		.amdhsa_workgroup_processor_mode 1
		.amdhsa_memory_ordered 1
		.amdhsa_forward_progress 0
		.amdhsa_shared_vgpr_count 0
		.amdhsa_exception_fp_ieee_invalid_op 0
		.amdhsa_exception_fp_denorm_src 0
		.amdhsa_exception_fp_ieee_div_zero 0
		.amdhsa_exception_fp_ieee_overflow 0
		.amdhsa_exception_fp_ieee_underflow 0
		.amdhsa_exception_fp_ieee_inexact 0
		.amdhsa_exception_int_div_zero 0
	.end_amdhsa_kernel
	.section	.text._Z16sort_keys_kernelI22helper_blocked_stripediLj128ELj4ELj10EEvPKT0_PS1_,"axG",@progbits,_Z16sort_keys_kernelI22helper_blocked_stripediLj128ELj4ELj10EEvPKT0_PS1_,comdat
.Lfunc_end204:
	.size	_Z16sort_keys_kernelI22helper_blocked_stripediLj128ELj4ELj10EEvPKT0_PS1_, .Lfunc_end204-_Z16sort_keys_kernelI22helper_blocked_stripediLj128ELj4ELj10EEvPKT0_PS1_
                                        ; -- End function
	.section	.AMDGPU.csdata,"",@progbits
; Kernel info:
; codeLenInByte = 2932
; NumSgprs: 26
; NumVgprs: 43
; ScratchSize: 0
; MemoryBound: 0
; FloatMode: 240
; IeeeMode: 1
; LDSByteSize: 4112 bytes/workgroup (compile time only)
; SGPRBlocks: 3
; VGPRBlocks: 5
; NumSGPRsForWavesPerEU: 26
; NumVGPRsForWavesPerEU: 43
; Occupancy: 16
; WaveLimiterHint : 1
; COMPUTE_PGM_RSRC2:SCRATCH_EN: 0
; COMPUTE_PGM_RSRC2:USER_SGPR: 15
; COMPUTE_PGM_RSRC2:TRAP_HANDLER: 0
; COMPUTE_PGM_RSRC2:TGID_X_EN: 1
; COMPUTE_PGM_RSRC2:TGID_Y_EN: 0
; COMPUTE_PGM_RSRC2:TGID_Z_EN: 0
; COMPUTE_PGM_RSRC2:TIDIG_COMP_CNT: 2
	.section	.text._Z17sort_pairs_kernelI22helper_blocked_stripediLj128ELj4ELj10EEvPKT0_PS1_,"axG",@progbits,_Z17sort_pairs_kernelI22helper_blocked_stripediLj128ELj4ELj10EEvPKT0_PS1_,comdat
	.protected	_Z17sort_pairs_kernelI22helper_blocked_stripediLj128ELj4ELj10EEvPKT0_PS1_ ; -- Begin function _Z17sort_pairs_kernelI22helper_blocked_stripediLj128ELj4ELj10EEvPKT0_PS1_
	.globl	_Z17sort_pairs_kernelI22helper_blocked_stripediLj128ELj4ELj10EEvPKT0_PS1_
	.p2align	8
	.type	_Z17sort_pairs_kernelI22helper_blocked_stripediLj128ELj4ELj10EEvPKT0_PS1_,@function
_Z17sort_pairs_kernelI22helper_blocked_stripediLj128ELj4ELj10EEvPKT0_PS1_: ; @_Z17sort_pairs_kernelI22helper_blocked_stripediLj128ELj4ELj10EEvPKT0_PS1_
; %bb.0:
	s_clause 0x1
	s_load_b128 s[16:19], s[0:1], 0x0
	s_load_b32 s14, s[0:1], 0x1c
	v_mbcnt_lo_u32_b32 v10, -1, 0
	s_mov_b32 s23, 0
	s_lshl_b32 s22, s15, 9
	v_bfe_u32 v7, v0, 10, 10
	s_lshl_b64 s[20:21], s[22:23], 2
	s_mov_b32 s22, s23
	s_delay_alu instid0(SALU_CYCLE_1) | instskip(SKIP_4) | instid1(VALU_DEP_4)
	v_dual_mov_b32 v8, s22 :: v_dual_and_b32 v5, 0x3ff, v0
	v_add_nc_u32_e32 v13, -1, v10
	v_bfe_u32 v0, v0, 20, 10
	v_dual_mov_b32 v9, s23 :: v_dual_and_b32 v6, 3, v10
	v_and_b32_e32 v11, 15, v10
	v_cmp_gt_i32_e32 vcc_lo, 0, v13
	v_lshlrev_b32_e32 v1, 4, v5
	v_lshlrev_b32_e32 v14, 2, v5
	v_cmp_eq_u32_e64 s2, 2, v6
	v_cmp_eq_u32_e64 s3, 1, v6
	s_waitcnt lgkmcnt(0)
	s_add_u32 s0, s16, s20
	s_addc_u32 s1, s17, s21
	s_mov_b32 s16, s23
	s_mov_b32 s17, s23
	v_and_b32_e32 v12, 16, v10
	s_lshr_b32 s13, s14, 16
	s_and_b32 s14, s14, 0xffff
	v_mad_u32_u24 v0, v0, s13, v7
	v_cmp_eq_u32_e64 s4, 0, v6
	v_cmp_eq_u32_e64 s9, 0, v12
	v_cndmask_b32_e32 v12, v13, v10, vcc_lo
	global_load_b128 v[1:4], v1, s[0:1]
	v_lshrrev_b32_e32 v13, 3, v5
	v_cmp_eq_u32_e64 s1, 3, v6
	v_cmp_lt_u32_e64 s13, 1, v6
	v_mad_u64_u32 v[6:7], null, v0, s14, v[5:6]
	v_cmp_eq_u32_e64 s5, 0, v11
	v_cmp_lt_u32_e64 s6, 1, v11
	v_cmp_lt_u32_e64 s7, 3, v11
	v_cmp_lt_u32_e64 s8, 7, v11
	v_or_b32_e32 v11, 31, v5
	v_and_b32_e32 v15, 28, v10
	v_lshlrev_b32_e32 v19, 5, v5
	v_and_b32_e32 v21, 12, v13
	v_and_or_b32 v0, 0x180, v14, v10
	v_cmp_eq_u32_e64 s0, 0, v10
	v_cmp_eq_u32_e64 s14, v11, v5
	v_mov_b32_e32 v10, s16
	v_or_b32_e32 v16, 32, v15
	v_or_b32_e32 v17, 64, v15
	;; [unrolled: 1-line block ×3, first 2 shown]
	v_cmp_gt_u32_e64 s10, 4, v5
	v_cmp_lt_u32_e64 s11, 31, v5
	v_cmp_eq_u32_e64 s12, 0, v5
	v_mul_i32_i24_e32 v20, 0xffffffe4, v5
	v_or_b32_e32 v22, 16, v19
	v_lshlrev_b32_e32 v23, 2, v12
	v_add_nc_u32_e32 v24, -4, v21
	v_lshlrev_b32_e32 v25, 2, v0
	v_lshrrev_b32_e32 v26, 5, v6
	s_waitcnt vmcnt(0)
	v_dual_mov_b32 v11, s17 :: v_dual_add_nc_u32 v12, 1, v1
	v_add_nc_u32_e32 v13, 1, v2
	v_add_nc_u32_e32 v5, 1, v3
	;; [unrolled: 1-line block ×3, first 2 shown]
	s_branch .LBB205_2
.LBB205_1:                              ;   in Loop: Header=BB205_2 Depth=1
	v_lshlrev_b32_e32 v0, 2, v37
	v_lshlrev_b32_e32 v5, 2, v35
	;; [unrolled: 1-line block ×3, first 2 shown]
	s_barrier
	buffer_gl0_inv
	v_lshlrev_b32_e32 v7, 2, v33
	ds_store_b32 v0, v12
	ds_store_b32 v5, v32
	;; [unrolled: 1-line block ×3, first 2 shown]
	v_add_nc_u32_e32 v31, v19, v20
	s_add_i32 s23, s23, 1
	ds_store_b32 v7, v30
	s_waitcnt lgkmcnt(0)
	s_barrier
	buffer_gl0_inv
	ds_load_2addr_stride64_b32 v[1:2], v31 offset1:2
	ds_load_2addr_stride64_b32 v[3:4], v31 offset0:4 offset1:6
	s_waitcnt lgkmcnt(0)
	s_barrier
	buffer_gl0_inv
	ds_store_b32 v0, v29
	ds_store_b32 v5, v28
	;; [unrolled: 1-line block ×4, first 2 shown]
	s_waitcnt lgkmcnt(0)
	s_barrier
	buffer_gl0_inv
	ds_load_2addr_stride64_b32 v[12:13], v31 offset1:2
	ds_load_2addr_stride64_b32 v[5:6], v31 offset0:4 offset1:6
	s_cmp_eq_u32 s23, 10
	v_xor_b32_e32 v1, 0x80000000, v1
	v_xor_b32_e32 v2, 0x80000000, v2
	;; [unrolled: 1-line block ×4, first 2 shown]
	s_cbranch_scc1 .LBB205_20
.LBB205_2:                              ; =>This Loop Header: Depth=1
                                        ;     Child Loop BB205_4 Depth 2
	v_xor_b32_e32 v0, 0x80000000, v1
	v_xor_b32_e32 v1, 0x80000000, v2
	;; [unrolled: 1-line block ×4, first 2 shown]
	s_waitcnt lgkmcnt(1)
	ds_bpermute_b32 v34, v15, v12
	ds_bpermute_b32 v3, v15, v0
	ds_bpermute_b32 v7, v15, v1
	ds_bpermute_b32 v27, v16, v0
	ds_bpermute_b32 v28, v16, v1
	ds_bpermute_b32 v29, v17, v0
	ds_bpermute_b32 v30, v17, v1
	ds_bpermute_b32 v32, v16, v2
	ds_bpermute_b32 v31, v15, v2
	ds_bpermute_b32 v33, v17, v2
	ds_bpermute_b32 v35, v15, v13
	ds_bpermute_b32 v36, v16, v12
	ds_bpermute_b32 v37, v16, v13
	ds_bpermute_b32 v38, v17, v12
	ds_bpermute_b32 v39, v17, v13
	ds_bpermute_b32 v12, v18, v12
	ds_bpermute_b32 v42, v17, v4
	ds_bpermute_b32 v40, v15, v4
	ds_bpermute_b32 v41, v16, v4
	ds_bpermute_b32 v4, v18, v4
	s_waitcnt lgkmcnt(20)
	ds_bpermute_b32 v43, v17, v6
	ds_bpermute_b32 v44, v18, v6
	s_waitcnt lgkmcnt(19)
	v_cndmask_b32_e64 v3, v3, v7, s3
	s_mov_b32 s16, 0
	s_waitcnt lgkmcnt(17)
	v_cndmask_b32_e64 v7, v27, v28, s3
	ds_bpermute_b32 v28, v18, v0
	s_waitcnt lgkmcnt(16)
	v_cndmask_b32_e64 v27, v29, v30, s3
	ds_bpermute_b32 v29, v18, v1
	s_waitcnt lgkmcnt(15)
	v_cndmask_b32_e64 v0, v3, v31, s2
	v_cndmask_b32_e64 v1, v7, v32, s2
	ds_bpermute_b32 v7, v18, v13
	s_waitcnt lgkmcnt(15)
	v_cndmask_b32_e64 v3, v27, v33, s2
	ds_bpermute_b32 v13, v18, v2
	ds_bpermute_b32 v27, v15, v5
	;; [unrolled: 1-line block ×7, first 2 shown]
	s_waitcnt lgkmcnt(15)
	v_cndmask_b32_e64 v2, v3, v42, s1
	v_cndmask_b32_e64 v6, v34, v35, s3
	s_waitcnt lgkmcnt(14)
	v_cndmask_b32_e64 v0, v0, v40, s1
	s_waitcnt lgkmcnt(13)
	;; [unrolled: 2-line block ×3, first 2 shown]
	s_barrier
	v_cndmask_b32_e64 v3, v28, v29, s3
	v_cndmask_b32_e64 v28, v36, v37, s3
	;; [unrolled: 1-line block ×4, first 2 shown]
	s_delay_alu instid0(VALU_DEP_4)
	v_cndmask_b32_e64 v3, v3, v13, s2
	v_cndmask_b32_e64 v6, v6, v27, s2
	;; [unrolled: 1-line block ×10, first 2 shown]
	s_branch .LBB205_4
.LBB205_3:                              ;   in Loop: Header=BB205_4 Depth=2
	v_lshlrev_b32_e32 v4, 2, v37
	v_lshlrev_b32_e32 v5, 2, v35
	;; [unrolled: 1-line block ×4, first 2 shown]
	s_barrier
	buffer_gl0_inv
	ds_store_b32 v4, v12
	ds_store_b32 v5, v32
	;; [unrolled: 1-line block ×4, first 2 shown]
	s_waitcnt lgkmcnt(0)
	s_barrier
	buffer_gl0_inv
	ds_load_2addr_b32 v[0:1], v25 offset1:32
	ds_load_2addr_b32 v[2:3], v25 offset0:64 offset1:96
	s_waitcnt lgkmcnt(0)
	s_barrier
	buffer_gl0_inv
	ds_store_b32 v4, v29
	ds_store_b32 v5, v28
	;; [unrolled: 1-line block ×4, first 2 shown]
	s_waitcnt lgkmcnt(0)
	s_barrier
	buffer_gl0_inv
	ds_load_2addr_b32 v[4:5], v25 offset1:32
	ds_load_2addr_b32 v[6:7], v25 offset0:64 offset1:96
	s_add_i32 s16, s16, 8
	s_waitcnt lgkmcnt(0)
	s_barrier
	s_cbranch_execz .LBB205_1
.LBB205_4:                              ;   Parent Loop BB205_2 Depth=1
                                        ; =>  This Inner Loop Header: Depth=2
	v_mov_b32_e32 v12, v0
	buffer_gl0_inv
	ds_store_2addr_b64 v19, v[8:9], v[10:11] offset0:2 offset1:3
	ds_store_2addr_b64 v22, v[8:9], v[10:11] offset0:2 offset1:3
	s_waitcnt lgkmcnt(0)
	s_barrier
	v_lshrrev_b32_e32 v13, s16, v12
	buffer_gl0_inv
	; wave barrier
	v_lshlrev_b32_e32 v29, 29, v13
	v_bfe_u32 v0, v12, s16, 1
	v_lshlrev_b32_e32 v28, 30, v13
	v_lshlrev_b32_e32 v30, 28, v13
	;; [unrolled: 1-line block ×4, first 2 shown]
	v_add_co_u32 v0, s15, v0, -1
	s_delay_alu instid0(VALU_DEP_1) | instskip(SKIP_3) | instid1(VALU_DEP_4)
	v_cndmask_b32_e64 v27, 0, 1, s15
	v_cmp_gt_i32_e64 s15, 0, v28
	v_lshlrev_b32_e32 v33, 25, v13
	v_lshlrev_b32_e32 v13, 24, v13
	v_cmp_ne_u32_e32 vcc_lo, 0, v27
	v_not_b32_e32 v27, v28
	v_not_b32_e32 v28, v29
	v_xor_b32_e32 v0, vcc_lo, v0
	s_delay_alu instid0(VALU_DEP_3)
	v_ashrrev_i32_e32 v27, 31, v27
	v_cmp_gt_i32_e32 vcc_lo, 0, v29
	v_not_b32_e32 v29, v30
	v_ashrrev_i32_e32 v28, 31, v28
	v_and_b32_e32 v0, exec_lo, v0
	v_xor_b32_e32 v27, s15, v27
	v_cmp_gt_i32_e64 s15, 0, v30
	v_not_b32_e32 v30, v31
	v_ashrrev_i32_e32 v29, 31, v29
	v_xor_b32_e32 v28, vcc_lo, v28
	v_and_b32_e32 v0, v0, v27
	v_cmp_gt_i32_e32 vcc_lo, 0, v31
	v_not_b32_e32 v27, v32
	v_ashrrev_i32_e32 v30, 31, v30
	v_xor_b32_e32 v29, s15, v29
	v_and_b32_e32 v0, v0, v28
	v_cmp_gt_i32_e64 s15, 0, v32
	v_ashrrev_i32_e32 v27, 31, v27
	v_xor_b32_e32 v30, vcc_lo, v30
	v_mov_b32_e32 v32, v1
	v_not_b32_e32 v28, v33
	v_and_b32_e32 v0, v0, v29
	v_cmp_gt_i32_e32 vcc_lo, 0, v33
	v_xor_b32_e32 v27, s15, v27
	v_bfe_u32 v1, v12, s16, 8
	v_ashrrev_i32_e32 v28, 31, v28
	v_and_b32_e32 v0, v0, v30
	v_dual_mov_b32 v30, v3 :: v_dual_mov_b32 v31, v2
	s_delay_alu instid0(VALU_DEP_4) | instskip(NEXT) | instid1(VALU_DEP_4)
	v_lshl_add_u32 v1, v1, 2, v26
	v_xor_b32_e32 v28, vcc_lo, v28
	s_delay_alu instid0(VALU_DEP_4) | instskip(NEXT) | instid1(VALU_DEP_3)
	v_dual_mov_b32 v27, v6 :: v_dual_and_b32 v0, v0, v27
	v_lshl_add_u32 v34, v1, 2, 16
	s_delay_alu instid0(VALU_DEP_2) | instskip(SKIP_3) | instid1(VALU_DEP_2)
	v_and_b32_e32 v0, v0, v28
	v_mov_b32_e32 v28, v5
	v_not_b32_e32 v29, v13
	v_cmp_gt_i32_e64 s15, 0, v13
	v_ashrrev_i32_e32 v13, 31, v29
	v_mov_b32_e32 v29, v4
	s_delay_alu instid0(VALU_DEP_2) | instskip(NEXT) | instid1(VALU_DEP_1)
	v_xor_b32_e32 v3, s15, v13
	v_dual_mov_b32 v13, v7 :: v_dual_and_b32 v0, v0, v3
	s_delay_alu instid0(VALU_DEP_1) | instskip(SKIP_1) | instid1(VALU_DEP_2)
	v_mbcnt_lo_u32_b32 v33, v0, 0
	v_cmp_ne_u32_e64 s15, 0, v0
	v_cmp_eq_u32_e32 vcc_lo, 0, v33
	s_delay_alu instid0(VALU_DEP_2) | instskip(NEXT) | instid1(SALU_CYCLE_1)
	s_and_b32 s17, s15, vcc_lo
	s_and_saveexec_b32 s15, s17
	s_cbranch_execz .LBB205_6
; %bb.5:                                ;   in Loop: Header=BB205_4 Depth=2
	v_bcnt_u32_b32 v0, v0, 0
	ds_store_b32 v34, v0
.LBB205_6:                              ;   in Loop: Header=BB205_4 Depth=2
	s_or_b32 exec_lo, exec_lo, s15
	v_bfe_u32 v0, v32, s16, 1
	v_lshrrev_b32_e32 v1, s16, v32
	; wave barrier
	s_delay_alu instid0(VALU_DEP_2) | instskip(NEXT) | instid1(VALU_DEP_1)
	v_add_co_u32 v0, s15, v0, -1
	v_cndmask_b32_e64 v2, 0, 1, s15
	s_delay_alu instid0(VALU_DEP_3)
	v_lshlrev_b32_e32 v3, 30, v1
	v_lshlrev_b32_e32 v4, 29, v1
	;; [unrolled: 1-line block ×4, first 2 shown]
	v_cmp_ne_u32_e32 vcc_lo, 0, v2
	v_not_b32_e32 v2, v3
	v_cmp_gt_i32_e64 s15, 0, v3
	v_not_b32_e32 v3, v4
	v_lshlrev_b32_e32 v7, 26, v1
	v_xor_b32_e32 v0, vcc_lo, v0
	v_ashrrev_i32_e32 v2, 31, v2
	v_cmp_gt_i32_e32 vcc_lo, 0, v4
	v_not_b32_e32 v4, v5
	v_ashrrev_i32_e32 v3, 31, v3
	v_and_b32_e32 v0, exec_lo, v0
	v_xor_b32_e32 v2, s15, v2
	v_cmp_gt_i32_e64 s15, 0, v5
	v_not_b32_e32 v5, v6
	v_ashrrev_i32_e32 v4, 31, v4
	v_xor_b32_e32 v3, vcc_lo, v3
	v_and_b32_e32 v0, v0, v2
	v_cmp_gt_i32_e32 vcc_lo, 0, v6
	v_not_b32_e32 v2, v7
	v_ashrrev_i32_e32 v5, 31, v5
	v_xor_b32_e32 v4, s15, v4
	v_and_b32_e32 v0, v0, v3
	v_lshlrev_b32_e32 v3, 25, v1
	v_cmp_gt_i32_e64 s15, 0, v7
	v_ashrrev_i32_e32 v2, 31, v2
	v_xor_b32_e32 v5, vcc_lo, v5
	v_and_b32_e32 v0, v0, v4
	v_not_b32_e32 v6, v3
	v_lshlrev_b32_e32 v1, 24, v1
	v_bfe_u32 v4, v32, s16, 8
	v_xor_b32_e32 v2, s15, v2
	v_and_b32_e32 v0, v0, v5
	v_cmp_gt_i32_e32 vcc_lo, 0, v3
	v_ashrrev_i32_e32 v3, 31, v6
	v_not_b32_e32 v5, v1
	v_lshlrev_b32_e32 v4, 2, v4
	v_and_b32_e32 v0, v0, v2
	s_delay_alu instid0(VALU_DEP_4) | instskip(SKIP_3) | instid1(VALU_DEP_4)
	v_xor_b32_e32 v2, vcc_lo, v3
	v_cmp_gt_i32_e32 vcc_lo, 0, v1
	v_ashrrev_i32_e32 v1, 31, v5
	v_add_lshl_u32 v3, v4, v26, 2
	v_and_b32_e32 v0, v0, v2
	s_delay_alu instid0(VALU_DEP_3) | instskip(SKIP_3) | instid1(VALU_DEP_1)
	v_xor_b32_e32 v1, vcc_lo, v1
	ds_load_b32 v35, v3 offset:16
	v_add_nc_u32_e32 v37, 16, v3
	; wave barrier
	v_and_b32_e32 v0, v0, v1
	v_mbcnt_lo_u32_b32 v36, v0, 0
	v_cmp_ne_u32_e64 s15, 0, v0
	s_delay_alu instid0(VALU_DEP_2) | instskip(NEXT) | instid1(VALU_DEP_2)
	v_cmp_eq_u32_e32 vcc_lo, 0, v36
	s_and_b32 s17, s15, vcc_lo
	s_delay_alu instid0(SALU_CYCLE_1)
	s_and_saveexec_b32 s15, s17
	s_cbranch_execz .LBB205_8
; %bb.7:                                ;   in Loop: Header=BB205_4 Depth=2
	s_waitcnt lgkmcnt(0)
	v_bcnt_u32_b32 v0, v0, v35
	ds_store_b32 v37, v0
.LBB205_8:                              ;   in Loop: Header=BB205_4 Depth=2
	s_or_b32 exec_lo, exec_lo, s15
	v_bfe_u32 v0, v31, s16, 1
	v_lshrrev_b32_e32 v1, s16, v31
	; wave barrier
	s_delay_alu instid0(VALU_DEP_2) | instskip(NEXT) | instid1(VALU_DEP_1)
	v_add_co_u32 v0, s15, v0, -1
	v_cndmask_b32_e64 v2, 0, 1, s15
	s_delay_alu instid0(VALU_DEP_3)
	v_lshlrev_b32_e32 v3, 30, v1
	v_lshlrev_b32_e32 v4, 29, v1
	;; [unrolled: 1-line block ×4, first 2 shown]
	v_cmp_ne_u32_e32 vcc_lo, 0, v2
	v_not_b32_e32 v2, v3
	v_cmp_gt_i32_e64 s15, 0, v3
	v_not_b32_e32 v3, v4
	v_lshlrev_b32_e32 v7, 26, v1
	v_xor_b32_e32 v0, vcc_lo, v0
	v_ashrrev_i32_e32 v2, 31, v2
	v_cmp_gt_i32_e32 vcc_lo, 0, v4
	v_not_b32_e32 v4, v5
	v_ashrrev_i32_e32 v3, 31, v3
	v_and_b32_e32 v0, exec_lo, v0
	v_xor_b32_e32 v2, s15, v2
	v_cmp_gt_i32_e64 s15, 0, v5
	v_not_b32_e32 v5, v6
	v_ashrrev_i32_e32 v4, 31, v4
	v_xor_b32_e32 v3, vcc_lo, v3
	v_and_b32_e32 v0, v0, v2
	v_cmp_gt_i32_e32 vcc_lo, 0, v6
	v_not_b32_e32 v2, v7
	v_ashrrev_i32_e32 v5, 31, v5
	v_xor_b32_e32 v4, s15, v4
	v_and_b32_e32 v0, v0, v3
	v_lshlrev_b32_e32 v3, 25, v1
	v_cmp_gt_i32_e64 s15, 0, v7
	v_ashrrev_i32_e32 v2, 31, v2
	v_xor_b32_e32 v5, vcc_lo, v5
	v_and_b32_e32 v0, v0, v4
	v_not_b32_e32 v6, v3
	v_lshlrev_b32_e32 v1, 24, v1
	v_bfe_u32 v4, v31, s16, 8
	v_xor_b32_e32 v2, s15, v2
	v_and_b32_e32 v0, v0, v5
	v_cmp_gt_i32_e32 vcc_lo, 0, v3
	v_ashrrev_i32_e32 v3, 31, v6
	v_not_b32_e32 v5, v1
	v_lshlrev_b32_e32 v4, 2, v4
	v_and_b32_e32 v0, v0, v2
	s_delay_alu instid0(VALU_DEP_4) | instskip(SKIP_3) | instid1(VALU_DEP_4)
	v_xor_b32_e32 v2, vcc_lo, v3
	v_cmp_gt_i32_e32 vcc_lo, 0, v1
	v_ashrrev_i32_e32 v1, 31, v5
	v_add_lshl_u32 v3, v4, v26, 2
	v_and_b32_e32 v0, v0, v2
	s_delay_alu instid0(VALU_DEP_3) | instskip(SKIP_3) | instid1(VALU_DEP_1)
	v_xor_b32_e32 v1, vcc_lo, v1
	ds_load_b32 v38, v3 offset:16
	v_add_nc_u32_e32 v40, 16, v3
	; wave barrier
	v_and_b32_e32 v0, v0, v1
	v_mbcnt_lo_u32_b32 v39, v0, 0
	v_cmp_ne_u32_e64 s15, 0, v0
	s_delay_alu instid0(VALU_DEP_2) | instskip(NEXT) | instid1(VALU_DEP_2)
	v_cmp_eq_u32_e32 vcc_lo, 0, v39
	s_and_b32 s17, s15, vcc_lo
	s_delay_alu instid0(SALU_CYCLE_1)
	s_and_saveexec_b32 s15, s17
	s_cbranch_execz .LBB205_10
; %bb.9:                                ;   in Loop: Header=BB205_4 Depth=2
	s_waitcnt lgkmcnt(0)
	v_bcnt_u32_b32 v0, v0, v38
	ds_store_b32 v40, v0
.LBB205_10:                             ;   in Loop: Header=BB205_4 Depth=2
	s_or_b32 exec_lo, exec_lo, s15
	v_bfe_u32 v0, v30, s16, 1
	v_lshrrev_b32_e32 v1, s16, v30
	; wave barrier
	s_delay_alu instid0(VALU_DEP_2) | instskip(NEXT) | instid1(VALU_DEP_1)
	v_add_co_u32 v0, s15, v0, -1
	v_cndmask_b32_e64 v2, 0, 1, s15
	s_delay_alu instid0(VALU_DEP_3)
	v_lshlrev_b32_e32 v3, 30, v1
	v_lshlrev_b32_e32 v4, 29, v1
	;; [unrolled: 1-line block ×4, first 2 shown]
	v_cmp_ne_u32_e32 vcc_lo, 0, v2
	v_not_b32_e32 v2, v3
	v_cmp_gt_i32_e64 s15, 0, v3
	v_not_b32_e32 v3, v4
	v_lshlrev_b32_e32 v7, 26, v1
	v_xor_b32_e32 v0, vcc_lo, v0
	v_ashrrev_i32_e32 v2, 31, v2
	v_cmp_gt_i32_e32 vcc_lo, 0, v4
	v_not_b32_e32 v4, v5
	v_ashrrev_i32_e32 v3, 31, v3
	v_and_b32_e32 v0, exec_lo, v0
	v_xor_b32_e32 v2, s15, v2
	v_cmp_gt_i32_e64 s15, 0, v5
	v_not_b32_e32 v5, v6
	v_ashrrev_i32_e32 v4, 31, v4
	v_xor_b32_e32 v3, vcc_lo, v3
	v_and_b32_e32 v0, v0, v2
	v_cmp_gt_i32_e32 vcc_lo, 0, v6
	v_not_b32_e32 v2, v7
	v_ashrrev_i32_e32 v5, 31, v5
	v_xor_b32_e32 v4, s15, v4
	v_and_b32_e32 v0, v0, v3
	v_lshlrev_b32_e32 v3, 25, v1
	v_cmp_gt_i32_e64 s15, 0, v7
	v_ashrrev_i32_e32 v2, 31, v2
	v_xor_b32_e32 v5, vcc_lo, v5
	v_and_b32_e32 v0, v0, v4
	v_not_b32_e32 v6, v3
	v_lshlrev_b32_e32 v1, 24, v1
	v_bfe_u32 v4, v30, s16, 8
	v_xor_b32_e32 v2, s15, v2
	v_and_b32_e32 v0, v0, v5
	v_cmp_gt_i32_e32 vcc_lo, 0, v3
	v_ashrrev_i32_e32 v3, 31, v6
	v_not_b32_e32 v5, v1
	v_lshlrev_b32_e32 v4, 2, v4
	v_and_b32_e32 v0, v0, v2
	s_delay_alu instid0(VALU_DEP_4) | instskip(SKIP_3) | instid1(VALU_DEP_4)
	v_xor_b32_e32 v2, vcc_lo, v3
	v_cmp_gt_i32_e32 vcc_lo, 0, v1
	v_ashrrev_i32_e32 v1, 31, v5
	v_add_lshl_u32 v3, v4, v26, 2
	v_and_b32_e32 v0, v0, v2
	s_delay_alu instid0(VALU_DEP_3) | instskip(SKIP_3) | instid1(VALU_DEP_1)
	v_xor_b32_e32 v1, vcc_lo, v1
	ds_load_b32 v41, v3 offset:16
	v_add_nc_u32_e32 v43, 16, v3
	; wave barrier
	v_and_b32_e32 v0, v0, v1
	v_mbcnt_lo_u32_b32 v42, v0, 0
	v_cmp_ne_u32_e64 s15, 0, v0
	s_delay_alu instid0(VALU_DEP_2) | instskip(NEXT) | instid1(VALU_DEP_2)
	v_cmp_eq_u32_e32 vcc_lo, 0, v42
	s_and_b32 s17, s15, vcc_lo
	s_delay_alu instid0(SALU_CYCLE_1)
	s_and_saveexec_b32 s15, s17
	s_cbranch_execz .LBB205_12
; %bb.11:                               ;   in Loop: Header=BB205_4 Depth=2
	s_waitcnt lgkmcnt(0)
	v_bcnt_u32_b32 v0, v0, v41
	ds_store_b32 v43, v0
.LBB205_12:                             ;   in Loop: Header=BB205_4 Depth=2
	s_or_b32 exec_lo, exec_lo, s15
	; wave barrier
	s_waitcnt lgkmcnt(0)
	s_barrier
	buffer_gl0_inv
	ds_load_2addr_b64 v[4:7], v19 offset0:2 offset1:3
	ds_load_2addr_b64 v[0:3], v22 offset0:2 offset1:3
	s_waitcnt lgkmcnt(1)
	v_add_nc_u32_e32 v44, v5, v4
	s_delay_alu instid0(VALU_DEP_1) | instskip(SKIP_1) | instid1(VALU_DEP_1)
	v_add3_u32 v44, v44, v6, v7
	s_waitcnt lgkmcnt(0)
	v_add3_u32 v44, v44, v0, v1
	s_delay_alu instid0(VALU_DEP_1) | instskip(NEXT) | instid1(VALU_DEP_1)
	v_add3_u32 v3, v44, v2, v3
	v_mov_b32_dpp v44, v3 row_shr:1 row_mask:0xf bank_mask:0xf
	s_delay_alu instid0(VALU_DEP_1) | instskip(NEXT) | instid1(VALU_DEP_1)
	v_cndmask_b32_e64 v44, v44, 0, s5
	v_add_nc_u32_e32 v3, v44, v3
	s_delay_alu instid0(VALU_DEP_1) | instskip(NEXT) | instid1(VALU_DEP_1)
	v_mov_b32_dpp v44, v3 row_shr:2 row_mask:0xf bank_mask:0xf
	v_cndmask_b32_e64 v44, 0, v44, s6
	s_delay_alu instid0(VALU_DEP_1) | instskip(NEXT) | instid1(VALU_DEP_1)
	v_add_nc_u32_e32 v3, v3, v44
	v_mov_b32_dpp v44, v3 row_shr:4 row_mask:0xf bank_mask:0xf
	s_delay_alu instid0(VALU_DEP_1) | instskip(NEXT) | instid1(VALU_DEP_1)
	v_cndmask_b32_e64 v44, 0, v44, s7
	v_add_nc_u32_e32 v3, v3, v44
	s_delay_alu instid0(VALU_DEP_1) | instskip(NEXT) | instid1(VALU_DEP_1)
	v_mov_b32_dpp v44, v3 row_shr:8 row_mask:0xf bank_mask:0xf
	v_cndmask_b32_e64 v44, 0, v44, s8
	s_delay_alu instid0(VALU_DEP_1) | instskip(SKIP_3) | instid1(VALU_DEP_1)
	v_add_nc_u32_e32 v3, v3, v44
	ds_swizzle_b32 v44, v3 offset:swizzle(BROADCAST,32,15)
	s_waitcnt lgkmcnt(0)
	v_cndmask_b32_e64 v44, v44, 0, s9
	v_add_nc_u32_e32 v3, v3, v44
	s_and_saveexec_b32 s15, s14
	s_cbranch_execz .LBB205_14
; %bb.13:                               ;   in Loop: Header=BB205_4 Depth=2
	ds_store_b32 v21, v3
.LBB205_14:                             ;   in Loop: Header=BB205_4 Depth=2
	s_or_b32 exec_lo, exec_lo, s15
	s_waitcnt lgkmcnt(0)
	s_barrier
	buffer_gl0_inv
	s_and_saveexec_b32 s15, s10
	s_cbranch_execz .LBB205_16
; %bb.15:                               ;   in Loop: Header=BB205_4 Depth=2
	v_add_nc_u32_e32 v44, v19, v20
	ds_load_b32 v45, v44
	s_waitcnt lgkmcnt(0)
	v_mov_b32_dpp v46, v45 row_shr:1 row_mask:0xf bank_mask:0xf
	s_delay_alu instid0(VALU_DEP_1) | instskip(NEXT) | instid1(VALU_DEP_1)
	v_cndmask_b32_e64 v46, v46, 0, s4
	v_add_nc_u32_e32 v45, v46, v45
	s_delay_alu instid0(VALU_DEP_1) | instskip(NEXT) | instid1(VALU_DEP_1)
	v_mov_b32_dpp v46, v45 row_shr:2 row_mask:0xf bank_mask:0xf
	v_cndmask_b32_e64 v46, 0, v46, s13
	s_delay_alu instid0(VALU_DEP_1)
	v_add_nc_u32_e32 v45, v45, v46
	ds_store_b32 v44, v45
.LBB205_16:                             ;   in Loop: Header=BB205_4 Depth=2
	s_or_b32 exec_lo, exec_lo, s15
	v_mov_b32_e32 v44, 0
	s_waitcnt lgkmcnt(0)
	s_barrier
	buffer_gl0_inv
	s_and_saveexec_b32 s15, s11
	s_cbranch_execz .LBB205_18
; %bb.17:                               ;   in Loop: Header=BB205_4 Depth=2
	ds_load_b32 v44, v24
.LBB205_18:                             ;   in Loop: Header=BB205_4 Depth=2
	s_or_b32 exec_lo, exec_lo, s15
	s_waitcnt lgkmcnt(0)
	v_add_nc_u32_e32 v3, v44, v3
	s_cmp_gt_u32 s16, 23
	ds_bpermute_b32 v3, v23, v3
	s_waitcnt lgkmcnt(0)
	v_cndmask_b32_e64 v3, v3, v44, s0
	s_delay_alu instid0(VALU_DEP_1) | instskip(NEXT) | instid1(VALU_DEP_1)
	v_cndmask_b32_e64 v3, v3, 0, s12
	v_add_nc_u32_e32 v4, v3, v4
	s_delay_alu instid0(VALU_DEP_1) | instskip(NEXT) | instid1(VALU_DEP_1)
	v_add_nc_u32_e32 v5, v4, v5
	v_add_nc_u32_e32 v6, v5, v6
	s_delay_alu instid0(VALU_DEP_1) | instskip(NEXT) | instid1(VALU_DEP_1)
	v_add_nc_u32_e32 v44, v6, v7
	;; [unrolled: 3-line block ×3, first 2 shown]
	v_add_nc_u32_e32 v1, v0, v2
	ds_store_2addr_b64 v19, v[3:4], v[5:6] offset0:2 offset1:3
	ds_store_2addr_b64 v22, v[44:45], v[0:1] offset0:2 offset1:3
	s_waitcnt lgkmcnt(0)
	s_barrier
	buffer_gl0_inv
	ds_load_b32 v0, v34
	ds_load_b32 v1, v37
	;; [unrolled: 1-line block ×4, first 2 shown]
	s_waitcnt lgkmcnt(3)
	v_add_nc_u32_e32 v37, v0, v33
	s_waitcnt lgkmcnt(2)
	v_add3_u32 v35, v36, v35, v1
	s_waitcnt lgkmcnt(1)
	v_add3_u32 v34, v39, v38, v2
	;; [unrolled: 2-line block ×3, first 2 shown]
	s_cbranch_scc0 .LBB205_3
; %bb.19:                               ;   in Loop: Header=BB205_2 Depth=1
                                        ; implicit-def: $vgpr3
                                        ; implicit-def: $vgpr1
                                        ; implicit-def: $vgpr7
                                        ; implicit-def: $vgpr5
                                        ; implicit-def: $sgpr16
	s_branch .LBB205_1
.LBB205_20:
	s_waitcnt lgkmcnt(1)
	v_add_nc_u32_e32 v0, v1, v12
	v_add_nc_u32_e32 v1, v2, v13
	s_waitcnt lgkmcnt(0)
	v_add_nc_u32_e32 v2, v3, v5
	s_add_u32 s0, s18, s20
	v_add_nc_u32_e32 v3, v4, v6
	s_addc_u32 s1, s19, s21
	s_clause 0x3
	global_store_b32 v14, v0, s[0:1]
	global_store_b32 v14, v1, s[0:1] offset:512
	global_store_b32 v14, v2, s[0:1] offset:1024
	;; [unrolled: 1-line block ×3, first 2 shown]
	s_nop 0
	s_sendmsg sendmsg(MSG_DEALLOC_VGPRS)
	s_endpgm
	.section	.rodata,"a",@progbits
	.p2align	6, 0x0
	.amdhsa_kernel _Z17sort_pairs_kernelI22helper_blocked_stripediLj128ELj4ELj10EEvPKT0_PS1_
		.amdhsa_group_segment_fixed_size 4112
		.amdhsa_private_segment_fixed_size 0
		.amdhsa_kernarg_size 272
		.amdhsa_user_sgpr_count 15
		.amdhsa_user_sgpr_dispatch_ptr 0
		.amdhsa_user_sgpr_queue_ptr 0
		.amdhsa_user_sgpr_kernarg_segment_ptr 1
		.amdhsa_user_sgpr_dispatch_id 0
		.amdhsa_user_sgpr_private_segment_size 0
		.amdhsa_wavefront_size32 1
		.amdhsa_uses_dynamic_stack 0
		.amdhsa_enable_private_segment 0
		.amdhsa_system_sgpr_workgroup_id_x 1
		.amdhsa_system_sgpr_workgroup_id_y 0
		.amdhsa_system_sgpr_workgroup_id_z 0
		.amdhsa_system_sgpr_workgroup_info 0
		.amdhsa_system_vgpr_workitem_id 2
		.amdhsa_next_free_vgpr 47
		.amdhsa_next_free_sgpr 24
		.amdhsa_reserve_vcc 1
		.amdhsa_float_round_mode_32 0
		.amdhsa_float_round_mode_16_64 0
		.amdhsa_float_denorm_mode_32 3
		.amdhsa_float_denorm_mode_16_64 3
		.amdhsa_dx10_clamp 1
		.amdhsa_ieee_mode 1
		.amdhsa_fp16_overflow 0
		.amdhsa_workgroup_processor_mode 1
		.amdhsa_memory_ordered 1
		.amdhsa_forward_progress 0
		.amdhsa_shared_vgpr_count 0
		.amdhsa_exception_fp_ieee_invalid_op 0
		.amdhsa_exception_fp_denorm_src 0
		.amdhsa_exception_fp_ieee_div_zero 0
		.amdhsa_exception_fp_ieee_overflow 0
		.amdhsa_exception_fp_ieee_underflow 0
		.amdhsa_exception_fp_ieee_inexact 0
		.amdhsa_exception_int_div_zero 0
	.end_amdhsa_kernel
	.section	.text._Z17sort_pairs_kernelI22helper_blocked_stripediLj128ELj4ELj10EEvPKT0_PS1_,"axG",@progbits,_Z17sort_pairs_kernelI22helper_blocked_stripediLj128ELj4ELj10EEvPKT0_PS1_,comdat
.Lfunc_end205:
	.size	_Z17sort_pairs_kernelI22helper_blocked_stripediLj128ELj4ELj10EEvPKT0_PS1_, .Lfunc_end205-_Z17sort_pairs_kernelI22helper_blocked_stripediLj128ELj4ELj10EEvPKT0_PS1_
                                        ; -- End function
	.section	.AMDGPU.csdata,"",@progbits
; Kernel info:
; codeLenInByte = 3392
; NumSgprs: 26
; NumVgprs: 47
; ScratchSize: 0
; MemoryBound: 0
; FloatMode: 240
; IeeeMode: 1
; LDSByteSize: 4112 bytes/workgroup (compile time only)
; SGPRBlocks: 3
; VGPRBlocks: 5
; NumSGPRsForWavesPerEU: 26
; NumVGPRsForWavesPerEU: 47
; Occupancy: 16
; WaveLimiterHint : 1
; COMPUTE_PGM_RSRC2:SCRATCH_EN: 0
; COMPUTE_PGM_RSRC2:USER_SGPR: 15
; COMPUTE_PGM_RSRC2:TRAP_HANDLER: 0
; COMPUTE_PGM_RSRC2:TGID_X_EN: 1
; COMPUTE_PGM_RSRC2:TGID_Y_EN: 0
; COMPUTE_PGM_RSRC2:TGID_Z_EN: 0
; COMPUTE_PGM_RSRC2:TIDIG_COMP_CNT: 2
	.section	.text._Z16sort_keys_kernelI22helper_blocked_stripediLj128ELj8ELj10EEvPKT0_PS1_,"axG",@progbits,_Z16sort_keys_kernelI22helper_blocked_stripediLj128ELj8ELj10EEvPKT0_PS1_,comdat
	.protected	_Z16sort_keys_kernelI22helper_blocked_stripediLj128ELj8ELj10EEvPKT0_PS1_ ; -- Begin function _Z16sort_keys_kernelI22helper_blocked_stripediLj128ELj8ELj10EEvPKT0_PS1_
	.globl	_Z16sort_keys_kernelI22helper_blocked_stripediLj128ELj8ELj10EEvPKT0_PS1_
	.p2align	8
	.type	_Z16sort_keys_kernelI22helper_blocked_stripediLj128ELj8ELj10EEvPKT0_PS1_,@function
_Z16sort_keys_kernelI22helper_blocked_stripediLj128ELj8ELj10EEvPKT0_PS1_: ; @_Z16sort_keys_kernelI22helper_blocked_stripediLj128ELj8ELj10EEvPKT0_PS1_
; %bb.0:
	s_clause 0x1
	s_load_b128 s[16:19], s[0:1], 0x0
	s_load_b32 s2, s[0:1], 0x1c
	s_mov_b32 s13, 0
	s_lshl_b32 s12, s15, 10
	v_bfe_u32 v10, v0, 10, 10
	s_lshl_b64 s[14:15], s[12:13], 2
	s_mov_b32 s12, s13
	v_and_b32_e32 v9, 0x3ff, v0
	v_bfe_u32 v0, v0, 20, 10
	v_mbcnt_lo_u32_b32 v12, -1, 0
	s_delay_alu instid0(VALU_DEP_3) | instskip(NEXT) | instid1(VALU_DEP_2)
	v_lshlrev_b32_e32 v14, 5, v9
	v_cmp_eq_u32_e64 s8, 0, v12
	s_waitcnt lgkmcnt(0)
	s_add_u32 s0, s16, s14
	s_addc_u32 s1, s17, s15
	s_mov_b32 s16, s13
	s_clause 0x1
	global_load_b128 v[1:4], v14, s[0:1]
	global_load_b128 v[5:8], v14, s[0:1] offset:16
	s_lshr_b32 s0, s2, 16
	s_mov_b32 s17, s13
	v_mad_u32_u24 v0, v0, s0, v10
	s_and_b32 s0, s2, 0xffff
	v_lshlrev_b32_e32 v15, 3, v9
	s_delay_alu instid0(VALU_DEP_2) | instskip(NEXT) | instid1(VALU_DEP_2)
	v_mad_u64_u32 v[10:11], null, v0, s0, v[9:10]
	v_and_or_b32 v0, 0x300, v15, v12
	v_and_b32_e32 v11, 15, v12
	s_delay_alu instid0(VALU_DEP_1) | instskip(NEXT) | instid1(VALU_DEP_4)
	v_cmp_eq_u32_e64 s0, 0, v11
	v_lshrrev_b32_e32 v18, 5, v10
	v_add_nc_u32_e32 v10, -1, v12
	v_cmp_lt_u32_e64 s1, 1, v11
	v_cmp_lt_u32_e64 s2, 3, v11
	;; [unrolled: 1-line block ×3, first 2 shown]
	s_delay_alu instid0(VALU_DEP_4) | instskip(SKIP_1) | instid1(VALU_DEP_1)
	v_cmp_gt_i32_e32 vcc_lo, 0, v10
	v_and_b32_e32 v13, 0x60, v9
	v_or_b32_e32 v16, v12, v13
	s_delay_alu instid0(VALU_DEP_1) | instskip(SKIP_2) | instid1(VALU_DEP_1)
	v_lshlrev_b32_e32 v15, 5, v16
	v_lshlrev_b32_e32 v16, 2, v0
	v_and_b32_e32 v0, 16, v12
	v_cmp_eq_u32_e64 s4, 0, v0
	v_cndmask_b32_e32 v0, v10, v12, vcc_lo
	v_lshrrev_b32_e32 v10, 3, v9
	v_or_b32_e32 v13, 31, v13
	s_delay_alu instid0(VALU_DEP_3) | instskip(SKIP_1) | instid1(VALU_DEP_4)
	v_lshlrev_b32_e32 v19, 2, v0
	v_and_b32_e32 v0, 3, v12
	v_and_b32_e32 v20, 12, v10
	v_mov_b32_e32 v10, s12
	v_cmp_eq_u32_e64 s5, v13, v9
	v_dual_mov_b32 v12, s16 :: v_dual_mov_b32 v13, s17
	v_cmp_gt_u32_e64 s6, 4, v9
	v_cmp_lt_u32_e64 s7, 31, v9
	v_cmp_eq_u32_e64 s9, 0, v9
	v_mul_i32_i24_e32 v21, 0xffffffe4, v9
	v_cmp_eq_u32_e64 s10, 0, v0
	v_cmp_lt_u32_e64 s11, 1, v0
	v_dual_mov_b32 v11, s13 :: v_dual_add_nc_u32 v22, -4, v20
	v_or_b32_e32 v17, 16, v14
	s_branch .LBB206_2
.LBB206_1:                              ;   in Loop: Header=BB206_2 Depth=1
	v_lshlrev_b32_e32 v0, 2, v40
	v_lshlrev_b32_e32 v1, 2, v37
	s_barrier
	v_lshlrev_b32_e32 v2, 2, v35
	buffer_gl0_inv
	ds_store_b32 v0, v8
	ds_store_b32 v1, v29
	v_lshlrev_b32_e32 v0, 2, v34
	v_lshlrev_b32_e32 v1, 2, v33
	ds_store_b32 v2, v28
	v_add_nc_u32_e32 v7, v14, v21
	v_lshlrev_b32_e32 v2, 2, v32
	ds_store_b32 v0, v27
	v_lshlrev_b32_e32 v0, 2, v30
	v_lshlrev_b32_e32 v3, 2, v31
	ds_store_b32 v1, v26
	ds_store_b32 v2, v25
	;; [unrolled: 1-line block ×4, first 2 shown]
	s_waitcnt lgkmcnt(0)
	s_barrier
	buffer_gl0_inv
	ds_load_2addr_stride64_b32 v[1:2], v7 offset1:2
	ds_load_2addr_stride64_b32 v[3:4], v7 offset0:4 offset1:6
	ds_load_2addr_stride64_b32 v[5:6], v7 offset0:8 offset1:10
	;; [unrolled: 1-line block ×3, first 2 shown]
	s_add_i32 s13, s13, 1
	s_delay_alu instid0(SALU_CYCLE_1)
	s_cmp_eq_u32 s13, 10
	s_waitcnt lgkmcnt(3)
	v_xor_b32_e32 v1, 0x80000000, v1
	v_xor_b32_e32 v2, 0x80000000, v2
	s_waitcnt lgkmcnt(2)
	v_xor_b32_e32 v3, 0x80000000, v3
	v_xor_b32_e32 v4, 0x80000000, v4
	s_waitcnt lgkmcnt(1)
	v_xor_b32_e32 v5, 0x80000000, v5
	v_xor_b32_e32 v6, 0x80000000, v6
	s_waitcnt lgkmcnt(0)
	v_xor_b32_e32 v7, 0x80000000, v7
	v_xor_b32_e32 v8, 0x80000000, v8
	s_cbranch_scc1 .LBB206_28
.LBB206_2:                              ; =>This Loop Header: Depth=1
                                        ;     Child Loop BB206_4 Depth 2
	s_waitcnt vmcnt(1)
	v_xor_b32_e32 v0, 0x80000000, v1
	v_xor_b32_e32 v1, 0x80000000, v2
	;; [unrolled: 1-line block ×4, first 2 shown]
	s_waitcnt vmcnt(0)
	v_xor_b32_e32 v4, 0x80000000, v5
	v_xor_b32_e32 v5, 0x80000000, v6
	;; [unrolled: 1-line block ×4, first 2 shown]
	ds_store_2addr_b64 v15, v[0:1], v[2:3] offset1:1
	ds_store_2addr_b64 v15, v[4:5], v[6:7] offset0:2 offset1:3
	; wave barrier
	ds_load_2addr_b32 v[0:1], v16 offset1:32
	ds_load_2addr_b32 v[2:3], v16 offset0:64 offset1:96
	ds_load_2addr_b32 v[4:5], v16 offset0:128 offset1:160
	;; [unrolled: 1-line block ×3, first 2 shown]
	s_mov_b32 s16, 0
	s_waitcnt lgkmcnt(0)
	s_barrier
	buffer_gl0_inv
	; wave barrier
	s_barrier
	s_branch .LBB206_4
.LBB206_3:                              ;   in Loop: Header=BB206_4 Depth=2
	v_lshlrev_b32_e32 v0, 2, v40
	v_lshlrev_b32_e32 v1, 2, v37
	;; [unrolled: 1-line block ×3, first 2 shown]
	s_barrier
	buffer_gl0_inv
	ds_store_b32 v0, v8
	ds_store_b32 v1, v29
	;; [unrolled: 1-line block ×3, first 2 shown]
	v_lshlrev_b32_e32 v0, 2, v34
	v_lshlrev_b32_e32 v1, 2, v33
	;; [unrolled: 1-line block ×5, first 2 shown]
	ds_store_b32 v0, v27
	ds_store_b32 v1, v26
	;; [unrolled: 1-line block ×5, first 2 shown]
	s_waitcnt lgkmcnt(0)
	s_barrier
	buffer_gl0_inv
	ds_load_2addr_b32 v[0:1], v16 offset1:32
	ds_load_2addr_b32 v[2:3], v16 offset0:64 offset1:96
	ds_load_2addr_b32 v[4:5], v16 offset0:128 offset1:160
	;; [unrolled: 1-line block ×3, first 2 shown]
	s_add_i32 s16, s16, 8
	s_waitcnt lgkmcnt(0)
	s_barrier
	s_cbranch_execz .LBB206_1
.LBB206_4:                              ;   Parent Loop BB206_2 Depth=1
                                        ; =>  This Inner Loop Header: Depth=2
	v_mov_b32_e32 v8, v0
	buffer_gl0_inv
	ds_store_2addr_b64 v14, v[10:11], v[12:13] offset0:2 offset1:3
	ds_store_2addr_b64 v17, v[10:11], v[12:13] offset0:2 offset1:3
	s_waitcnt lgkmcnt(0)
	s_barrier
	v_lshrrev_b32_e32 v23, s16, v8
	buffer_gl0_inv
	; wave barrier
	v_lshlrev_b32_e32 v25, 30, v23
	v_bfe_u32 v0, v8, s16, 1
	v_lshlrev_b32_e32 v26, 29, v23
	v_lshlrev_b32_e32 v27, 28, v23
	;; [unrolled: 1-line block ×4, first 2 shown]
	v_add_co_u32 v0, s12, v0, -1
	s_delay_alu instid0(VALU_DEP_1) | instskip(SKIP_3) | instid1(VALU_DEP_4)
	v_cndmask_b32_e64 v24, 0, 1, s12
	v_cmp_gt_i32_e64 s12, 0, v25
	v_lshlrev_b32_e32 v30, 25, v23
	v_lshlrev_b32_e32 v23, 24, v23
	v_cmp_ne_u32_e32 vcc_lo, 0, v24
	v_not_b32_e32 v24, v25
	v_not_b32_e32 v25, v26
	v_xor_b32_e32 v0, vcc_lo, v0
	s_delay_alu instid0(VALU_DEP_3)
	v_ashrrev_i32_e32 v24, 31, v24
	v_cmp_gt_i32_e32 vcc_lo, 0, v26
	v_not_b32_e32 v26, v27
	v_ashrrev_i32_e32 v25, 31, v25
	v_and_b32_e32 v0, exec_lo, v0
	v_xor_b32_e32 v24, s12, v24
	v_cmp_gt_i32_e64 s12, 0, v27
	v_not_b32_e32 v27, v28
	v_ashrrev_i32_e32 v26, 31, v26
	v_xor_b32_e32 v25, vcc_lo, v25
	v_and_b32_e32 v0, v0, v24
	v_cmp_gt_i32_e32 vcc_lo, 0, v28
	v_ashrrev_i32_e32 v27, 31, v27
	v_xor_b32_e32 v26, s12, v26
	v_not_b32_e32 v24, v29
	v_and_b32_e32 v0, v0, v25
	v_cmp_gt_i32_e64 s12, 0, v29
	v_mov_b32_e32 v29, v1
	v_xor_b32_e32 v27, vcc_lo, v27
	v_ashrrev_i32_e32 v24, 31, v24
	v_and_b32_e32 v0, v0, v26
	v_mov_b32_e32 v28, v2
	v_not_b32_e32 v26, v23
	v_bfe_u32 v1, v8, s16, 8
	v_xor_b32_e32 v24, s12, v24
	v_dual_mov_b32 v27, v3 :: v_dual_and_b32 v0, v0, v27
	v_not_b32_e32 v25, v30
	v_cmp_gt_i32_e32 vcc_lo, 0, v30
	v_cmp_gt_i32_e64 s12, 0, v23
	v_ashrrev_i32_e32 v26, 31, v26
	v_and_b32_e32 v0, v0, v24
	v_ashrrev_i32_e32 v25, 31, v25
	v_mov_b32_e32 v23, v7
	v_lshl_add_u32 v1, v1, 2, v18
	v_xor_b32_e32 v7, s12, v26
	v_mov_b32_e32 v24, v6
	v_xor_b32_e32 v25, vcc_lo, v25
	v_mov_b32_e32 v26, v4
	v_lshl_add_u32 v31, v1, 2, 16
	s_delay_alu instid0(VALU_DEP_3) | instskip(NEXT) | instid1(VALU_DEP_1)
	v_dual_mov_b32 v25, v5 :: v_dual_and_b32 v0, v0, v25
	v_and_b32_e32 v0, v0, v7
	s_delay_alu instid0(VALU_DEP_1) | instskip(SKIP_1) | instid1(VALU_DEP_2)
	v_mbcnt_lo_u32_b32 v30, v0, 0
	v_cmp_ne_u32_e64 s12, 0, v0
	v_cmp_eq_u32_e32 vcc_lo, 0, v30
	s_delay_alu instid0(VALU_DEP_2) | instskip(NEXT) | instid1(SALU_CYCLE_1)
	s_and_b32 s17, s12, vcc_lo
	s_and_saveexec_b32 s12, s17
	s_cbranch_execz .LBB206_6
; %bb.5:                                ;   in Loop: Header=BB206_4 Depth=2
	v_bcnt_u32_b32 v0, v0, 0
	ds_store_b32 v31, v0
.LBB206_6:                              ;   in Loop: Header=BB206_4 Depth=2
	s_or_b32 exec_lo, exec_lo, s12
	v_bfe_u32 v0, v29, s16, 1
	v_lshrrev_b32_e32 v1, s16, v29
	; wave barrier
	s_delay_alu instid0(VALU_DEP_2) | instskip(NEXT) | instid1(VALU_DEP_1)
	v_add_co_u32 v0, s12, v0, -1
	v_cndmask_b32_e64 v2, 0, 1, s12
	s_delay_alu instid0(VALU_DEP_3)
	v_lshlrev_b32_e32 v3, 30, v1
	v_lshlrev_b32_e32 v4, 29, v1
	;; [unrolled: 1-line block ×4, first 2 shown]
	v_cmp_ne_u32_e32 vcc_lo, 0, v2
	v_not_b32_e32 v2, v3
	v_cmp_gt_i32_e64 s12, 0, v3
	v_not_b32_e32 v3, v4
	v_lshlrev_b32_e32 v7, 26, v1
	v_xor_b32_e32 v0, vcc_lo, v0
	v_ashrrev_i32_e32 v2, 31, v2
	v_cmp_gt_i32_e32 vcc_lo, 0, v4
	v_not_b32_e32 v4, v5
	v_ashrrev_i32_e32 v3, 31, v3
	v_and_b32_e32 v0, exec_lo, v0
	v_xor_b32_e32 v2, s12, v2
	v_cmp_gt_i32_e64 s12, 0, v5
	v_not_b32_e32 v5, v6
	v_ashrrev_i32_e32 v4, 31, v4
	v_xor_b32_e32 v3, vcc_lo, v3
	v_and_b32_e32 v0, v0, v2
	v_cmp_gt_i32_e32 vcc_lo, 0, v6
	v_not_b32_e32 v2, v7
	v_ashrrev_i32_e32 v5, 31, v5
	v_xor_b32_e32 v4, s12, v4
	v_and_b32_e32 v0, v0, v3
	v_lshlrev_b32_e32 v3, 25, v1
	v_cmp_gt_i32_e64 s12, 0, v7
	v_ashrrev_i32_e32 v2, 31, v2
	v_xor_b32_e32 v5, vcc_lo, v5
	v_and_b32_e32 v0, v0, v4
	v_not_b32_e32 v6, v3
	v_lshlrev_b32_e32 v1, 24, v1
	v_bfe_u32 v4, v29, s16, 8
	v_xor_b32_e32 v2, s12, v2
	v_and_b32_e32 v0, v0, v5
	v_cmp_gt_i32_e32 vcc_lo, 0, v3
	v_ashrrev_i32_e32 v3, 31, v6
	v_not_b32_e32 v5, v1
	v_lshlrev_b32_e32 v4, 2, v4
	v_and_b32_e32 v0, v0, v2
	s_delay_alu instid0(VALU_DEP_4) | instskip(SKIP_3) | instid1(VALU_DEP_4)
	v_xor_b32_e32 v2, vcc_lo, v3
	v_cmp_gt_i32_e32 vcc_lo, 0, v1
	v_ashrrev_i32_e32 v1, 31, v5
	v_add_lshl_u32 v3, v4, v18, 2
	v_and_b32_e32 v0, v0, v2
	s_delay_alu instid0(VALU_DEP_3) | instskip(SKIP_3) | instid1(VALU_DEP_1)
	v_xor_b32_e32 v1, vcc_lo, v1
	ds_load_b32 v32, v3 offset:16
	v_add_nc_u32_e32 v34, 16, v3
	; wave barrier
	v_and_b32_e32 v0, v0, v1
	v_mbcnt_lo_u32_b32 v33, v0, 0
	v_cmp_ne_u32_e64 s12, 0, v0
	s_delay_alu instid0(VALU_DEP_2) | instskip(NEXT) | instid1(VALU_DEP_2)
	v_cmp_eq_u32_e32 vcc_lo, 0, v33
	s_and_b32 s17, s12, vcc_lo
	s_delay_alu instid0(SALU_CYCLE_1)
	s_and_saveexec_b32 s12, s17
	s_cbranch_execz .LBB206_8
; %bb.7:                                ;   in Loop: Header=BB206_4 Depth=2
	s_waitcnt lgkmcnt(0)
	v_bcnt_u32_b32 v0, v0, v32
	ds_store_b32 v34, v0
.LBB206_8:                              ;   in Loop: Header=BB206_4 Depth=2
	s_or_b32 exec_lo, exec_lo, s12
	v_bfe_u32 v0, v28, s16, 1
	v_lshrrev_b32_e32 v1, s16, v28
	; wave barrier
	s_delay_alu instid0(VALU_DEP_2) | instskip(NEXT) | instid1(VALU_DEP_1)
	v_add_co_u32 v0, s12, v0, -1
	v_cndmask_b32_e64 v2, 0, 1, s12
	s_delay_alu instid0(VALU_DEP_3)
	v_lshlrev_b32_e32 v3, 30, v1
	v_lshlrev_b32_e32 v4, 29, v1
	v_lshlrev_b32_e32 v5, 28, v1
	v_lshlrev_b32_e32 v6, 27, v1
	v_cmp_ne_u32_e32 vcc_lo, 0, v2
	v_not_b32_e32 v2, v3
	v_cmp_gt_i32_e64 s12, 0, v3
	v_not_b32_e32 v3, v4
	v_lshlrev_b32_e32 v7, 26, v1
	v_xor_b32_e32 v0, vcc_lo, v0
	v_ashrrev_i32_e32 v2, 31, v2
	v_cmp_gt_i32_e32 vcc_lo, 0, v4
	v_not_b32_e32 v4, v5
	v_ashrrev_i32_e32 v3, 31, v3
	v_and_b32_e32 v0, exec_lo, v0
	v_xor_b32_e32 v2, s12, v2
	v_cmp_gt_i32_e64 s12, 0, v5
	v_not_b32_e32 v5, v6
	v_ashrrev_i32_e32 v4, 31, v4
	v_xor_b32_e32 v3, vcc_lo, v3
	v_and_b32_e32 v0, v0, v2
	v_cmp_gt_i32_e32 vcc_lo, 0, v6
	v_not_b32_e32 v2, v7
	v_ashrrev_i32_e32 v5, 31, v5
	v_xor_b32_e32 v4, s12, v4
	v_and_b32_e32 v0, v0, v3
	v_lshlrev_b32_e32 v3, 25, v1
	v_cmp_gt_i32_e64 s12, 0, v7
	v_ashrrev_i32_e32 v2, 31, v2
	v_xor_b32_e32 v5, vcc_lo, v5
	v_and_b32_e32 v0, v0, v4
	v_not_b32_e32 v6, v3
	v_lshlrev_b32_e32 v1, 24, v1
	v_bfe_u32 v4, v28, s16, 8
	v_xor_b32_e32 v2, s12, v2
	v_and_b32_e32 v0, v0, v5
	v_cmp_gt_i32_e32 vcc_lo, 0, v3
	v_ashrrev_i32_e32 v3, 31, v6
	v_not_b32_e32 v5, v1
	v_lshlrev_b32_e32 v4, 2, v4
	v_and_b32_e32 v0, v0, v2
	s_delay_alu instid0(VALU_DEP_4) | instskip(SKIP_3) | instid1(VALU_DEP_4)
	v_xor_b32_e32 v2, vcc_lo, v3
	v_cmp_gt_i32_e32 vcc_lo, 0, v1
	v_ashrrev_i32_e32 v1, 31, v5
	v_add_lshl_u32 v3, v4, v18, 2
	v_and_b32_e32 v0, v0, v2
	s_delay_alu instid0(VALU_DEP_3) | instskip(SKIP_3) | instid1(VALU_DEP_1)
	v_xor_b32_e32 v1, vcc_lo, v1
	ds_load_b32 v35, v3 offset:16
	v_add_nc_u32_e32 v37, 16, v3
	; wave barrier
	v_and_b32_e32 v0, v0, v1
	v_mbcnt_lo_u32_b32 v36, v0, 0
	v_cmp_ne_u32_e64 s12, 0, v0
	s_delay_alu instid0(VALU_DEP_2) | instskip(NEXT) | instid1(VALU_DEP_2)
	v_cmp_eq_u32_e32 vcc_lo, 0, v36
	s_and_b32 s17, s12, vcc_lo
	s_delay_alu instid0(SALU_CYCLE_1)
	s_and_saveexec_b32 s12, s17
	s_cbranch_execz .LBB206_10
; %bb.9:                                ;   in Loop: Header=BB206_4 Depth=2
	s_waitcnt lgkmcnt(0)
	v_bcnt_u32_b32 v0, v0, v35
	ds_store_b32 v37, v0
.LBB206_10:                             ;   in Loop: Header=BB206_4 Depth=2
	s_or_b32 exec_lo, exec_lo, s12
	v_bfe_u32 v0, v27, s16, 1
	v_lshrrev_b32_e32 v1, s16, v27
	; wave barrier
	s_delay_alu instid0(VALU_DEP_2) | instskip(NEXT) | instid1(VALU_DEP_1)
	v_add_co_u32 v0, s12, v0, -1
	v_cndmask_b32_e64 v2, 0, 1, s12
	s_delay_alu instid0(VALU_DEP_3)
	v_lshlrev_b32_e32 v3, 30, v1
	v_lshlrev_b32_e32 v4, 29, v1
	;; [unrolled: 1-line block ×4, first 2 shown]
	v_cmp_ne_u32_e32 vcc_lo, 0, v2
	v_not_b32_e32 v2, v3
	v_cmp_gt_i32_e64 s12, 0, v3
	v_not_b32_e32 v3, v4
	v_lshlrev_b32_e32 v7, 26, v1
	v_xor_b32_e32 v0, vcc_lo, v0
	v_ashrrev_i32_e32 v2, 31, v2
	v_cmp_gt_i32_e32 vcc_lo, 0, v4
	v_not_b32_e32 v4, v5
	v_ashrrev_i32_e32 v3, 31, v3
	v_and_b32_e32 v0, exec_lo, v0
	v_xor_b32_e32 v2, s12, v2
	v_cmp_gt_i32_e64 s12, 0, v5
	v_not_b32_e32 v5, v6
	v_ashrrev_i32_e32 v4, 31, v4
	v_xor_b32_e32 v3, vcc_lo, v3
	v_and_b32_e32 v0, v0, v2
	v_cmp_gt_i32_e32 vcc_lo, 0, v6
	v_not_b32_e32 v2, v7
	v_ashrrev_i32_e32 v5, 31, v5
	v_xor_b32_e32 v4, s12, v4
	v_and_b32_e32 v0, v0, v3
	v_lshlrev_b32_e32 v3, 25, v1
	v_cmp_gt_i32_e64 s12, 0, v7
	v_ashrrev_i32_e32 v2, 31, v2
	v_xor_b32_e32 v5, vcc_lo, v5
	v_and_b32_e32 v0, v0, v4
	v_not_b32_e32 v6, v3
	v_lshlrev_b32_e32 v1, 24, v1
	v_bfe_u32 v4, v27, s16, 8
	v_xor_b32_e32 v2, s12, v2
	v_and_b32_e32 v0, v0, v5
	v_cmp_gt_i32_e32 vcc_lo, 0, v3
	v_ashrrev_i32_e32 v3, 31, v6
	v_not_b32_e32 v5, v1
	v_lshlrev_b32_e32 v4, 2, v4
	v_and_b32_e32 v0, v0, v2
	s_delay_alu instid0(VALU_DEP_4) | instskip(SKIP_3) | instid1(VALU_DEP_4)
	v_xor_b32_e32 v2, vcc_lo, v3
	v_cmp_gt_i32_e32 vcc_lo, 0, v1
	v_ashrrev_i32_e32 v1, 31, v5
	v_add_lshl_u32 v3, v4, v18, 2
	v_and_b32_e32 v0, v0, v2
	s_delay_alu instid0(VALU_DEP_3) | instskip(SKIP_3) | instid1(VALU_DEP_1)
	v_xor_b32_e32 v1, vcc_lo, v1
	ds_load_b32 v38, v3 offset:16
	v_add_nc_u32_e32 v40, 16, v3
	; wave barrier
	v_and_b32_e32 v0, v0, v1
	v_mbcnt_lo_u32_b32 v39, v0, 0
	v_cmp_ne_u32_e64 s12, 0, v0
	s_delay_alu instid0(VALU_DEP_2) | instskip(NEXT) | instid1(VALU_DEP_2)
	v_cmp_eq_u32_e32 vcc_lo, 0, v39
	s_and_b32 s17, s12, vcc_lo
	s_delay_alu instid0(SALU_CYCLE_1)
	s_and_saveexec_b32 s12, s17
	s_cbranch_execz .LBB206_12
; %bb.11:                               ;   in Loop: Header=BB206_4 Depth=2
	s_waitcnt lgkmcnt(0)
	v_bcnt_u32_b32 v0, v0, v38
	ds_store_b32 v40, v0
.LBB206_12:                             ;   in Loop: Header=BB206_4 Depth=2
	s_or_b32 exec_lo, exec_lo, s12
	v_bfe_u32 v0, v26, s16, 1
	v_lshrrev_b32_e32 v1, s16, v26
	; wave barrier
	s_delay_alu instid0(VALU_DEP_2) | instskip(NEXT) | instid1(VALU_DEP_1)
	v_add_co_u32 v0, s12, v0, -1
	v_cndmask_b32_e64 v2, 0, 1, s12
	s_delay_alu instid0(VALU_DEP_3)
	v_lshlrev_b32_e32 v3, 30, v1
	v_lshlrev_b32_e32 v4, 29, v1
	;; [unrolled: 1-line block ×4, first 2 shown]
	v_cmp_ne_u32_e32 vcc_lo, 0, v2
	v_not_b32_e32 v2, v3
	v_cmp_gt_i32_e64 s12, 0, v3
	v_not_b32_e32 v3, v4
	v_lshlrev_b32_e32 v7, 26, v1
	v_xor_b32_e32 v0, vcc_lo, v0
	v_ashrrev_i32_e32 v2, 31, v2
	v_cmp_gt_i32_e32 vcc_lo, 0, v4
	v_not_b32_e32 v4, v5
	v_ashrrev_i32_e32 v3, 31, v3
	v_and_b32_e32 v0, exec_lo, v0
	v_xor_b32_e32 v2, s12, v2
	v_cmp_gt_i32_e64 s12, 0, v5
	v_not_b32_e32 v5, v6
	v_ashrrev_i32_e32 v4, 31, v4
	v_xor_b32_e32 v3, vcc_lo, v3
	v_and_b32_e32 v0, v0, v2
	v_cmp_gt_i32_e32 vcc_lo, 0, v6
	v_not_b32_e32 v2, v7
	v_ashrrev_i32_e32 v5, 31, v5
	v_xor_b32_e32 v4, s12, v4
	v_and_b32_e32 v0, v0, v3
	v_lshlrev_b32_e32 v3, 25, v1
	v_cmp_gt_i32_e64 s12, 0, v7
	v_ashrrev_i32_e32 v2, 31, v2
	v_xor_b32_e32 v5, vcc_lo, v5
	v_and_b32_e32 v0, v0, v4
	v_not_b32_e32 v6, v3
	v_lshlrev_b32_e32 v1, 24, v1
	v_bfe_u32 v4, v26, s16, 8
	v_xor_b32_e32 v2, s12, v2
	v_and_b32_e32 v0, v0, v5
	v_cmp_gt_i32_e32 vcc_lo, 0, v3
	v_ashrrev_i32_e32 v3, 31, v6
	v_not_b32_e32 v5, v1
	v_lshlrev_b32_e32 v4, 2, v4
	v_and_b32_e32 v0, v0, v2
	s_delay_alu instid0(VALU_DEP_4) | instskip(SKIP_3) | instid1(VALU_DEP_4)
	v_xor_b32_e32 v2, vcc_lo, v3
	v_cmp_gt_i32_e32 vcc_lo, 0, v1
	v_ashrrev_i32_e32 v1, 31, v5
	v_add_lshl_u32 v3, v4, v18, 2
	v_and_b32_e32 v0, v0, v2
	s_delay_alu instid0(VALU_DEP_3) | instskip(SKIP_3) | instid1(VALU_DEP_1)
	v_xor_b32_e32 v1, vcc_lo, v1
	ds_load_b32 v41, v3 offset:16
	v_add_nc_u32_e32 v43, 16, v3
	; wave barrier
	v_and_b32_e32 v0, v0, v1
	v_mbcnt_lo_u32_b32 v42, v0, 0
	v_cmp_ne_u32_e64 s12, 0, v0
	s_delay_alu instid0(VALU_DEP_2) | instskip(NEXT) | instid1(VALU_DEP_2)
	v_cmp_eq_u32_e32 vcc_lo, 0, v42
	s_and_b32 s17, s12, vcc_lo
	s_delay_alu instid0(SALU_CYCLE_1)
	s_and_saveexec_b32 s12, s17
	s_cbranch_execz .LBB206_14
; %bb.13:                               ;   in Loop: Header=BB206_4 Depth=2
	s_waitcnt lgkmcnt(0)
	v_bcnt_u32_b32 v0, v0, v41
	ds_store_b32 v43, v0
.LBB206_14:                             ;   in Loop: Header=BB206_4 Depth=2
	s_or_b32 exec_lo, exec_lo, s12
	v_bfe_u32 v0, v25, s16, 1
	v_lshrrev_b32_e32 v1, s16, v25
	; wave barrier
	s_delay_alu instid0(VALU_DEP_2) | instskip(NEXT) | instid1(VALU_DEP_1)
	v_add_co_u32 v0, s12, v0, -1
	v_cndmask_b32_e64 v2, 0, 1, s12
	s_delay_alu instid0(VALU_DEP_3)
	v_lshlrev_b32_e32 v3, 30, v1
	v_lshlrev_b32_e32 v4, 29, v1
	;; [unrolled: 1-line block ×4, first 2 shown]
	v_cmp_ne_u32_e32 vcc_lo, 0, v2
	v_not_b32_e32 v2, v3
	v_cmp_gt_i32_e64 s12, 0, v3
	v_not_b32_e32 v3, v4
	v_lshlrev_b32_e32 v7, 26, v1
	v_xor_b32_e32 v0, vcc_lo, v0
	v_ashrrev_i32_e32 v2, 31, v2
	v_cmp_gt_i32_e32 vcc_lo, 0, v4
	v_not_b32_e32 v4, v5
	v_ashrrev_i32_e32 v3, 31, v3
	v_and_b32_e32 v0, exec_lo, v0
	v_xor_b32_e32 v2, s12, v2
	v_cmp_gt_i32_e64 s12, 0, v5
	v_not_b32_e32 v5, v6
	v_ashrrev_i32_e32 v4, 31, v4
	v_xor_b32_e32 v3, vcc_lo, v3
	v_and_b32_e32 v0, v0, v2
	v_cmp_gt_i32_e32 vcc_lo, 0, v6
	v_not_b32_e32 v2, v7
	v_ashrrev_i32_e32 v5, 31, v5
	v_xor_b32_e32 v4, s12, v4
	v_and_b32_e32 v0, v0, v3
	v_lshlrev_b32_e32 v3, 25, v1
	v_cmp_gt_i32_e64 s12, 0, v7
	v_ashrrev_i32_e32 v2, 31, v2
	v_xor_b32_e32 v5, vcc_lo, v5
	v_and_b32_e32 v0, v0, v4
	v_not_b32_e32 v6, v3
	v_lshlrev_b32_e32 v1, 24, v1
	v_bfe_u32 v4, v25, s16, 8
	v_xor_b32_e32 v2, s12, v2
	v_and_b32_e32 v0, v0, v5
	v_cmp_gt_i32_e32 vcc_lo, 0, v3
	v_ashrrev_i32_e32 v3, 31, v6
	v_not_b32_e32 v5, v1
	v_lshlrev_b32_e32 v4, 2, v4
	v_and_b32_e32 v0, v0, v2
	s_delay_alu instid0(VALU_DEP_4) | instskip(SKIP_3) | instid1(VALU_DEP_4)
	v_xor_b32_e32 v2, vcc_lo, v3
	v_cmp_gt_i32_e32 vcc_lo, 0, v1
	v_ashrrev_i32_e32 v1, 31, v5
	v_add_lshl_u32 v3, v4, v18, 2
	v_and_b32_e32 v0, v0, v2
	s_delay_alu instid0(VALU_DEP_3) | instskip(SKIP_3) | instid1(VALU_DEP_1)
	v_xor_b32_e32 v1, vcc_lo, v1
	ds_load_b32 v44, v3 offset:16
	v_add_nc_u32_e32 v46, 16, v3
	; wave barrier
	v_and_b32_e32 v0, v0, v1
	v_mbcnt_lo_u32_b32 v45, v0, 0
	v_cmp_ne_u32_e64 s12, 0, v0
	s_delay_alu instid0(VALU_DEP_2) | instskip(NEXT) | instid1(VALU_DEP_2)
	v_cmp_eq_u32_e32 vcc_lo, 0, v45
	s_and_b32 s17, s12, vcc_lo
	s_delay_alu instid0(SALU_CYCLE_1)
	s_and_saveexec_b32 s12, s17
	s_cbranch_execz .LBB206_16
; %bb.15:                               ;   in Loop: Header=BB206_4 Depth=2
	s_waitcnt lgkmcnt(0)
	v_bcnt_u32_b32 v0, v0, v44
	ds_store_b32 v46, v0
.LBB206_16:                             ;   in Loop: Header=BB206_4 Depth=2
	s_or_b32 exec_lo, exec_lo, s12
	v_bfe_u32 v0, v24, s16, 1
	v_lshrrev_b32_e32 v1, s16, v24
	; wave barrier
	s_delay_alu instid0(VALU_DEP_2) | instskip(NEXT) | instid1(VALU_DEP_1)
	v_add_co_u32 v0, s12, v0, -1
	v_cndmask_b32_e64 v2, 0, 1, s12
	s_delay_alu instid0(VALU_DEP_3)
	v_lshlrev_b32_e32 v3, 30, v1
	v_lshlrev_b32_e32 v4, 29, v1
	;; [unrolled: 1-line block ×4, first 2 shown]
	v_cmp_ne_u32_e32 vcc_lo, 0, v2
	v_not_b32_e32 v2, v3
	v_cmp_gt_i32_e64 s12, 0, v3
	v_not_b32_e32 v3, v4
	v_lshlrev_b32_e32 v7, 26, v1
	v_xor_b32_e32 v0, vcc_lo, v0
	v_ashrrev_i32_e32 v2, 31, v2
	v_cmp_gt_i32_e32 vcc_lo, 0, v4
	v_not_b32_e32 v4, v5
	v_ashrrev_i32_e32 v3, 31, v3
	v_and_b32_e32 v0, exec_lo, v0
	v_xor_b32_e32 v2, s12, v2
	v_cmp_gt_i32_e64 s12, 0, v5
	v_not_b32_e32 v5, v6
	v_ashrrev_i32_e32 v4, 31, v4
	v_xor_b32_e32 v3, vcc_lo, v3
	v_and_b32_e32 v0, v0, v2
	v_cmp_gt_i32_e32 vcc_lo, 0, v6
	v_not_b32_e32 v2, v7
	v_ashrrev_i32_e32 v5, 31, v5
	v_xor_b32_e32 v4, s12, v4
	v_and_b32_e32 v0, v0, v3
	v_lshlrev_b32_e32 v3, 25, v1
	v_cmp_gt_i32_e64 s12, 0, v7
	v_ashrrev_i32_e32 v2, 31, v2
	v_xor_b32_e32 v5, vcc_lo, v5
	v_and_b32_e32 v0, v0, v4
	v_not_b32_e32 v6, v3
	v_lshlrev_b32_e32 v1, 24, v1
	v_bfe_u32 v4, v24, s16, 8
	v_xor_b32_e32 v2, s12, v2
	v_and_b32_e32 v0, v0, v5
	v_cmp_gt_i32_e32 vcc_lo, 0, v3
	v_ashrrev_i32_e32 v3, 31, v6
	v_not_b32_e32 v5, v1
	v_lshlrev_b32_e32 v4, 2, v4
	v_and_b32_e32 v0, v0, v2
	s_delay_alu instid0(VALU_DEP_4) | instskip(SKIP_3) | instid1(VALU_DEP_4)
	v_xor_b32_e32 v2, vcc_lo, v3
	v_cmp_gt_i32_e32 vcc_lo, 0, v1
	v_ashrrev_i32_e32 v1, 31, v5
	v_add_lshl_u32 v3, v4, v18, 2
	v_and_b32_e32 v0, v0, v2
	s_delay_alu instid0(VALU_DEP_3) | instskip(SKIP_3) | instid1(VALU_DEP_1)
	v_xor_b32_e32 v1, vcc_lo, v1
	ds_load_b32 v47, v3 offset:16
	v_add_nc_u32_e32 v49, 16, v3
	; wave barrier
	v_and_b32_e32 v0, v0, v1
	v_mbcnt_lo_u32_b32 v48, v0, 0
	v_cmp_ne_u32_e64 s12, 0, v0
	s_delay_alu instid0(VALU_DEP_2) | instskip(NEXT) | instid1(VALU_DEP_2)
	v_cmp_eq_u32_e32 vcc_lo, 0, v48
	s_and_b32 s17, s12, vcc_lo
	s_delay_alu instid0(SALU_CYCLE_1)
	s_and_saveexec_b32 s12, s17
	s_cbranch_execz .LBB206_18
; %bb.17:                               ;   in Loop: Header=BB206_4 Depth=2
	s_waitcnt lgkmcnt(0)
	v_bcnt_u32_b32 v0, v0, v47
	ds_store_b32 v49, v0
.LBB206_18:                             ;   in Loop: Header=BB206_4 Depth=2
	s_or_b32 exec_lo, exec_lo, s12
	v_bfe_u32 v0, v23, s16, 1
	v_lshrrev_b32_e32 v1, s16, v23
	; wave barrier
	s_delay_alu instid0(VALU_DEP_2) | instskip(NEXT) | instid1(VALU_DEP_1)
	v_add_co_u32 v0, s12, v0, -1
	v_cndmask_b32_e64 v2, 0, 1, s12
	s_delay_alu instid0(VALU_DEP_3)
	v_lshlrev_b32_e32 v3, 30, v1
	v_lshlrev_b32_e32 v4, 29, v1
	v_lshlrev_b32_e32 v5, 28, v1
	v_lshlrev_b32_e32 v6, 27, v1
	v_cmp_ne_u32_e32 vcc_lo, 0, v2
	v_not_b32_e32 v2, v3
	v_cmp_gt_i32_e64 s12, 0, v3
	v_not_b32_e32 v3, v4
	v_lshlrev_b32_e32 v7, 26, v1
	v_xor_b32_e32 v0, vcc_lo, v0
	v_ashrrev_i32_e32 v2, 31, v2
	v_cmp_gt_i32_e32 vcc_lo, 0, v4
	v_not_b32_e32 v4, v5
	v_ashrrev_i32_e32 v3, 31, v3
	v_and_b32_e32 v0, exec_lo, v0
	v_xor_b32_e32 v2, s12, v2
	v_cmp_gt_i32_e64 s12, 0, v5
	v_not_b32_e32 v5, v6
	v_ashrrev_i32_e32 v4, 31, v4
	v_xor_b32_e32 v3, vcc_lo, v3
	v_and_b32_e32 v0, v0, v2
	v_cmp_gt_i32_e32 vcc_lo, 0, v6
	v_not_b32_e32 v2, v7
	v_ashrrev_i32_e32 v5, 31, v5
	v_xor_b32_e32 v4, s12, v4
	v_and_b32_e32 v0, v0, v3
	v_lshlrev_b32_e32 v3, 25, v1
	v_cmp_gt_i32_e64 s12, 0, v7
	v_ashrrev_i32_e32 v2, 31, v2
	v_xor_b32_e32 v5, vcc_lo, v5
	v_and_b32_e32 v0, v0, v4
	v_not_b32_e32 v6, v3
	v_lshlrev_b32_e32 v1, 24, v1
	v_bfe_u32 v4, v23, s16, 8
	v_xor_b32_e32 v2, s12, v2
	v_and_b32_e32 v0, v0, v5
	v_cmp_gt_i32_e32 vcc_lo, 0, v3
	v_ashrrev_i32_e32 v3, 31, v6
	v_not_b32_e32 v5, v1
	v_lshlrev_b32_e32 v4, 2, v4
	v_and_b32_e32 v0, v0, v2
	s_delay_alu instid0(VALU_DEP_4) | instskip(SKIP_3) | instid1(VALU_DEP_4)
	v_xor_b32_e32 v2, vcc_lo, v3
	v_cmp_gt_i32_e32 vcc_lo, 0, v1
	v_ashrrev_i32_e32 v1, 31, v5
	v_add_lshl_u32 v3, v4, v18, 2
	v_and_b32_e32 v0, v0, v2
	s_delay_alu instid0(VALU_DEP_3) | instskip(SKIP_3) | instid1(VALU_DEP_1)
	v_xor_b32_e32 v1, vcc_lo, v1
	ds_load_b32 v50, v3 offset:16
	v_add_nc_u32_e32 v52, 16, v3
	; wave barrier
	v_and_b32_e32 v0, v0, v1
	v_mbcnt_lo_u32_b32 v51, v0, 0
	v_cmp_ne_u32_e64 s12, 0, v0
	s_delay_alu instid0(VALU_DEP_2) | instskip(NEXT) | instid1(VALU_DEP_2)
	v_cmp_eq_u32_e32 vcc_lo, 0, v51
	s_and_b32 s17, s12, vcc_lo
	s_delay_alu instid0(SALU_CYCLE_1)
	s_and_saveexec_b32 s12, s17
	s_cbranch_execz .LBB206_20
; %bb.19:                               ;   in Loop: Header=BB206_4 Depth=2
	s_waitcnt lgkmcnt(0)
	v_bcnt_u32_b32 v0, v0, v50
	ds_store_b32 v52, v0
.LBB206_20:                             ;   in Loop: Header=BB206_4 Depth=2
	s_or_b32 exec_lo, exec_lo, s12
	; wave barrier
	s_waitcnt lgkmcnt(0)
	s_barrier
	buffer_gl0_inv
	ds_load_2addr_b64 v[4:7], v14 offset0:2 offset1:3
	ds_load_2addr_b64 v[0:3], v17 offset0:2 offset1:3
	s_waitcnt lgkmcnt(1)
	v_add_nc_u32_e32 v53, v5, v4
	s_delay_alu instid0(VALU_DEP_1) | instskip(SKIP_1) | instid1(VALU_DEP_1)
	v_add3_u32 v53, v53, v6, v7
	s_waitcnt lgkmcnt(0)
	v_add3_u32 v53, v53, v0, v1
	s_delay_alu instid0(VALU_DEP_1) | instskip(NEXT) | instid1(VALU_DEP_1)
	v_add3_u32 v3, v53, v2, v3
	v_mov_b32_dpp v53, v3 row_shr:1 row_mask:0xf bank_mask:0xf
	s_delay_alu instid0(VALU_DEP_1) | instskip(NEXT) | instid1(VALU_DEP_1)
	v_cndmask_b32_e64 v53, v53, 0, s0
	v_add_nc_u32_e32 v3, v53, v3
	s_delay_alu instid0(VALU_DEP_1) | instskip(NEXT) | instid1(VALU_DEP_1)
	v_mov_b32_dpp v53, v3 row_shr:2 row_mask:0xf bank_mask:0xf
	v_cndmask_b32_e64 v53, 0, v53, s1
	s_delay_alu instid0(VALU_DEP_1) | instskip(NEXT) | instid1(VALU_DEP_1)
	v_add_nc_u32_e32 v3, v3, v53
	v_mov_b32_dpp v53, v3 row_shr:4 row_mask:0xf bank_mask:0xf
	s_delay_alu instid0(VALU_DEP_1) | instskip(NEXT) | instid1(VALU_DEP_1)
	v_cndmask_b32_e64 v53, 0, v53, s2
	v_add_nc_u32_e32 v3, v3, v53
	s_delay_alu instid0(VALU_DEP_1) | instskip(NEXT) | instid1(VALU_DEP_1)
	v_mov_b32_dpp v53, v3 row_shr:8 row_mask:0xf bank_mask:0xf
	v_cndmask_b32_e64 v53, 0, v53, s3
	s_delay_alu instid0(VALU_DEP_1) | instskip(SKIP_3) | instid1(VALU_DEP_1)
	v_add_nc_u32_e32 v3, v3, v53
	ds_swizzle_b32 v53, v3 offset:swizzle(BROADCAST,32,15)
	s_waitcnt lgkmcnt(0)
	v_cndmask_b32_e64 v53, v53, 0, s4
	v_add_nc_u32_e32 v3, v3, v53
	s_and_saveexec_b32 s12, s5
	s_cbranch_execz .LBB206_22
; %bb.21:                               ;   in Loop: Header=BB206_4 Depth=2
	ds_store_b32 v20, v3
.LBB206_22:                             ;   in Loop: Header=BB206_4 Depth=2
	s_or_b32 exec_lo, exec_lo, s12
	s_waitcnt lgkmcnt(0)
	s_barrier
	buffer_gl0_inv
	s_and_saveexec_b32 s12, s6
	s_cbranch_execz .LBB206_24
; %bb.23:                               ;   in Loop: Header=BB206_4 Depth=2
	v_add_nc_u32_e32 v53, v14, v21
	ds_load_b32 v54, v53
	s_waitcnt lgkmcnt(0)
	v_mov_b32_dpp v55, v54 row_shr:1 row_mask:0xf bank_mask:0xf
	s_delay_alu instid0(VALU_DEP_1) | instskip(NEXT) | instid1(VALU_DEP_1)
	v_cndmask_b32_e64 v55, v55, 0, s10
	v_add_nc_u32_e32 v54, v55, v54
	s_delay_alu instid0(VALU_DEP_1) | instskip(NEXT) | instid1(VALU_DEP_1)
	v_mov_b32_dpp v55, v54 row_shr:2 row_mask:0xf bank_mask:0xf
	v_cndmask_b32_e64 v55, 0, v55, s11
	s_delay_alu instid0(VALU_DEP_1)
	v_add_nc_u32_e32 v54, v54, v55
	ds_store_b32 v53, v54
.LBB206_24:                             ;   in Loop: Header=BB206_4 Depth=2
	s_or_b32 exec_lo, exec_lo, s12
	v_mov_b32_e32 v53, 0
	s_waitcnt lgkmcnt(0)
	s_barrier
	buffer_gl0_inv
	s_and_saveexec_b32 s12, s7
	s_cbranch_execz .LBB206_26
; %bb.25:                               ;   in Loop: Header=BB206_4 Depth=2
	ds_load_b32 v53, v22
.LBB206_26:                             ;   in Loop: Header=BB206_4 Depth=2
	s_or_b32 exec_lo, exec_lo, s12
	s_waitcnt lgkmcnt(0)
	v_add_nc_u32_e32 v3, v53, v3
	s_cmp_gt_u32 s16, 23
	ds_bpermute_b32 v3, v19, v3
	s_waitcnt lgkmcnt(0)
	v_cndmask_b32_e64 v3, v3, v53, s8
	s_delay_alu instid0(VALU_DEP_1) | instskip(NEXT) | instid1(VALU_DEP_1)
	v_cndmask_b32_e64 v3, v3, 0, s9
	v_add_nc_u32_e32 v4, v3, v4
	s_delay_alu instid0(VALU_DEP_1) | instskip(NEXT) | instid1(VALU_DEP_1)
	v_add_nc_u32_e32 v5, v4, v5
	v_add_nc_u32_e32 v6, v5, v6
	s_delay_alu instid0(VALU_DEP_1) | instskip(NEXT) | instid1(VALU_DEP_1)
	v_add_nc_u32_e32 v53, v6, v7
	v_add_nc_u32_e32 v54, v53, v0
	s_delay_alu instid0(VALU_DEP_1) | instskip(NEXT) | instid1(VALU_DEP_1)
	v_add_nc_u32_e32 v0, v54, v1
	v_add_nc_u32_e32 v1, v0, v2
	ds_store_2addr_b64 v14, v[3:4], v[5:6] offset0:2 offset1:3
	ds_store_2addr_b64 v17, v[53:54], v[0:1] offset0:2 offset1:3
	s_waitcnt lgkmcnt(0)
	s_barrier
	buffer_gl0_inv
	ds_load_b32 v0, v31
	ds_load_b32 v1, v34
	ds_load_b32 v2, v37
	ds_load_b32 v3, v40
	ds_load_b32 v4, v43
	ds_load_b32 v5, v46
	ds_load_b32 v6, v49
	ds_load_b32 v7, v52
	s_waitcnt lgkmcnt(7)
	v_add_nc_u32_e32 v40, v0, v30
	s_waitcnt lgkmcnt(6)
	v_add3_u32 v37, v33, v32, v1
	s_waitcnt lgkmcnt(5)
	v_add3_u32 v35, v36, v35, v2
	;; [unrolled: 2-line block ×7, first 2 shown]
	s_cbranch_scc0 .LBB206_3
; %bb.27:                               ;   in Loop: Header=BB206_2 Depth=1
                                        ; implicit-def: $vgpr7
                                        ; implicit-def: $vgpr5
                                        ; implicit-def: $vgpr3
                                        ; implicit-def: $vgpr1
                                        ; implicit-def: $sgpr16
	s_branch .LBB206_1
.LBB206_28:
	v_lshlrev_b32_e32 v0, 2, v9
	s_add_u32 s0, s18, s14
	s_addc_u32 s1, s19, s15
	s_clause 0x7
	global_store_b32 v0, v1, s[0:1]
	global_store_b32 v0, v2, s[0:1] offset:512
	global_store_b32 v0, v3, s[0:1] offset:1024
	;; [unrolled: 1-line block ×7, first 2 shown]
	s_nop 0
	s_sendmsg sendmsg(MSG_DEALLOC_VGPRS)
	s_endpgm
	.section	.rodata,"a",@progbits
	.p2align	6, 0x0
	.amdhsa_kernel _Z16sort_keys_kernelI22helper_blocked_stripediLj128ELj8ELj10EEvPKT0_PS1_
		.amdhsa_group_segment_fixed_size 4112
		.amdhsa_private_segment_fixed_size 0
		.amdhsa_kernarg_size 272
		.amdhsa_user_sgpr_count 15
		.amdhsa_user_sgpr_dispatch_ptr 0
		.amdhsa_user_sgpr_queue_ptr 0
		.amdhsa_user_sgpr_kernarg_segment_ptr 1
		.amdhsa_user_sgpr_dispatch_id 0
		.amdhsa_user_sgpr_private_segment_size 0
		.amdhsa_wavefront_size32 1
		.amdhsa_uses_dynamic_stack 0
		.amdhsa_enable_private_segment 0
		.amdhsa_system_sgpr_workgroup_id_x 1
		.amdhsa_system_sgpr_workgroup_id_y 0
		.amdhsa_system_sgpr_workgroup_id_z 0
		.amdhsa_system_sgpr_workgroup_info 0
		.amdhsa_system_vgpr_workitem_id 2
		.amdhsa_next_free_vgpr 56
		.amdhsa_next_free_sgpr 20
		.amdhsa_reserve_vcc 1
		.amdhsa_float_round_mode_32 0
		.amdhsa_float_round_mode_16_64 0
		.amdhsa_float_denorm_mode_32 3
		.amdhsa_float_denorm_mode_16_64 3
		.amdhsa_dx10_clamp 1
		.amdhsa_ieee_mode 1
		.amdhsa_fp16_overflow 0
		.amdhsa_workgroup_processor_mode 1
		.amdhsa_memory_ordered 1
		.amdhsa_forward_progress 0
		.amdhsa_shared_vgpr_count 0
		.amdhsa_exception_fp_ieee_invalid_op 0
		.amdhsa_exception_fp_denorm_src 0
		.amdhsa_exception_fp_ieee_div_zero 0
		.amdhsa_exception_fp_ieee_overflow 0
		.amdhsa_exception_fp_ieee_underflow 0
		.amdhsa_exception_fp_ieee_inexact 0
		.amdhsa_exception_int_div_zero 0
	.end_amdhsa_kernel
	.section	.text._Z16sort_keys_kernelI22helper_blocked_stripediLj128ELj8ELj10EEvPKT0_PS1_,"axG",@progbits,_Z16sort_keys_kernelI22helper_blocked_stripediLj128ELj8ELj10EEvPKT0_PS1_,comdat
.Lfunc_end206:
	.size	_Z16sort_keys_kernelI22helper_blocked_stripediLj128ELj8ELj10EEvPKT0_PS1_, .Lfunc_end206-_Z16sort_keys_kernelI22helper_blocked_stripediLj128ELj8ELj10EEvPKT0_PS1_
                                        ; -- End function
	.section	.AMDGPU.csdata,"",@progbits
; Kernel info:
; codeLenInByte = 4408
; NumSgprs: 22
; NumVgprs: 56
; ScratchSize: 0
; MemoryBound: 0
; FloatMode: 240
; IeeeMode: 1
; LDSByteSize: 4112 bytes/workgroup (compile time only)
; SGPRBlocks: 2
; VGPRBlocks: 6
; NumSGPRsForWavesPerEU: 22
; NumVGPRsForWavesPerEU: 56
; Occupancy: 16
; WaveLimiterHint : 1
; COMPUTE_PGM_RSRC2:SCRATCH_EN: 0
; COMPUTE_PGM_RSRC2:USER_SGPR: 15
; COMPUTE_PGM_RSRC2:TRAP_HANDLER: 0
; COMPUTE_PGM_RSRC2:TGID_X_EN: 1
; COMPUTE_PGM_RSRC2:TGID_Y_EN: 0
; COMPUTE_PGM_RSRC2:TGID_Z_EN: 0
; COMPUTE_PGM_RSRC2:TIDIG_COMP_CNT: 2
	.section	.text._Z17sort_pairs_kernelI22helper_blocked_stripediLj128ELj8ELj10EEvPKT0_PS1_,"axG",@progbits,_Z17sort_pairs_kernelI22helper_blocked_stripediLj128ELj8ELj10EEvPKT0_PS1_,comdat
	.protected	_Z17sort_pairs_kernelI22helper_blocked_stripediLj128ELj8ELj10EEvPKT0_PS1_ ; -- Begin function _Z17sort_pairs_kernelI22helper_blocked_stripediLj128ELj8ELj10EEvPKT0_PS1_
	.globl	_Z17sort_pairs_kernelI22helper_blocked_stripediLj128ELj8ELj10EEvPKT0_PS1_
	.p2align	8
	.type	_Z17sort_pairs_kernelI22helper_blocked_stripediLj128ELj8ELj10EEvPKT0_PS1_,@function
_Z17sort_pairs_kernelI22helper_blocked_stripediLj128ELj8ELj10EEvPKT0_PS1_: ; @_Z17sort_pairs_kernelI22helper_blocked_stripediLj128ELj8ELj10EEvPKT0_PS1_
; %bb.0:
	s_clause 0x1
	s_load_b128 s[16:19], s[0:1], 0x0
	s_load_b32 s11, s[0:1], 0x1c
	s_mov_b32 s13, 0
	s_lshl_b32 s12, s15, 10
	v_mbcnt_lo_u32_b32 v12, -1, 0
	s_lshl_b64 s[14:15], s[12:13], 2
	s_mov_b32 s12, s13
	s_delay_alu instid0(SALU_CYCLE_1) | instskip(SKIP_3) | instid1(VALU_DEP_4)
	v_dual_mov_b32 v10, s12 :: v_dual_and_b32 v9, 0x3ff, v0
	v_mov_b32_e32 v11, s13
	v_bfe_u32 v13, v0, 10, 10
	v_bfe_u32 v0, v0, 20, 10
	v_lshlrev_b32_e32 v26, 5, v9
	v_add_nc_u32_e32 v16, -1, v12
	v_and_b32_e32 v17, 3, v12
	v_lshlrev_b32_e32 v18, 3, v9
	v_cmp_gt_u32_e64 s6, 4, v9
	v_cmp_lt_u32_e64 s7, 31, v9
	v_cmp_gt_i32_e32 vcc_lo, 0, v16
	v_and_b32_e32 v19, 0x60, v9
	s_waitcnt lgkmcnt(0)
	s_add_u32 s0, s16, s14
	s_addc_u32 s1, s17, s15
	s_lshr_b32 s12, s11, 16
	s_clause 0x1
	global_load_b128 v[5:8], v26, s[0:1]
	global_load_b128 v[1:4], v26, s[0:1] offset:16
	s_mov_b32 s16, s13
	s_mov_b32 s17, s13
	v_and_b32_e32 v14, 15, v12
	v_mad_u32_u24 v0, v0, s12, v13
	s_and_b32 s11, s11, 0xffff
	v_and_b32_e32 v15, 16, v12
	v_cmp_eq_u32_e64 s0, 0, v12
	v_cmp_eq_u32_e64 s1, 0, v14
	v_cmp_lt_u32_e64 s2, 1, v14
	v_cmp_lt_u32_e64 s3, 3, v14
	;; [unrolled: 1-line block ×3, first 2 shown]
	v_cndmask_b32_e32 v14, v16, v12, vcc_lo
	v_cmp_eq_u32_e64 s9, 0, v17
	v_cmp_lt_u32_e64 s10, 1, v17
	v_or_b32_e32 v16, v12, v19
	v_and_or_b32 v17, 0x300, v18, v12
	v_mad_u64_u32 v[12:13], null, v0, s11, v[9:10]
	v_or_b32_e32 v0, 31, v19
	v_cmp_eq_u32_e64 s8, 0, v9
	v_mul_i32_i24_e32 v27, 0xffffffe4, v9
	v_or_b32_e32 v28, 16, v26
	v_lshlrev_b32_e32 v30, 2, v14
	v_lshlrev_b32_e32 v31, 5, v16
	v_lshrrev_b32_e32 v34, 5, v12
	v_mov_b32_e32 v12, s16
	v_cmp_eq_u32_e64 s5, 0, v15
	v_lshrrev_b32_e32 v15, 3, v9
	v_lshlrev_b32_e32 v32, 2, v17
	v_cmp_eq_u32_e64 s11, v0, v9
	v_mov_b32_e32 v13, s17
	s_delay_alu instid0(VALU_DEP_4) | instskip(NEXT) | instid1(VALU_DEP_1)
	v_and_b32_e32 v29, 12, v15
	v_add_nc_u32_e32 v33, -4, v29
	s_waitcnt vmcnt(1)
	v_add_nc_u32_e32 v22, 1, v5
	v_add_nc_u32_e32 v23, 1, v6
	;; [unrolled: 1-line block ×4, first 2 shown]
	s_waitcnt vmcnt(0)
	v_add_nc_u32_e32 v16, 1, v1
	v_add_nc_u32_e32 v17, 1, v2
	;; [unrolled: 1-line block ×4, first 2 shown]
	s_branch .LBB207_2
.LBB207_1:                              ;   in Loop: Header=BB207_2 Depth=1
	v_lshlrev_b32_e32 v4, 2, v58
	v_lshlrev_b32_e32 v6, 2, v54
	;; [unrolled: 1-line block ×4, first 2 shown]
	s_barrier
	buffer_gl0_inv
	ds_store_b32 v4, v23
	ds_store_b32 v5, v45
	;; [unrolled: 1-line block ×3, first 2 shown]
	v_lshlrev_b32_e32 v14, 2, v49
	ds_store_b32 v7, v43
	v_lshlrev_b32_e32 v17, 2, v46
	v_add_nc_u32_e32 v43, v26, v27
	v_lshlrev_b32_e32 v15, 2, v48
	v_lshlrev_b32_e32 v16, 2, v47
	ds_store_b32 v14, v25
	ds_store_b32 v15, v24
	;; [unrolled: 1-line block ×4, first 2 shown]
	s_waitcnt lgkmcnt(0)
	s_barrier
	buffer_gl0_inv
	ds_load_2addr_stride64_b32 v[0:1], v43 offset1:2
	ds_load_2addr_stride64_b32 v[2:3], v43 offset0:4 offset1:6
	ds_load_2addr_stride64_b32 v[18:19], v43 offset0:8 offset1:10
	;; [unrolled: 1-line block ×3, first 2 shown]
	s_waitcnt lgkmcnt(0)
	s_barrier
	buffer_gl0_inv
	ds_store_b32 v4, v42
	ds_store_b32 v5, v41
	;; [unrolled: 1-line block ×8, first 2 shown]
	s_waitcnt lgkmcnt(0)
	s_barrier
	buffer_gl0_inv
	ds_load_2addr_stride64_b32 v[22:23], v43 offset1:2
	ds_load_2addr_stride64_b32 v[24:25], v43 offset0:4 offset1:6
	ds_load_2addr_stride64_b32 v[16:17], v43 offset0:8 offset1:10
	;; [unrolled: 1-line block ×3, first 2 shown]
	s_add_i32 s13, s13, 1
	s_delay_alu instid0(SALU_CYCLE_1)
	s_cmp_eq_u32 s13, 10
	v_xor_b32_e32 v5, 0x80000000, v0
	v_xor_b32_e32 v6, 0x80000000, v1
	v_xor_b32_e32 v7, 0x80000000, v2
	v_xor_b32_e32 v8, 0x80000000, v3
	v_xor_b32_e32 v1, 0x80000000, v18
	v_xor_b32_e32 v2, 0x80000000, v19
	v_xor_b32_e32 v3, 0x80000000, v20
	v_xor_b32_e32 v4, 0x80000000, v21
	s_cbranch_scc1 .LBB207_28
.LBB207_2:                              ; =>This Loop Header: Depth=1
                                        ;     Child Loop BB207_4 Depth 2
	v_xor_b32_e32 v5, 0x80000000, v5
	v_xor_b32_e32 v6, 0x80000000, v6
	;; [unrolled: 1-line block ×8, first 2 shown]
	ds_store_2addr_b64 v31, v[5:6], v[7:8] offset1:1
	ds_store_2addr_b64 v31, v[0:1], v[2:3] offset0:2 offset1:3
	; wave barrier
	ds_load_2addr_b32 v[0:1], v32 offset1:32
	ds_load_2addr_b32 v[2:3], v32 offset0:64 offset1:96
	ds_load_2addr_b32 v[18:19], v32 offset0:128 offset1:160
	;; [unrolled: 1-line block ×3, first 2 shown]
	; wave barrier
	s_waitcnt lgkmcnt(8)
	ds_store_2addr_b64 v31, v[22:23], v[24:25] offset1:1
	s_waitcnt lgkmcnt(7)
	ds_store_2addr_b64 v31, v[16:17], v[14:15] offset0:2 offset1:3
	; wave barrier
	ds_load_2addr_b32 v[4:5], v32 offset1:32
	ds_load_2addr_b32 v[6:7], v32 offset0:64 offset1:96
	ds_load_2addr_b32 v[14:15], v32 offset0:128 offset1:160
	;; [unrolled: 1-line block ×3, first 2 shown]
	s_mov_b32 s16, 0
	s_waitcnt lgkmcnt(0)
	s_barrier
	s_branch .LBB207_4
.LBB207_3:                              ;   in Loop: Header=BB207_4 Depth=2
	v_lshlrev_b32_e32 v4, 2, v58
	v_lshlrev_b32_e32 v7, 2, v51
	;; [unrolled: 1-line block ×8, first 2 shown]
	s_barrier
	buffer_gl0_inv
	ds_store_b32 v4, v23
	ds_store_b32 v5, v45
	;; [unrolled: 1-line block ×8, first 2 shown]
	s_waitcnt lgkmcnt(0)
	s_barrier
	buffer_gl0_inv
	ds_load_2addr_b32 v[0:1], v32 offset1:32
	ds_load_2addr_b32 v[2:3], v32 offset0:64 offset1:96
	ds_load_2addr_b32 v[18:19], v32 offset0:128 offset1:160
	;; [unrolled: 1-line block ×3, first 2 shown]
	s_waitcnt lgkmcnt(0)
	s_barrier
	buffer_gl0_inv
	ds_store_b32 v4, v42
	ds_store_b32 v5, v41
	ds_store_b32 v6, v40
	ds_store_b32 v7, v39
	ds_store_b32 v14, v38
	ds_store_b32 v15, v37
	ds_store_b32 v16, v36
	ds_store_b32 v17, v35
	s_waitcnt lgkmcnt(0)
	s_barrier
	buffer_gl0_inv
	ds_load_2addr_b32 v[4:5], v32 offset1:32
	ds_load_2addr_b32 v[6:7], v32 offset0:64 offset1:96
	ds_load_2addr_b32 v[14:15], v32 offset0:128 offset1:160
	;; [unrolled: 1-line block ×3, first 2 shown]
	s_add_i32 s16, s16, 8
	s_waitcnt lgkmcnt(0)
	s_barrier
	s_cbranch_execz .LBB207_1
.LBB207_4:                              ;   Parent Loop BB207_2 Depth=1
                                        ; =>  This Inner Loop Header: Depth=2
	v_dual_mov_b32 v23, v0 :: v_dual_mov_b32 v8, v21
	v_mov_b32_e32 v24, v19
	v_dual_mov_b32 v22, v20 :: v_dual_mov_b32 v25, v18
	s_delay_alu instid0(VALU_DEP_3)
	v_bfe_u32 v0, v23, s16, 1
	v_lshrrev_b32_e32 v19, s16, v23
	v_mov_b32_e32 v40, v6
	v_mov_b32_e32 v42, v4
	buffer_gl0_inv
	v_add_co_u32 v0, s12, v0, -1
	s_delay_alu instid0(VALU_DEP_1) | instskip(SKIP_3) | instid1(VALU_DEP_4)
	v_cndmask_b32_e64 v18, 0, 1, s12
	v_dual_mov_b32 v43, v3 :: v_dual_lshlrev_b32 v20, 30, v19
	v_lshlrev_b32_e32 v21, 29, v19
	v_dual_mov_b32 v44, v2 :: v_dual_lshlrev_b32 v35, 28, v19
	v_cmp_ne_u32_e32 vcc_lo, 0, v18
	s_delay_alu instid0(VALU_DEP_4)
	v_not_b32_e32 v18, v20
	v_cmp_gt_i32_e64 s12, 0, v20
	v_not_b32_e32 v20, v21
	v_dual_mov_b32 v45, v1 :: v_dual_lshlrev_b32 v36, 27, v19
	v_xor_b32_e32 v0, vcc_lo, v0
	v_ashrrev_i32_e32 v18, 31, v18
	v_cmp_gt_i32_e32 vcc_lo, 0, v21
	v_not_b32_e32 v21, v35
	v_ashrrev_i32_e32 v20, 31, v20
	v_and_b32_e32 v0, exec_lo, v0
	v_xor_b32_e32 v18, s12, v18
	v_lshlrev_b32_e32 v37, 26, v19
	v_cmp_gt_i32_e64 s12, 0, v35
	v_not_b32_e32 v35, v36
	v_ashrrev_i32_e32 v21, 31, v21
	v_xor_b32_e32 v20, vcc_lo, v20
	v_and_b32_e32 v0, v0, v18
	v_cmp_gt_i32_e32 vcc_lo, 0, v36
	v_ashrrev_i32_e32 v35, 31, v35
	v_xor_b32_e32 v21, s12, v21
	v_mov_b32_e32 v36, v16
	v_not_b32_e32 v18, v37
	v_cmp_gt_i32_e64 s12, 0, v37
	v_dual_mov_b32 v37, v15 :: v_dual_and_b32 v0, v0, v20
	v_dual_mov_b32 v39, v7 :: v_dual_lshlrev_b32 v20, 25, v19
	v_mov_b32_e32 v41, v5
	v_ashrrev_i32_e32 v18, 31, v18
	v_xor_b32_e32 v35, vcc_lo, v35
	v_and_b32_e32 v0, v0, v21
	v_not_b32_e32 v21, v20
	v_dual_mov_b32 v38, v14 :: v_dual_lshlrev_b32 v19, 24, v19
	v_cmp_gt_i32_e32 vcc_lo, 0, v20
	v_xor_b32_e32 v18, s12, v18
	v_and_b32_e32 v0, v0, v35
	v_ashrrev_i32_e32 v20, 31, v21
	v_not_b32_e32 v3, v19
	v_mov_b32_e32 v35, v17
	ds_store_2addr_b64 v26, v[10:11], v[12:13] offset0:2 offset1:3
	ds_store_2addr_b64 v28, v[10:11], v[12:13] offset0:2 offset1:3
	v_and_b32_e32 v0, v0, v18
	v_xor_b32_e32 v2, vcc_lo, v20
	v_cmp_gt_i32_e32 vcc_lo, 0, v19
	v_ashrrev_i32_e32 v3, 31, v3
	s_waitcnt lgkmcnt(0)
	s_barrier
	v_and_b32_e32 v0, v0, v2
	buffer_gl0_inv
	v_xor_b32_e32 v1, vcc_lo, v3
	; wave barrier
	s_delay_alu instid0(VALU_DEP_1) | instskip(SKIP_1) | instid1(VALU_DEP_2)
	v_and_b32_e32 v0, v0, v1
	v_bfe_u32 v1, v23, s16, 8
	v_mbcnt_lo_u32_b32 v14, v0, 0
	s_delay_alu instid0(VALU_DEP_2) | instskip(SKIP_1) | instid1(VALU_DEP_3)
	v_lshl_add_u32 v1, v1, 2, v34
	v_cmp_ne_u32_e64 s12, 0, v0
	v_cmp_eq_u32_e32 vcc_lo, 0, v14
	s_delay_alu instid0(VALU_DEP_3) | instskip(NEXT) | instid1(VALU_DEP_3)
	v_lshl_add_u32 v15, v1, 2, 16
	s_and_b32 s17, s12, vcc_lo
	s_delay_alu instid0(SALU_CYCLE_1)
	s_and_saveexec_b32 s12, s17
	s_cbranch_execz .LBB207_6
; %bb.5:                                ;   in Loop: Header=BB207_4 Depth=2
	v_bcnt_u32_b32 v0, v0, 0
	ds_store_b32 v15, v0
.LBB207_6:                              ;   in Loop: Header=BB207_4 Depth=2
	s_or_b32 exec_lo, exec_lo, s12
	v_bfe_u32 v0, v45, s16, 1
	v_lshrrev_b32_e32 v1, s16, v45
	; wave barrier
	s_delay_alu instid0(VALU_DEP_2) | instskip(NEXT) | instid1(VALU_DEP_1)
	v_add_co_u32 v0, s12, v0, -1
	v_cndmask_b32_e64 v2, 0, 1, s12
	s_delay_alu instid0(VALU_DEP_3)
	v_lshlrev_b32_e32 v3, 30, v1
	v_lshlrev_b32_e32 v4, 29, v1
	;; [unrolled: 1-line block ×4, first 2 shown]
	v_cmp_ne_u32_e32 vcc_lo, 0, v2
	v_not_b32_e32 v2, v3
	v_cmp_gt_i32_e64 s12, 0, v3
	v_not_b32_e32 v3, v4
	v_lshlrev_b32_e32 v7, 26, v1
	v_xor_b32_e32 v0, vcc_lo, v0
	v_ashrrev_i32_e32 v2, 31, v2
	v_cmp_gt_i32_e32 vcc_lo, 0, v4
	v_not_b32_e32 v4, v5
	v_ashrrev_i32_e32 v3, 31, v3
	v_and_b32_e32 v0, exec_lo, v0
	v_xor_b32_e32 v2, s12, v2
	v_cmp_gt_i32_e64 s12, 0, v5
	v_not_b32_e32 v5, v6
	v_ashrrev_i32_e32 v4, 31, v4
	v_xor_b32_e32 v3, vcc_lo, v3
	v_and_b32_e32 v0, v0, v2
	v_cmp_gt_i32_e32 vcc_lo, 0, v6
	v_not_b32_e32 v2, v7
	v_ashrrev_i32_e32 v5, 31, v5
	v_xor_b32_e32 v4, s12, v4
	v_and_b32_e32 v0, v0, v3
	v_lshlrev_b32_e32 v3, 25, v1
	v_cmp_gt_i32_e64 s12, 0, v7
	v_ashrrev_i32_e32 v2, 31, v2
	v_xor_b32_e32 v5, vcc_lo, v5
	v_and_b32_e32 v0, v0, v4
	v_not_b32_e32 v6, v3
	v_lshlrev_b32_e32 v1, 24, v1
	v_bfe_u32 v4, v45, s16, 8
	v_xor_b32_e32 v2, s12, v2
	v_and_b32_e32 v0, v0, v5
	v_cmp_gt_i32_e32 vcc_lo, 0, v3
	v_ashrrev_i32_e32 v3, 31, v6
	v_not_b32_e32 v5, v1
	v_lshlrev_b32_e32 v4, 2, v4
	v_and_b32_e32 v0, v0, v2
	s_delay_alu instid0(VALU_DEP_4) | instskip(SKIP_3) | instid1(VALU_DEP_4)
	v_xor_b32_e32 v2, vcc_lo, v3
	v_cmp_gt_i32_e32 vcc_lo, 0, v1
	v_ashrrev_i32_e32 v1, 31, v5
	v_add_lshl_u32 v3, v4, v34, 2
	v_and_b32_e32 v0, v0, v2
	s_delay_alu instid0(VALU_DEP_3) | instskip(SKIP_3) | instid1(VALU_DEP_1)
	v_xor_b32_e32 v1, vcc_lo, v1
	ds_load_b32 v16, v3 offset:16
	v_add_nc_u32_e32 v18, 16, v3
	; wave barrier
	v_and_b32_e32 v0, v0, v1
	v_mbcnt_lo_u32_b32 v17, v0, 0
	v_cmp_ne_u32_e64 s12, 0, v0
	s_delay_alu instid0(VALU_DEP_2) | instskip(NEXT) | instid1(VALU_DEP_2)
	v_cmp_eq_u32_e32 vcc_lo, 0, v17
	s_and_b32 s17, s12, vcc_lo
	s_delay_alu instid0(SALU_CYCLE_1)
	s_and_saveexec_b32 s12, s17
	s_cbranch_execz .LBB207_8
; %bb.7:                                ;   in Loop: Header=BB207_4 Depth=2
	s_waitcnt lgkmcnt(0)
	v_bcnt_u32_b32 v0, v0, v16
	ds_store_b32 v18, v0
.LBB207_8:                              ;   in Loop: Header=BB207_4 Depth=2
	s_or_b32 exec_lo, exec_lo, s12
	v_bfe_u32 v0, v44, s16, 1
	v_lshrrev_b32_e32 v1, s16, v44
	; wave barrier
	s_delay_alu instid0(VALU_DEP_2) | instskip(NEXT) | instid1(VALU_DEP_1)
	v_add_co_u32 v0, s12, v0, -1
	v_cndmask_b32_e64 v2, 0, 1, s12
	s_delay_alu instid0(VALU_DEP_3)
	v_lshlrev_b32_e32 v3, 30, v1
	v_lshlrev_b32_e32 v4, 29, v1
	;; [unrolled: 1-line block ×4, first 2 shown]
	v_cmp_ne_u32_e32 vcc_lo, 0, v2
	v_not_b32_e32 v2, v3
	v_cmp_gt_i32_e64 s12, 0, v3
	v_not_b32_e32 v3, v4
	v_lshlrev_b32_e32 v7, 26, v1
	v_xor_b32_e32 v0, vcc_lo, v0
	v_ashrrev_i32_e32 v2, 31, v2
	v_cmp_gt_i32_e32 vcc_lo, 0, v4
	v_not_b32_e32 v4, v5
	v_ashrrev_i32_e32 v3, 31, v3
	v_and_b32_e32 v0, exec_lo, v0
	v_xor_b32_e32 v2, s12, v2
	v_cmp_gt_i32_e64 s12, 0, v5
	v_not_b32_e32 v5, v6
	v_ashrrev_i32_e32 v4, 31, v4
	v_xor_b32_e32 v3, vcc_lo, v3
	v_and_b32_e32 v0, v0, v2
	v_cmp_gt_i32_e32 vcc_lo, 0, v6
	v_not_b32_e32 v2, v7
	v_ashrrev_i32_e32 v5, 31, v5
	v_xor_b32_e32 v4, s12, v4
	v_and_b32_e32 v0, v0, v3
	v_lshlrev_b32_e32 v3, 25, v1
	v_cmp_gt_i32_e64 s12, 0, v7
	v_ashrrev_i32_e32 v2, 31, v2
	v_xor_b32_e32 v5, vcc_lo, v5
	v_and_b32_e32 v0, v0, v4
	v_not_b32_e32 v6, v3
	v_lshlrev_b32_e32 v1, 24, v1
	v_bfe_u32 v4, v44, s16, 8
	v_xor_b32_e32 v2, s12, v2
	v_and_b32_e32 v0, v0, v5
	v_cmp_gt_i32_e32 vcc_lo, 0, v3
	v_ashrrev_i32_e32 v3, 31, v6
	v_not_b32_e32 v5, v1
	v_lshlrev_b32_e32 v4, 2, v4
	v_and_b32_e32 v0, v0, v2
	s_delay_alu instid0(VALU_DEP_4) | instskip(SKIP_3) | instid1(VALU_DEP_4)
	v_xor_b32_e32 v2, vcc_lo, v3
	v_cmp_gt_i32_e32 vcc_lo, 0, v1
	v_ashrrev_i32_e32 v1, 31, v5
	v_add_lshl_u32 v3, v4, v34, 2
	v_and_b32_e32 v0, v0, v2
	s_delay_alu instid0(VALU_DEP_3) | instskip(SKIP_3) | instid1(VALU_DEP_1)
	v_xor_b32_e32 v1, vcc_lo, v1
	ds_load_b32 v19, v3 offset:16
	v_add_nc_u32_e32 v21, 16, v3
	; wave barrier
	v_and_b32_e32 v0, v0, v1
	v_mbcnt_lo_u32_b32 v20, v0, 0
	v_cmp_ne_u32_e64 s12, 0, v0
	s_delay_alu instid0(VALU_DEP_2) | instskip(NEXT) | instid1(VALU_DEP_2)
	v_cmp_eq_u32_e32 vcc_lo, 0, v20
	s_and_b32 s17, s12, vcc_lo
	s_delay_alu instid0(SALU_CYCLE_1)
	s_and_saveexec_b32 s12, s17
	s_cbranch_execz .LBB207_10
; %bb.9:                                ;   in Loop: Header=BB207_4 Depth=2
	s_waitcnt lgkmcnt(0)
	v_bcnt_u32_b32 v0, v0, v19
	ds_store_b32 v21, v0
.LBB207_10:                             ;   in Loop: Header=BB207_4 Depth=2
	s_or_b32 exec_lo, exec_lo, s12
	v_bfe_u32 v0, v43, s16, 1
	v_lshrrev_b32_e32 v1, s16, v43
	; wave barrier
	s_delay_alu instid0(VALU_DEP_2) | instskip(NEXT) | instid1(VALU_DEP_1)
	v_add_co_u32 v0, s12, v0, -1
	v_cndmask_b32_e64 v2, 0, 1, s12
	s_delay_alu instid0(VALU_DEP_3)
	v_lshlrev_b32_e32 v3, 30, v1
	v_lshlrev_b32_e32 v4, 29, v1
	;; [unrolled: 1-line block ×4, first 2 shown]
	v_cmp_ne_u32_e32 vcc_lo, 0, v2
	v_not_b32_e32 v2, v3
	v_cmp_gt_i32_e64 s12, 0, v3
	v_not_b32_e32 v3, v4
	v_lshlrev_b32_e32 v7, 26, v1
	v_xor_b32_e32 v0, vcc_lo, v0
	v_ashrrev_i32_e32 v2, 31, v2
	v_cmp_gt_i32_e32 vcc_lo, 0, v4
	v_not_b32_e32 v4, v5
	v_ashrrev_i32_e32 v3, 31, v3
	v_and_b32_e32 v0, exec_lo, v0
	v_xor_b32_e32 v2, s12, v2
	v_cmp_gt_i32_e64 s12, 0, v5
	v_not_b32_e32 v5, v6
	v_ashrrev_i32_e32 v4, 31, v4
	v_xor_b32_e32 v3, vcc_lo, v3
	v_and_b32_e32 v0, v0, v2
	v_cmp_gt_i32_e32 vcc_lo, 0, v6
	v_not_b32_e32 v2, v7
	v_ashrrev_i32_e32 v5, 31, v5
	v_xor_b32_e32 v4, s12, v4
	v_and_b32_e32 v0, v0, v3
	v_lshlrev_b32_e32 v3, 25, v1
	v_cmp_gt_i32_e64 s12, 0, v7
	v_ashrrev_i32_e32 v2, 31, v2
	v_xor_b32_e32 v5, vcc_lo, v5
	v_and_b32_e32 v0, v0, v4
	v_not_b32_e32 v6, v3
	v_lshlrev_b32_e32 v1, 24, v1
	v_bfe_u32 v4, v43, s16, 8
	v_xor_b32_e32 v2, s12, v2
	v_and_b32_e32 v0, v0, v5
	v_cmp_gt_i32_e32 vcc_lo, 0, v3
	v_ashrrev_i32_e32 v3, 31, v6
	v_not_b32_e32 v5, v1
	v_lshlrev_b32_e32 v4, 2, v4
	v_and_b32_e32 v0, v0, v2
	s_delay_alu instid0(VALU_DEP_4) | instskip(SKIP_3) | instid1(VALU_DEP_4)
	v_xor_b32_e32 v2, vcc_lo, v3
	v_cmp_gt_i32_e32 vcc_lo, 0, v1
	v_ashrrev_i32_e32 v1, 31, v5
	v_add_lshl_u32 v3, v4, v34, 2
	v_and_b32_e32 v0, v0, v2
	s_delay_alu instid0(VALU_DEP_3) | instskip(SKIP_3) | instid1(VALU_DEP_1)
	v_xor_b32_e32 v1, vcc_lo, v1
	ds_load_b32 v46, v3 offset:16
	v_add_nc_u32_e32 v48, 16, v3
	; wave barrier
	v_and_b32_e32 v0, v0, v1
	v_mbcnt_lo_u32_b32 v47, v0, 0
	v_cmp_ne_u32_e64 s12, 0, v0
	s_delay_alu instid0(VALU_DEP_2) | instskip(NEXT) | instid1(VALU_DEP_2)
	v_cmp_eq_u32_e32 vcc_lo, 0, v47
	s_and_b32 s17, s12, vcc_lo
	s_delay_alu instid0(SALU_CYCLE_1)
	s_and_saveexec_b32 s12, s17
	s_cbranch_execz .LBB207_12
; %bb.11:                               ;   in Loop: Header=BB207_4 Depth=2
	s_waitcnt lgkmcnt(0)
	v_bcnt_u32_b32 v0, v0, v46
	ds_store_b32 v48, v0
.LBB207_12:                             ;   in Loop: Header=BB207_4 Depth=2
	s_or_b32 exec_lo, exec_lo, s12
	v_bfe_u32 v0, v25, s16, 1
	v_lshrrev_b32_e32 v1, s16, v25
	; wave barrier
	s_delay_alu instid0(VALU_DEP_2) | instskip(NEXT) | instid1(VALU_DEP_1)
	v_add_co_u32 v0, s12, v0, -1
	v_cndmask_b32_e64 v2, 0, 1, s12
	s_delay_alu instid0(VALU_DEP_3)
	v_lshlrev_b32_e32 v3, 30, v1
	v_lshlrev_b32_e32 v4, 29, v1
	;; [unrolled: 1-line block ×4, first 2 shown]
	v_cmp_ne_u32_e32 vcc_lo, 0, v2
	v_not_b32_e32 v2, v3
	v_cmp_gt_i32_e64 s12, 0, v3
	v_not_b32_e32 v3, v4
	v_lshlrev_b32_e32 v7, 26, v1
	v_xor_b32_e32 v0, vcc_lo, v0
	v_ashrrev_i32_e32 v2, 31, v2
	v_cmp_gt_i32_e32 vcc_lo, 0, v4
	v_not_b32_e32 v4, v5
	v_ashrrev_i32_e32 v3, 31, v3
	v_and_b32_e32 v0, exec_lo, v0
	v_xor_b32_e32 v2, s12, v2
	v_cmp_gt_i32_e64 s12, 0, v5
	v_not_b32_e32 v5, v6
	v_ashrrev_i32_e32 v4, 31, v4
	v_xor_b32_e32 v3, vcc_lo, v3
	v_and_b32_e32 v0, v0, v2
	v_cmp_gt_i32_e32 vcc_lo, 0, v6
	v_not_b32_e32 v2, v7
	v_ashrrev_i32_e32 v5, 31, v5
	v_xor_b32_e32 v4, s12, v4
	v_and_b32_e32 v0, v0, v3
	v_lshlrev_b32_e32 v3, 25, v1
	v_cmp_gt_i32_e64 s12, 0, v7
	v_ashrrev_i32_e32 v2, 31, v2
	v_xor_b32_e32 v5, vcc_lo, v5
	v_and_b32_e32 v0, v0, v4
	v_not_b32_e32 v6, v3
	v_lshlrev_b32_e32 v1, 24, v1
	v_bfe_u32 v4, v25, s16, 8
	v_xor_b32_e32 v2, s12, v2
	v_and_b32_e32 v0, v0, v5
	v_cmp_gt_i32_e32 vcc_lo, 0, v3
	v_ashrrev_i32_e32 v3, 31, v6
	v_not_b32_e32 v5, v1
	v_lshlrev_b32_e32 v4, 2, v4
	v_and_b32_e32 v0, v0, v2
	s_delay_alu instid0(VALU_DEP_4) | instskip(SKIP_3) | instid1(VALU_DEP_4)
	v_xor_b32_e32 v2, vcc_lo, v3
	v_cmp_gt_i32_e32 vcc_lo, 0, v1
	v_ashrrev_i32_e32 v1, 31, v5
	v_add_lshl_u32 v3, v4, v34, 2
	v_and_b32_e32 v0, v0, v2
	s_delay_alu instid0(VALU_DEP_3) | instskip(SKIP_3) | instid1(VALU_DEP_1)
	v_xor_b32_e32 v1, vcc_lo, v1
	ds_load_b32 v49, v3 offset:16
	v_add_nc_u32_e32 v51, 16, v3
	; wave barrier
	v_and_b32_e32 v0, v0, v1
	v_mbcnt_lo_u32_b32 v50, v0, 0
	v_cmp_ne_u32_e64 s12, 0, v0
	s_delay_alu instid0(VALU_DEP_2) | instskip(NEXT) | instid1(VALU_DEP_2)
	v_cmp_eq_u32_e32 vcc_lo, 0, v50
	s_and_b32 s17, s12, vcc_lo
	s_delay_alu instid0(SALU_CYCLE_1)
	s_and_saveexec_b32 s12, s17
	s_cbranch_execz .LBB207_14
; %bb.13:                               ;   in Loop: Header=BB207_4 Depth=2
	s_waitcnt lgkmcnt(0)
	v_bcnt_u32_b32 v0, v0, v49
	ds_store_b32 v51, v0
.LBB207_14:                             ;   in Loop: Header=BB207_4 Depth=2
	s_or_b32 exec_lo, exec_lo, s12
	v_bfe_u32 v0, v24, s16, 1
	v_lshrrev_b32_e32 v1, s16, v24
	; wave barrier
	s_delay_alu instid0(VALU_DEP_2) | instskip(NEXT) | instid1(VALU_DEP_1)
	v_add_co_u32 v0, s12, v0, -1
	v_cndmask_b32_e64 v2, 0, 1, s12
	s_delay_alu instid0(VALU_DEP_3)
	v_lshlrev_b32_e32 v3, 30, v1
	v_lshlrev_b32_e32 v4, 29, v1
	;; [unrolled: 1-line block ×4, first 2 shown]
	v_cmp_ne_u32_e32 vcc_lo, 0, v2
	v_not_b32_e32 v2, v3
	v_cmp_gt_i32_e64 s12, 0, v3
	v_not_b32_e32 v3, v4
	v_lshlrev_b32_e32 v7, 26, v1
	v_xor_b32_e32 v0, vcc_lo, v0
	v_ashrrev_i32_e32 v2, 31, v2
	v_cmp_gt_i32_e32 vcc_lo, 0, v4
	v_not_b32_e32 v4, v5
	v_ashrrev_i32_e32 v3, 31, v3
	v_and_b32_e32 v0, exec_lo, v0
	v_xor_b32_e32 v2, s12, v2
	v_cmp_gt_i32_e64 s12, 0, v5
	v_not_b32_e32 v5, v6
	v_ashrrev_i32_e32 v4, 31, v4
	v_xor_b32_e32 v3, vcc_lo, v3
	v_and_b32_e32 v0, v0, v2
	v_cmp_gt_i32_e32 vcc_lo, 0, v6
	v_not_b32_e32 v2, v7
	v_ashrrev_i32_e32 v5, 31, v5
	v_xor_b32_e32 v4, s12, v4
	v_and_b32_e32 v0, v0, v3
	v_lshlrev_b32_e32 v3, 25, v1
	v_cmp_gt_i32_e64 s12, 0, v7
	v_ashrrev_i32_e32 v2, 31, v2
	v_xor_b32_e32 v5, vcc_lo, v5
	v_and_b32_e32 v0, v0, v4
	v_not_b32_e32 v6, v3
	v_lshlrev_b32_e32 v1, 24, v1
	v_bfe_u32 v4, v24, s16, 8
	v_xor_b32_e32 v2, s12, v2
	v_and_b32_e32 v0, v0, v5
	v_cmp_gt_i32_e32 vcc_lo, 0, v3
	v_ashrrev_i32_e32 v3, 31, v6
	v_not_b32_e32 v5, v1
	v_lshlrev_b32_e32 v4, 2, v4
	v_and_b32_e32 v0, v0, v2
	s_delay_alu instid0(VALU_DEP_4) | instskip(SKIP_3) | instid1(VALU_DEP_4)
	v_xor_b32_e32 v2, vcc_lo, v3
	v_cmp_gt_i32_e32 vcc_lo, 0, v1
	v_ashrrev_i32_e32 v1, 31, v5
	v_add_lshl_u32 v3, v4, v34, 2
	v_and_b32_e32 v0, v0, v2
	s_delay_alu instid0(VALU_DEP_3) | instskip(SKIP_3) | instid1(VALU_DEP_1)
	v_xor_b32_e32 v1, vcc_lo, v1
	ds_load_b32 v52, v3 offset:16
	v_add_nc_u32_e32 v54, 16, v3
	; wave barrier
	v_and_b32_e32 v0, v0, v1
	v_mbcnt_lo_u32_b32 v53, v0, 0
	v_cmp_ne_u32_e64 s12, 0, v0
	s_delay_alu instid0(VALU_DEP_2) | instskip(NEXT) | instid1(VALU_DEP_2)
	v_cmp_eq_u32_e32 vcc_lo, 0, v53
	s_and_b32 s17, s12, vcc_lo
	s_delay_alu instid0(SALU_CYCLE_1)
	s_and_saveexec_b32 s12, s17
	s_cbranch_execz .LBB207_16
; %bb.15:                               ;   in Loop: Header=BB207_4 Depth=2
	s_waitcnt lgkmcnt(0)
	v_bcnt_u32_b32 v0, v0, v52
	ds_store_b32 v54, v0
.LBB207_16:                             ;   in Loop: Header=BB207_4 Depth=2
	s_or_b32 exec_lo, exec_lo, s12
	v_bfe_u32 v0, v22, s16, 1
	v_lshrrev_b32_e32 v1, s16, v22
	; wave barrier
	s_delay_alu instid0(VALU_DEP_2) | instskip(NEXT) | instid1(VALU_DEP_1)
	v_add_co_u32 v0, s12, v0, -1
	v_cndmask_b32_e64 v2, 0, 1, s12
	s_delay_alu instid0(VALU_DEP_3)
	v_lshlrev_b32_e32 v3, 30, v1
	v_lshlrev_b32_e32 v4, 29, v1
	;; [unrolled: 1-line block ×4, first 2 shown]
	v_cmp_ne_u32_e32 vcc_lo, 0, v2
	v_not_b32_e32 v2, v3
	v_cmp_gt_i32_e64 s12, 0, v3
	v_not_b32_e32 v3, v4
	v_lshlrev_b32_e32 v7, 26, v1
	v_xor_b32_e32 v0, vcc_lo, v0
	v_ashrrev_i32_e32 v2, 31, v2
	v_cmp_gt_i32_e32 vcc_lo, 0, v4
	v_not_b32_e32 v4, v5
	v_ashrrev_i32_e32 v3, 31, v3
	v_and_b32_e32 v0, exec_lo, v0
	v_xor_b32_e32 v2, s12, v2
	v_cmp_gt_i32_e64 s12, 0, v5
	v_not_b32_e32 v5, v6
	v_ashrrev_i32_e32 v4, 31, v4
	v_xor_b32_e32 v3, vcc_lo, v3
	v_and_b32_e32 v0, v0, v2
	v_cmp_gt_i32_e32 vcc_lo, 0, v6
	v_not_b32_e32 v2, v7
	v_ashrrev_i32_e32 v5, 31, v5
	v_xor_b32_e32 v4, s12, v4
	v_and_b32_e32 v0, v0, v3
	v_lshlrev_b32_e32 v3, 25, v1
	v_cmp_gt_i32_e64 s12, 0, v7
	v_ashrrev_i32_e32 v2, 31, v2
	v_xor_b32_e32 v5, vcc_lo, v5
	v_and_b32_e32 v0, v0, v4
	v_not_b32_e32 v6, v3
	v_lshlrev_b32_e32 v1, 24, v1
	v_bfe_u32 v4, v22, s16, 8
	v_xor_b32_e32 v2, s12, v2
	v_and_b32_e32 v0, v0, v5
	v_cmp_gt_i32_e32 vcc_lo, 0, v3
	v_ashrrev_i32_e32 v3, 31, v6
	v_not_b32_e32 v5, v1
	v_lshlrev_b32_e32 v4, 2, v4
	v_and_b32_e32 v0, v0, v2
	s_delay_alu instid0(VALU_DEP_4) | instskip(SKIP_3) | instid1(VALU_DEP_4)
	v_xor_b32_e32 v2, vcc_lo, v3
	v_cmp_gt_i32_e32 vcc_lo, 0, v1
	v_ashrrev_i32_e32 v1, 31, v5
	v_add_lshl_u32 v3, v4, v34, 2
	v_and_b32_e32 v0, v0, v2
	s_delay_alu instid0(VALU_DEP_3) | instskip(SKIP_3) | instid1(VALU_DEP_1)
	v_xor_b32_e32 v1, vcc_lo, v1
	ds_load_b32 v55, v3 offset:16
	v_add_nc_u32_e32 v57, 16, v3
	; wave barrier
	v_and_b32_e32 v0, v0, v1
	v_mbcnt_lo_u32_b32 v56, v0, 0
	v_cmp_ne_u32_e64 s12, 0, v0
	s_delay_alu instid0(VALU_DEP_2) | instskip(NEXT) | instid1(VALU_DEP_2)
	v_cmp_eq_u32_e32 vcc_lo, 0, v56
	s_and_b32 s17, s12, vcc_lo
	s_delay_alu instid0(SALU_CYCLE_1)
	s_and_saveexec_b32 s12, s17
	s_cbranch_execz .LBB207_18
; %bb.17:                               ;   in Loop: Header=BB207_4 Depth=2
	s_waitcnt lgkmcnt(0)
	v_bcnt_u32_b32 v0, v0, v55
	ds_store_b32 v57, v0
.LBB207_18:                             ;   in Loop: Header=BB207_4 Depth=2
	s_or_b32 exec_lo, exec_lo, s12
	v_bfe_u32 v0, v8, s16, 1
	v_lshrrev_b32_e32 v1, s16, v8
	; wave barrier
	s_delay_alu instid0(VALU_DEP_2) | instskip(NEXT) | instid1(VALU_DEP_1)
	v_add_co_u32 v0, s12, v0, -1
	v_cndmask_b32_e64 v2, 0, 1, s12
	s_delay_alu instid0(VALU_DEP_3)
	v_lshlrev_b32_e32 v3, 30, v1
	v_lshlrev_b32_e32 v4, 29, v1
	;; [unrolled: 1-line block ×4, first 2 shown]
	v_cmp_ne_u32_e32 vcc_lo, 0, v2
	v_not_b32_e32 v2, v3
	v_cmp_gt_i32_e64 s12, 0, v3
	v_not_b32_e32 v3, v4
	v_lshlrev_b32_e32 v7, 26, v1
	v_xor_b32_e32 v0, vcc_lo, v0
	v_ashrrev_i32_e32 v2, 31, v2
	v_cmp_gt_i32_e32 vcc_lo, 0, v4
	v_not_b32_e32 v4, v5
	v_ashrrev_i32_e32 v3, 31, v3
	v_and_b32_e32 v0, exec_lo, v0
	v_xor_b32_e32 v2, s12, v2
	v_cmp_gt_i32_e64 s12, 0, v5
	v_not_b32_e32 v5, v6
	v_ashrrev_i32_e32 v4, 31, v4
	v_xor_b32_e32 v3, vcc_lo, v3
	v_and_b32_e32 v0, v0, v2
	v_cmp_gt_i32_e32 vcc_lo, 0, v6
	v_not_b32_e32 v2, v7
	v_ashrrev_i32_e32 v5, 31, v5
	v_xor_b32_e32 v4, s12, v4
	v_and_b32_e32 v0, v0, v3
	v_lshlrev_b32_e32 v3, 25, v1
	v_cmp_gt_i32_e64 s12, 0, v7
	v_ashrrev_i32_e32 v2, 31, v2
	v_xor_b32_e32 v5, vcc_lo, v5
	v_and_b32_e32 v0, v0, v4
	v_not_b32_e32 v6, v3
	v_lshlrev_b32_e32 v1, 24, v1
	v_bfe_u32 v4, v8, s16, 8
	v_xor_b32_e32 v2, s12, v2
	v_and_b32_e32 v0, v0, v5
	v_cmp_gt_i32_e32 vcc_lo, 0, v3
	v_ashrrev_i32_e32 v3, 31, v6
	v_not_b32_e32 v5, v1
	v_lshlrev_b32_e32 v4, 2, v4
	v_and_b32_e32 v0, v0, v2
	s_delay_alu instid0(VALU_DEP_4) | instskip(SKIP_3) | instid1(VALU_DEP_4)
	v_xor_b32_e32 v2, vcc_lo, v3
	v_cmp_gt_i32_e32 vcc_lo, 0, v1
	v_ashrrev_i32_e32 v1, 31, v5
	v_add_lshl_u32 v3, v4, v34, 2
	v_and_b32_e32 v0, v0, v2
	s_delay_alu instid0(VALU_DEP_3) | instskip(SKIP_3) | instid1(VALU_DEP_1)
	v_xor_b32_e32 v1, vcc_lo, v1
	ds_load_b32 v59, v3 offset:16
	v_add_nc_u32_e32 v58, 16, v3
	; wave barrier
	v_and_b32_e32 v0, v0, v1
	v_mbcnt_lo_u32_b32 v60, v0, 0
	v_cmp_ne_u32_e64 s12, 0, v0
	s_delay_alu instid0(VALU_DEP_2) | instskip(NEXT) | instid1(VALU_DEP_2)
	v_cmp_eq_u32_e32 vcc_lo, 0, v60
	s_and_b32 s17, s12, vcc_lo
	s_delay_alu instid0(SALU_CYCLE_1)
	s_and_saveexec_b32 s12, s17
	s_cbranch_execz .LBB207_20
; %bb.19:                               ;   in Loop: Header=BB207_4 Depth=2
	s_waitcnt lgkmcnt(0)
	v_bcnt_u32_b32 v0, v0, v59
	ds_store_b32 v58, v0
.LBB207_20:                             ;   in Loop: Header=BB207_4 Depth=2
	s_or_b32 exec_lo, exec_lo, s12
	; wave barrier
	s_waitcnt lgkmcnt(0)
	s_barrier
	buffer_gl0_inv
	ds_load_2addr_b64 v[4:7], v26 offset0:2 offset1:3
	ds_load_2addr_b64 v[0:3], v28 offset0:2 offset1:3
	s_waitcnt lgkmcnt(1)
	v_add_nc_u32_e32 v61, v5, v4
	s_delay_alu instid0(VALU_DEP_1) | instskip(SKIP_1) | instid1(VALU_DEP_1)
	v_add3_u32 v61, v61, v6, v7
	s_waitcnt lgkmcnt(0)
	v_add3_u32 v61, v61, v0, v1
	s_delay_alu instid0(VALU_DEP_1) | instskip(NEXT) | instid1(VALU_DEP_1)
	v_add3_u32 v3, v61, v2, v3
	v_mov_b32_dpp v61, v3 row_shr:1 row_mask:0xf bank_mask:0xf
	s_delay_alu instid0(VALU_DEP_1) | instskip(NEXT) | instid1(VALU_DEP_1)
	v_cndmask_b32_e64 v61, v61, 0, s1
	v_add_nc_u32_e32 v3, v61, v3
	s_delay_alu instid0(VALU_DEP_1) | instskip(NEXT) | instid1(VALU_DEP_1)
	v_mov_b32_dpp v61, v3 row_shr:2 row_mask:0xf bank_mask:0xf
	v_cndmask_b32_e64 v61, 0, v61, s2
	s_delay_alu instid0(VALU_DEP_1) | instskip(NEXT) | instid1(VALU_DEP_1)
	v_add_nc_u32_e32 v3, v3, v61
	v_mov_b32_dpp v61, v3 row_shr:4 row_mask:0xf bank_mask:0xf
	s_delay_alu instid0(VALU_DEP_1) | instskip(NEXT) | instid1(VALU_DEP_1)
	v_cndmask_b32_e64 v61, 0, v61, s3
	v_add_nc_u32_e32 v3, v3, v61
	s_delay_alu instid0(VALU_DEP_1) | instskip(NEXT) | instid1(VALU_DEP_1)
	v_mov_b32_dpp v61, v3 row_shr:8 row_mask:0xf bank_mask:0xf
	v_cndmask_b32_e64 v61, 0, v61, s4
	s_delay_alu instid0(VALU_DEP_1) | instskip(SKIP_3) | instid1(VALU_DEP_1)
	v_add_nc_u32_e32 v3, v3, v61
	ds_swizzle_b32 v61, v3 offset:swizzle(BROADCAST,32,15)
	s_waitcnt lgkmcnt(0)
	v_cndmask_b32_e64 v61, v61, 0, s5
	v_add_nc_u32_e32 v3, v3, v61
	s_and_saveexec_b32 s12, s11
	s_cbranch_execz .LBB207_22
; %bb.21:                               ;   in Loop: Header=BB207_4 Depth=2
	ds_store_b32 v29, v3
.LBB207_22:                             ;   in Loop: Header=BB207_4 Depth=2
	s_or_b32 exec_lo, exec_lo, s12
	s_waitcnt lgkmcnt(0)
	s_barrier
	buffer_gl0_inv
	s_and_saveexec_b32 s12, s6
	s_cbranch_execz .LBB207_24
; %bb.23:                               ;   in Loop: Header=BB207_4 Depth=2
	v_add_nc_u32_e32 v61, v26, v27
	ds_load_b32 v62, v61
	s_waitcnt lgkmcnt(0)
	v_mov_b32_dpp v63, v62 row_shr:1 row_mask:0xf bank_mask:0xf
	s_delay_alu instid0(VALU_DEP_1) | instskip(NEXT) | instid1(VALU_DEP_1)
	v_cndmask_b32_e64 v63, v63, 0, s9
	v_add_nc_u32_e32 v62, v63, v62
	s_delay_alu instid0(VALU_DEP_1) | instskip(NEXT) | instid1(VALU_DEP_1)
	v_mov_b32_dpp v63, v62 row_shr:2 row_mask:0xf bank_mask:0xf
	v_cndmask_b32_e64 v63, 0, v63, s10
	s_delay_alu instid0(VALU_DEP_1)
	v_add_nc_u32_e32 v62, v62, v63
	ds_store_b32 v61, v62
.LBB207_24:                             ;   in Loop: Header=BB207_4 Depth=2
	s_or_b32 exec_lo, exec_lo, s12
	v_mov_b32_e32 v61, 0
	s_waitcnt lgkmcnt(0)
	s_barrier
	buffer_gl0_inv
	s_and_saveexec_b32 s12, s7
	s_cbranch_execz .LBB207_26
; %bb.25:                               ;   in Loop: Header=BB207_4 Depth=2
	ds_load_b32 v61, v33
.LBB207_26:                             ;   in Loop: Header=BB207_4 Depth=2
	s_or_b32 exec_lo, exec_lo, s12
	s_waitcnt lgkmcnt(0)
	v_add_nc_u32_e32 v3, v61, v3
	s_cmp_gt_u32 s16, 23
	ds_bpermute_b32 v3, v30, v3
	s_waitcnt lgkmcnt(0)
	v_cndmask_b32_e64 v3, v3, v61, s0
	s_delay_alu instid0(VALU_DEP_1) | instskip(NEXT) | instid1(VALU_DEP_1)
	v_cndmask_b32_e64 v3, v3, 0, s8
	v_add_nc_u32_e32 v4, v3, v4
	s_delay_alu instid0(VALU_DEP_1) | instskip(NEXT) | instid1(VALU_DEP_1)
	v_add_nc_u32_e32 v5, v4, v5
	v_add_nc_u32_e32 v6, v5, v6
	s_delay_alu instid0(VALU_DEP_1) | instskip(NEXT) | instid1(VALU_DEP_1)
	v_add_nc_u32_e32 v61, v6, v7
	;; [unrolled: 3-line block ×3, first 2 shown]
	v_add_nc_u32_e32 v1, v0, v2
	ds_store_2addr_b64 v26, v[3:4], v[5:6] offset0:2 offset1:3
	ds_store_2addr_b64 v28, v[61:62], v[0:1] offset0:2 offset1:3
	s_waitcnt lgkmcnt(0)
	s_barrier
	buffer_gl0_inv
	ds_load_b32 v0, v15
	ds_load_b32 v1, v18
	;; [unrolled: 1-line block ×8, first 2 shown]
	s_waitcnt lgkmcnt(7)
	v_add_nc_u32_e32 v58, v0, v14
	s_waitcnt lgkmcnt(6)
	v_add3_u32 v57, v17, v16, v1
	s_waitcnt lgkmcnt(5)
	v_add3_u32 v54, v20, v19, v2
	;; [unrolled: 2-line block ×7, first 2 shown]
	s_cbranch_scc0 .LBB207_3
; %bb.27:                               ;   in Loop: Header=BB207_2 Depth=1
                                        ; implicit-def: $vgpr21
                                        ; implicit-def: $vgpr19
                                        ; implicit-def: $vgpr3
                                        ; implicit-def: $vgpr1
                                        ; implicit-def: $vgpr17
                                        ; implicit-def: $vgpr15
                                        ; implicit-def: $vgpr7
                                        ; implicit-def: $vgpr5
                                        ; implicit-def: $sgpr16
	s_branch .LBB207_1
.LBB207_28:
	s_waitcnt lgkmcnt(3)
	v_add_nc_u32_e32 v0, v5, v22
	v_add_nc_u32_e32 v5, v6, v23
	s_waitcnt lgkmcnt(2)
	v_add_nc_u32_e32 v6, v7, v24
	v_add_nc_u32_e32 v7, v8, v25
	v_lshlrev_b32_e32 v8, 2, v9
	s_add_u32 s0, s18, s14
	s_addc_u32 s1, s19, s15
	s_waitcnt lgkmcnt(1)
	v_add_nc_u32_e32 v1, v1, v16
	v_add_nc_u32_e32 v2, v2, v17
	s_waitcnt lgkmcnt(0)
	v_add_nc_u32_e32 v3, v3, v14
	v_add_nc_u32_e32 v4, v4, v15
	s_clause 0x7
	global_store_b32 v8, v0, s[0:1]
	global_store_b32 v8, v5, s[0:1] offset:512
	global_store_b32 v8, v6, s[0:1] offset:1024
	;; [unrolled: 1-line block ×7, first 2 shown]
	s_nop 0
	s_sendmsg sendmsg(MSG_DEALLOC_VGPRS)
	s_endpgm
	.section	.rodata,"a",@progbits
	.p2align	6, 0x0
	.amdhsa_kernel _Z17sort_pairs_kernelI22helper_blocked_stripediLj128ELj8ELj10EEvPKT0_PS1_
		.amdhsa_group_segment_fixed_size 4112
		.amdhsa_private_segment_fixed_size 0
		.amdhsa_kernarg_size 272
		.amdhsa_user_sgpr_count 15
		.amdhsa_user_sgpr_dispatch_ptr 0
		.amdhsa_user_sgpr_queue_ptr 0
		.amdhsa_user_sgpr_kernarg_segment_ptr 1
		.amdhsa_user_sgpr_dispatch_id 0
		.amdhsa_user_sgpr_private_segment_size 0
		.amdhsa_wavefront_size32 1
		.amdhsa_uses_dynamic_stack 0
		.amdhsa_enable_private_segment 0
		.amdhsa_system_sgpr_workgroup_id_x 1
		.amdhsa_system_sgpr_workgroup_id_y 0
		.amdhsa_system_sgpr_workgroup_id_z 0
		.amdhsa_system_sgpr_workgroup_info 0
		.amdhsa_system_vgpr_workitem_id 2
		.amdhsa_next_free_vgpr 64
		.amdhsa_next_free_sgpr 20
		.amdhsa_reserve_vcc 1
		.amdhsa_float_round_mode_32 0
		.amdhsa_float_round_mode_16_64 0
		.amdhsa_float_denorm_mode_32 3
		.amdhsa_float_denorm_mode_16_64 3
		.amdhsa_dx10_clamp 1
		.amdhsa_ieee_mode 1
		.amdhsa_fp16_overflow 0
		.amdhsa_workgroup_processor_mode 1
		.amdhsa_memory_ordered 1
		.amdhsa_forward_progress 0
		.amdhsa_shared_vgpr_count 0
		.amdhsa_exception_fp_ieee_invalid_op 0
		.amdhsa_exception_fp_denorm_src 0
		.amdhsa_exception_fp_ieee_div_zero 0
		.amdhsa_exception_fp_ieee_overflow 0
		.amdhsa_exception_fp_ieee_underflow 0
		.amdhsa_exception_fp_ieee_inexact 0
		.amdhsa_exception_int_div_zero 0
	.end_amdhsa_kernel
	.section	.text._Z17sort_pairs_kernelI22helper_blocked_stripediLj128ELj8ELj10EEvPKT0_PS1_,"axG",@progbits,_Z17sort_pairs_kernelI22helper_blocked_stripediLj128ELj8ELj10EEvPKT0_PS1_,comdat
.Lfunc_end207:
	.size	_Z17sort_pairs_kernelI22helper_blocked_stripediLj128ELj8ELj10EEvPKT0_PS1_, .Lfunc_end207-_Z17sort_pairs_kernelI22helper_blocked_stripediLj128ELj8ELj10EEvPKT0_PS1_
                                        ; -- End function
	.section	.AMDGPU.csdata,"",@progbits
; Kernel info:
; codeLenInByte = 4792
; NumSgprs: 22
; NumVgprs: 64
; ScratchSize: 0
; MemoryBound: 0
; FloatMode: 240
; IeeeMode: 1
; LDSByteSize: 4112 bytes/workgroup (compile time only)
; SGPRBlocks: 2
; VGPRBlocks: 7
; NumSGPRsForWavesPerEU: 22
; NumVGPRsForWavesPerEU: 64
; Occupancy: 16
; WaveLimiterHint : 1
; COMPUTE_PGM_RSRC2:SCRATCH_EN: 0
; COMPUTE_PGM_RSRC2:USER_SGPR: 15
; COMPUTE_PGM_RSRC2:TRAP_HANDLER: 0
; COMPUTE_PGM_RSRC2:TGID_X_EN: 1
; COMPUTE_PGM_RSRC2:TGID_Y_EN: 0
; COMPUTE_PGM_RSRC2:TGID_Z_EN: 0
; COMPUTE_PGM_RSRC2:TIDIG_COMP_CNT: 2
	.section	.text._Z16sort_keys_kernelI22helper_blocked_stripediLj192ELj1ELj10EEvPKT0_PS1_,"axG",@progbits,_Z16sort_keys_kernelI22helper_blocked_stripediLj192ELj1ELj10EEvPKT0_PS1_,comdat
	.protected	_Z16sort_keys_kernelI22helper_blocked_stripediLj192ELj1ELj10EEvPKT0_PS1_ ; -- Begin function _Z16sort_keys_kernelI22helper_blocked_stripediLj192ELj1ELj10EEvPKT0_PS1_
	.globl	_Z16sort_keys_kernelI22helper_blocked_stripediLj192ELj1ELj10EEvPKT0_PS1_
	.p2align	8
	.type	_Z16sort_keys_kernelI22helper_blocked_stripediLj192ELj1ELj10EEvPKT0_PS1_,@function
_Z16sort_keys_kernelI22helper_blocked_stripediLj192ELj1ELj10EEvPKT0_PS1_: ; @_Z16sort_keys_kernelI22helper_blocked_stripediLj192ELj1ELj10EEvPKT0_PS1_
; %bb.0:
	s_clause 0x1
	s_load_b128 s[16:19], s[0:1], 0x0
	s_load_b32 s11, s[0:1], 0x1c
	s_mov_b32 s23, 0
	s_mul_i32 s22, s15, 0xc0
	v_mbcnt_lo_u32_b32 v3, -1, 0
	s_lshl_b64 s[20:21], s[22:23], 2
	s_mov_b32 s22, s23
	s_mov_b32 s15, 10
	s_delay_alu instid0(VALU_DEP_1) | instskip(SKIP_3) | instid1(VALU_DEP_4)
	v_dual_mov_b32 v11, s22 :: v_dual_and_b32 v4, 15, v3
	v_add_nc_u32_e32 v6, -1, v3
	v_and_b32_e32 v7, 7, v3
	v_dual_mov_b32 v12, s23 :: v_dual_and_b32 v5, 16, v3
	v_cmp_lt_u32_e64 s2, 3, v4
	v_cmp_lt_u32_e64 s3, 7, v4
	v_cmp_gt_i32_e64 s7, 0, v6
	v_cmp_eq_u32_e64 s8, 0, v7
	v_cmp_lt_u32_e64 s9, 1, v7
	v_cmp_lt_u32_e64 s10, 3, v7
	s_waitcnt lgkmcnt(0)
	s_add_u32 s0, s16, s20
	s_addc_u32 s1, s17, s21
	s_mov_b32 s16, s23
	s_mov_b32 s17, s23
	v_dual_mov_b32 v9, s16 :: v_dual_and_b32 v8, 0x3ff, v0
	v_mov_b32_e32 v10, s17
	s_lshr_b32 s12, s11, 16
	v_cmp_eq_u32_e64 s4, 0, v5
	s_delay_alu instid0(VALU_DEP_3)
	v_lshlrev_b32_e32 v1, 2, v8
	v_cndmask_b32_e64 v5, v6, v3, s7
	v_lshrrev_b32_e32 v6, 3, v8
	s_and_b32 s11, s11, 0xffff
	v_cmp_eq_u32_e32 vcc_lo, 0, v3
	global_load_b32 v2, v1, s[0:1]
	v_bfe_u32 v1, v0, 10, 10
	v_bfe_u32 v0, v0, 20, 10
	v_cmp_eq_u32_e64 s0, 0, v4
	v_cmp_lt_u32_e64 s1, 1, v4
	v_and_b32_e32 v4, 0xe0, v8
	v_lshlrev_b32_e32 v13, 5, v8
	v_mad_u32_u24 v7, v0, s12, v1
	v_mul_i32_i24_e32 v20, 0xffffffe4, v8
	v_and_b32_e32 v14, 28, v6
	v_min_u32_e32 v15, 0xa0, v4
	v_cmp_gt_u32_e64 s5, 6, v8
	v_mad_u64_u32 v[0:1], null, v7, s11, v[8:9]
	v_or_b32_e32 v1, v3, v4
	s_delay_alu instid0(VALU_DEP_4)
	v_or_b32_e32 v3, 31, v15
	v_cmp_lt_u32_e64 s6, 31, v8
	v_cmp_eq_u32_e64 s7, 0, v8
	v_or_b32_e32 v15, 24, v13
	v_lshlrev_b32_e32 v16, 2, v5
	v_add_nc_u32_e32 v17, -4, v14
	v_lshlrev_b32_e32 v18, 2, v1
	v_cmp_eq_u32_e64 s11, v3, v8
	v_lshrrev_b32_e32 v19, 5, v0
	v_add_nc_u32_e32 v20, v13, v20
	s_waitcnt vmcnt(0)
	v_xor_b32_e32 v21, 0x80000000, v2
	s_branch .LBB208_2
.LBB208_1:                              ;   in Loop: Header=BB208_2 Depth=1
	s_or_b32 exec_lo, exec_lo, s12
	s_waitcnt lgkmcnt(0)
	v_add_nc_u32_e32 v3, v24, v3
	s_add_i32 s15, s15, -1
	s_delay_alu instid0(SALU_CYCLE_1) | instskip(SKIP_3) | instid1(VALU_DEP_1)
	s_cmp_eq_u32 s15, 0
	ds_bpermute_b32 v3, v16, v3
	s_waitcnt lgkmcnt(0)
	v_cndmask_b32_e32 v3, v3, v24, vcc_lo
	v_cndmask_b32_e64 v3, v3, 0, s7
	s_delay_alu instid0(VALU_DEP_1) | instskip(NEXT) | instid1(VALU_DEP_1)
	v_add_nc_u32_e32 v4, v3, v4
	v_add_nc_u32_e32 v5, v4, v5
	s_delay_alu instid0(VALU_DEP_1) | instskip(NEXT) | instid1(VALU_DEP_1)
	v_add_nc_u32_e32 v6, v5, v6
	v_add_nc_u32_e32 v24, v6, v7
	;; [unrolled: 3-line block ×3, first 2 shown]
	s_delay_alu instid0(VALU_DEP_1)
	v_add_nc_u32_e32 v1, v0, v2
	ds_store_2addr_b64 v13, v[3:4], v[5:6] offset0:3 offset1:4
	ds_store_2addr_b64 v15, v[24:25], v[0:1] offset0:2 offset1:3
	s_waitcnt lgkmcnt(0)
	s_barrier
	buffer_gl0_inv
	ds_load_b32 v0, v23
	v_lshlrev_b32_e32 v1, 2, v22
	s_waitcnt lgkmcnt(0)
	s_barrier
	buffer_gl0_inv
	v_lshl_add_u32 v0, v0, 2, v1
	ds_store_b32 v0, v21
	s_waitcnt lgkmcnt(0)
	s_barrier
	buffer_gl0_inv
	ds_load_b32 v21, v20
	s_cbranch_scc1 .LBB208_34
.LBB208_2:                              ; =>This Inner Loop Header: Depth=1
	s_waitcnt lgkmcnt(0)
	s_delay_alu instid0(VALU_DEP_1)
	v_and_b32_e32 v0, 1, v21
	v_lshlrev_b32_e32 v1, 30, v21
	v_lshlrev_b32_e32 v2, 29, v21
	v_lshlrev_b32_e32 v4, 28, v21
	v_lshlrev_b32_e32 v5, 27, v21
	v_add_co_u32 v0, s12, v0, -1
	s_delay_alu instid0(VALU_DEP_1)
	v_cndmask_b32_e64 v3, 0, 1, s12
	v_not_b32_e32 v7, v1
	v_cmp_gt_i32_e64 s13, 0, v1
	v_not_b32_e32 v1, v2
	v_lshlrev_b32_e32 v6, 26, v21
	v_cmp_ne_u32_e64 s12, 0, v3
	v_ashrrev_i32_e32 v7, 31, v7
	v_lshlrev_b32_e32 v3, 25, v21
	v_ashrrev_i32_e32 v1, 31, v1
	v_cmp_gt_i32_e64 s14, 0, v5
	v_xor_b32_e32 v0, s12, v0
	v_cmp_gt_i32_e64 s12, 0, v2
	v_not_b32_e32 v2, v4
	v_xor_b32_e32 v7, s13, v7
	v_cmp_gt_i32_e64 s13, 0, v4
	v_and_b32_e32 v0, exec_lo, v0
	v_xor_b32_e32 v1, s12, v1
	v_ashrrev_i32_e32 v2, 31, v2
	v_not_b32_e32 v4, v5
	v_not_b32_e32 v5, v6
	v_and_b32_e32 v0, v0, v7
	v_cmp_gt_i32_e64 s12, 0, v6
	v_xor_b32_e32 v2, s13, v2
	v_not_b32_e32 v6, v3
	ds_store_2addr_b64 v13, v[11:12], v[9:10] offset0:3 offset1:4
	ds_store_2addr_b64 v15, v[11:12], v[9:10] offset0:2 offset1:3
	v_and_b32_e32 v0, v0, v1
	v_ashrrev_i32_e32 v1, 31, v4
	v_ashrrev_i32_e32 v4, 31, v5
	v_lshlrev_b32_e32 v5, 24, v21
	s_waitcnt lgkmcnt(0)
	v_and_b32_e32 v0, v0, v2
	v_xor_b32_e32 v1, s14, v1
	v_xor_b32_e32 v2, s12, v4
	v_cmp_gt_i32_e64 s12, 0, v3
	v_not_b32_e32 v3, v5
	v_ashrrev_i32_e32 v4, 31, v6
	v_and_b32_e32 v0, v0, v1
	v_cmp_gt_i32_e64 s13, 0, v5
	s_barrier
	v_ashrrev_i32_e32 v1, 31, v3
	v_xor_b32_e32 v3, s12, v4
	v_and_b32_e32 v0, v0, v2
	buffer_gl0_inv
	v_xor_b32_e32 v1, s13, v1
	; wave barrier
	v_and_b32_e32 v0, v0, v3
	s_delay_alu instid0(VALU_DEP_1) | instskip(SKIP_1) | instid1(VALU_DEP_2)
	v_and_b32_e32 v0, v0, v1
	v_and_b32_e32 v1, 0xff, v21
	v_mbcnt_lo_u32_b32 v22, v0, 0
	s_delay_alu instid0(VALU_DEP_2) | instskip(SKIP_1) | instid1(VALU_DEP_3)
	v_mad_u32_u24 v1, v1, 6, v19
	v_cmp_ne_u32_e64 s13, 0, v0
	v_cmp_eq_u32_e64 s12, 0, v22
	s_delay_alu instid0(VALU_DEP_3) | instskip(NEXT) | instid1(VALU_DEP_2)
	v_lshl_add_u32 v23, v1, 2, 24
	s_and_b32 s13, s13, s12
	s_delay_alu instid0(SALU_CYCLE_1)
	s_and_saveexec_b32 s12, s13
	s_cbranch_execz .LBB208_4
; %bb.3:                                ;   in Loop: Header=BB208_2 Depth=1
	v_bcnt_u32_b32 v0, v0, 0
	ds_store_b32 v23, v0
.LBB208_4:                              ;   in Loop: Header=BB208_2 Depth=1
	s_or_b32 exec_lo, exec_lo, s12
	; wave barrier
	s_waitcnt lgkmcnt(0)
	s_barrier
	buffer_gl0_inv
	ds_load_2addr_b64 v[4:7], v13 offset0:3 offset1:4
	ds_load_2addr_b64 v[0:3], v15 offset0:2 offset1:3
	s_waitcnt lgkmcnt(1)
	v_add_nc_u32_e32 v24, v5, v4
	s_delay_alu instid0(VALU_DEP_1) | instskip(SKIP_1) | instid1(VALU_DEP_1)
	v_add3_u32 v24, v24, v6, v7
	s_waitcnt lgkmcnt(0)
	v_add3_u32 v24, v24, v0, v1
	s_delay_alu instid0(VALU_DEP_1) | instskip(NEXT) | instid1(VALU_DEP_1)
	v_add3_u32 v3, v24, v2, v3
	v_mov_b32_dpp v24, v3 row_shr:1 row_mask:0xf bank_mask:0xf
	s_delay_alu instid0(VALU_DEP_1) | instskip(NEXT) | instid1(VALU_DEP_1)
	v_cndmask_b32_e64 v24, v24, 0, s0
	v_add_nc_u32_e32 v3, v24, v3
	s_delay_alu instid0(VALU_DEP_1) | instskip(NEXT) | instid1(VALU_DEP_1)
	v_mov_b32_dpp v24, v3 row_shr:2 row_mask:0xf bank_mask:0xf
	v_cndmask_b32_e64 v24, 0, v24, s1
	s_delay_alu instid0(VALU_DEP_1) | instskip(NEXT) | instid1(VALU_DEP_1)
	v_add_nc_u32_e32 v3, v3, v24
	v_mov_b32_dpp v24, v3 row_shr:4 row_mask:0xf bank_mask:0xf
	s_delay_alu instid0(VALU_DEP_1) | instskip(NEXT) | instid1(VALU_DEP_1)
	v_cndmask_b32_e64 v24, 0, v24, s2
	v_add_nc_u32_e32 v3, v3, v24
	s_delay_alu instid0(VALU_DEP_1) | instskip(NEXT) | instid1(VALU_DEP_1)
	v_mov_b32_dpp v24, v3 row_shr:8 row_mask:0xf bank_mask:0xf
	v_cndmask_b32_e64 v24, 0, v24, s3
	s_delay_alu instid0(VALU_DEP_1) | instskip(SKIP_3) | instid1(VALU_DEP_1)
	v_add_nc_u32_e32 v3, v3, v24
	ds_swizzle_b32 v24, v3 offset:swizzle(BROADCAST,32,15)
	s_waitcnt lgkmcnt(0)
	v_cndmask_b32_e64 v24, v24, 0, s4
	v_add_nc_u32_e32 v3, v3, v24
	s_and_saveexec_b32 s12, s11
	s_cbranch_execz .LBB208_6
; %bb.5:                                ;   in Loop: Header=BB208_2 Depth=1
	ds_store_b32 v14, v3
.LBB208_6:                              ;   in Loop: Header=BB208_2 Depth=1
	s_or_b32 exec_lo, exec_lo, s12
	s_waitcnt lgkmcnt(0)
	s_barrier
	buffer_gl0_inv
	s_and_saveexec_b32 s12, s5
	s_cbranch_execz .LBB208_8
; %bb.7:                                ;   in Loop: Header=BB208_2 Depth=1
	ds_load_b32 v24, v20
	s_waitcnt lgkmcnt(0)
	v_mov_b32_dpp v25, v24 row_shr:1 row_mask:0xf bank_mask:0xf
	s_delay_alu instid0(VALU_DEP_1) | instskip(NEXT) | instid1(VALU_DEP_1)
	v_cndmask_b32_e64 v25, v25, 0, s8
	v_add_nc_u32_e32 v24, v25, v24
	s_delay_alu instid0(VALU_DEP_1) | instskip(NEXT) | instid1(VALU_DEP_1)
	v_mov_b32_dpp v25, v24 row_shr:2 row_mask:0xf bank_mask:0xf
	v_cndmask_b32_e64 v25, 0, v25, s9
	s_delay_alu instid0(VALU_DEP_1) | instskip(NEXT) | instid1(VALU_DEP_1)
	v_add_nc_u32_e32 v24, v24, v25
	v_mov_b32_dpp v25, v24 row_shr:4 row_mask:0xf bank_mask:0xf
	s_delay_alu instid0(VALU_DEP_1) | instskip(NEXT) | instid1(VALU_DEP_1)
	v_cndmask_b32_e64 v25, 0, v25, s10
	v_add_nc_u32_e32 v24, v24, v25
	ds_store_b32 v20, v24
.LBB208_8:                              ;   in Loop: Header=BB208_2 Depth=1
	s_or_b32 exec_lo, exec_lo, s12
	v_mov_b32_e32 v24, 0
	s_waitcnt lgkmcnt(0)
	s_barrier
	buffer_gl0_inv
	s_and_saveexec_b32 s12, s6
	s_cbranch_execz .LBB208_10
; %bb.9:                                ;   in Loop: Header=BB208_2 Depth=1
	ds_load_b32 v24, v17
.LBB208_10:                             ;   in Loop: Header=BB208_2 Depth=1
	s_or_b32 exec_lo, exec_lo, s12
	s_waitcnt lgkmcnt(0)
	v_add_nc_u32_e32 v3, v24, v3
	ds_bpermute_b32 v3, v16, v3
	s_waitcnt lgkmcnt(0)
	v_cndmask_b32_e32 v3, v3, v24, vcc_lo
	s_delay_alu instid0(VALU_DEP_1) | instskip(NEXT) | instid1(VALU_DEP_1)
	v_cndmask_b32_e64 v3, v3, 0, s7
	v_add_nc_u32_e32 v4, v3, v4
	s_delay_alu instid0(VALU_DEP_1) | instskip(NEXT) | instid1(VALU_DEP_1)
	v_add_nc_u32_e32 v5, v4, v5
	v_add_nc_u32_e32 v6, v5, v6
	s_delay_alu instid0(VALU_DEP_1) | instskip(NEXT) | instid1(VALU_DEP_1)
	v_add_nc_u32_e32 v24, v6, v7
	;; [unrolled: 3-line block ×3, first 2 shown]
	v_add_nc_u32_e32 v1, v0, v2
	ds_store_2addr_b64 v13, v[3:4], v[5:6] offset0:3 offset1:4
	ds_store_2addr_b64 v15, v[24:25], v[0:1] offset0:2 offset1:3
	s_waitcnt lgkmcnt(0)
	s_barrier
	buffer_gl0_inv
	ds_load_b32 v0, v23
	v_lshlrev_b32_e32 v1, 2, v22
	s_waitcnt lgkmcnt(0)
	s_barrier
	buffer_gl0_inv
	v_lshl_add_u32 v0, v0, 2, v1
	ds_store_b32 v0, v21
	s_waitcnt lgkmcnt(0)
	s_barrier
	buffer_gl0_inv
	ds_load_b32 v21, v18
	s_waitcnt lgkmcnt(0)
	s_barrier
	buffer_gl0_inv
	ds_store_2addr_b64 v13, v[11:12], v[9:10] offset0:3 offset1:4
	ds_store_2addr_b64 v15, v[11:12], v[9:10] offset0:2 offset1:3
	s_waitcnt lgkmcnt(0)
	s_barrier
	buffer_gl0_inv
	; wave barrier
	v_bfe_u32 v0, v21, 8, 1
	v_lshrrev_b32_e32 v1, 8, v21
	s_delay_alu instid0(VALU_DEP_2) | instskip(NEXT) | instid1(VALU_DEP_1)
	v_add_co_u32 v0, s12, v0, -1
	v_cndmask_b32_e64 v2, 0, 1, s12
	s_delay_alu instid0(VALU_DEP_3)
	v_lshlrev_b32_e32 v3, 30, v1
	v_lshlrev_b32_e32 v4, 29, v1
	;; [unrolled: 1-line block ×4, first 2 shown]
	v_cmp_ne_u32_e64 s12, 0, v2
	v_not_b32_e32 v2, v3
	v_cmp_gt_i32_e64 s13, 0, v3
	v_not_b32_e32 v3, v4
	v_lshlrev_b32_e32 v7, 26, v1
	v_xor_b32_e32 v0, s12, v0
	v_ashrrev_i32_e32 v2, 31, v2
	v_cmp_gt_i32_e64 s12, 0, v4
	v_not_b32_e32 v4, v5
	v_ashrrev_i32_e32 v3, 31, v3
	v_and_b32_e32 v0, exec_lo, v0
	v_xor_b32_e32 v2, s13, v2
	v_cmp_gt_i32_e64 s13, 0, v5
	v_not_b32_e32 v5, v6
	v_ashrrev_i32_e32 v4, 31, v4
	v_xor_b32_e32 v3, s12, v3
	v_and_b32_e32 v0, v0, v2
	v_lshlrev_b32_e32 v22, 25, v1
	v_cmp_gt_i32_e64 s12, 0, v6
	v_not_b32_e32 v2, v7
	v_ashrrev_i32_e32 v5, 31, v5
	v_xor_b32_e32 v4, s13, v4
	v_and_b32_e32 v0, v0, v3
	v_lshlrev_b32_e32 v1, 24, v1
	v_cmp_gt_i32_e64 s13, 0, v7
	v_not_b32_e32 v3, v22
	v_ashrrev_i32_e32 v2, 31, v2
	v_xor_b32_e32 v5, s12, v5
	v_and_b32_e32 v0, v0, v4
	v_cmp_gt_i32_e64 s12, 0, v22
	v_not_b32_e32 v4, v1
	v_ashrrev_i32_e32 v3, 31, v3
	v_xor_b32_e32 v2, s13, v2
	v_and_b32_e32 v0, v0, v5
	v_cmp_gt_i32_e64 s13, 0, v1
	v_ashrrev_i32_e32 v1, 31, v4
	v_xor_b32_e32 v3, s12, v3
	s_delay_alu instid0(VALU_DEP_4) | instskip(NEXT) | instid1(VALU_DEP_3)
	v_and_b32_e32 v0, v0, v2
	v_xor_b32_e32 v1, s13, v1
	s_delay_alu instid0(VALU_DEP_2) | instskip(NEXT) | instid1(VALU_DEP_1)
	v_and_b32_e32 v0, v0, v3
	v_and_b32_e32 v0, v0, v1
	v_bfe_u32 v1, v21, 8, 8
	s_delay_alu instid0(VALU_DEP_2) | instskip(NEXT) | instid1(VALU_DEP_2)
	v_mbcnt_lo_u32_b32 v22, v0, 0
	v_mad_u32_u24 v1, v1, 6, v19
	v_cmp_ne_u32_e64 s13, 0, v0
	s_delay_alu instid0(VALU_DEP_3) | instskip(NEXT) | instid1(VALU_DEP_3)
	v_cmp_eq_u32_e64 s12, 0, v22
	v_lshl_add_u32 v23, v1, 2, 24
	s_delay_alu instid0(VALU_DEP_2) | instskip(NEXT) | instid1(SALU_CYCLE_1)
	s_and_b32 s13, s13, s12
	s_and_saveexec_b32 s12, s13
	s_cbranch_execz .LBB208_12
; %bb.11:                               ;   in Loop: Header=BB208_2 Depth=1
	v_bcnt_u32_b32 v0, v0, 0
	ds_store_b32 v23, v0
.LBB208_12:                             ;   in Loop: Header=BB208_2 Depth=1
	s_or_b32 exec_lo, exec_lo, s12
	; wave barrier
	s_waitcnt lgkmcnt(0)
	s_barrier
	buffer_gl0_inv
	ds_load_2addr_b64 v[4:7], v13 offset0:3 offset1:4
	ds_load_2addr_b64 v[0:3], v15 offset0:2 offset1:3
	s_waitcnt lgkmcnt(1)
	v_add_nc_u32_e32 v24, v5, v4
	s_delay_alu instid0(VALU_DEP_1) | instskip(SKIP_1) | instid1(VALU_DEP_1)
	v_add3_u32 v24, v24, v6, v7
	s_waitcnt lgkmcnt(0)
	v_add3_u32 v24, v24, v0, v1
	s_delay_alu instid0(VALU_DEP_1) | instskip(NEXT) | instid1(VALU_DEP_1)
	v_add3_u32 v3, v24, v2, v3
	v_mov_b32_dpp v24, v3 row_shr:1 row_mask:0xf bank_mask:0xf
	s_delay_alu instid0(VALU_DEP_1) | instskip(NEXT) | instid1(VALU_DEP_1)
	v_cndmask_b32_e64 v24, v24, 0, s0
	v_add_nc_u32_e32 v3, v24, v3
	s_delay_alu instid0(VALU_DEP_1) | instskip(NEXT) | instid1(VALU_DEP_1)
	v_mov_b32_dpp v24, v3 row_shr:2 row_mask:0xf bank_mask:0xf
	v_cndmask_b32_e64 v24, 0, v24, s1
	s_delay_alu instid0(VALU_DEP_1) | instskip(NEXT) | instid1(VALU_DEP_1)
	v_add_nc_u32_e32 v3, v3, v24
	v_mov_b32_dpp v24, v3 row_shr:4 row_mask:0xf bank_mask:0xf
	s_delay_alu instid0(VALU_DEP_1) | instskip(NEXT) | instid1(VALU_DEP_1)
	v_cndmask_b32_e64 v24, 0, v24, s2
	v_add_nc_u32_e32 v3, v3, v24
	s_delay_alu instid0(VALU_DEP_1) | instskip(NEXT) | instid1(VALU_DEP_1)
	v_mov_b32_dpp v24, v3 row_shr:8 row_mask:0xf bank_mask:0xf
	v_cndmask_b32_e64 v24, 0, v24, s3
	s_delay_alu instid0(VALU_DEP_1) | instskip(SKIP_3) | instid1(VALU_DEP_1)
	v_add_nc_u32_e32 v3, v3, v24
	ds_swizzle_b32 v24, v3 offset:swizzle(BROADCAST,32,15)
	s_waitcnt lgkmcnt(0)
	v_cndmask_b32_e64 v24, v24, 0, s4
	v_add_nc_u32_e32 v3, v3, v24
	s_and_saveexec_b32 s12, s11
	s_cbranch_execz .LBB208_14
; %bb.13:                               ;   in Loop: Header=BB208_2 Depth=1
	ds_store_b32 v14, v3
.LBB208_14:                             ;   in Loop: Header=BB208_2 Depth=1
	s_or_b32 exec_lo, exec_lo, s12
	s_waitcnt lgkmcnt(0)
	s_barrier
	buffer_gl0_inv
	s_and_saveexec_b32 s12, s5
	s_cbranch_execz .LBB208_16
; %bb.15:                               ;   in Loop: Header=BB208_2 Depth=1
	ds_load_b32 v24, v20
	s_waitcnt lgkmcnt(0)
	v_mov_b32_dpp v25, v24 row_shr:1 row_mask:0xf bank_mask:0xf
	s_delay_alu instid0(VALU_DEP_1) | instskip(NEXT) | instid1(VALU_DEP_1)
	v_cndmask_b32_e64 v25, v25, 0, s8
	v_add_nc_u32_e32 v24, v25, v24
	s_delay_alu instid0(VALU_DEP_1) | instskip(NEXT) | instid1(VALU_DEP_1)
	v_mov_b32_dpp v25, v24 row_shr:2 row_mask:0xf bank_mask:0xf
	v_cndmask_b32_e64 v25, 0, v25, s9
	s_delay_alu instid0(VALU_DEP_1) | instskip(NEXT) | instid1(VALU_DEP_1)
	v_add_nc_u32_e32 v24, v24, v25
	v_mov_b32_dpp v25, v24 row_shr:4 row_mask:0xf bank_mask:0xf
	s_delay_alu instid0(VALU_DEP_1) | instskip(NEXT) | instid1(VALU_DEP_1)
	v_cndmask_b32_e64 v25, 0, v25, s10
	v_add_nc_u32_e32 v24, v24, v25
	ds_store_b32 v20, v24
.LBB208_16:                             ;   in Loop: Header=BB208_2 Depth=1
	s_or_b32 exec_lo, exec_lo, s12
	v_mov_b32_e32 v24, 0
	s_waitcnt lgkmcnt(0)
	s_barrier
	buffer_gl0_inv
	s_and_saveexec_b32 s12, s6
	s_cbranch_execz .LBB208_18
; %bb.17:                               ;   in Loop: Header=BB208_2 Depth=1
	ds_load_b32 v24, v17
.LBB208_18:                             ;   in Loop: Header=BB208_2 Depth=1
	s_or_b32 exec_lo, exec_lo, s12
	s_waitcnt lgkmcnt(0)
	v_add_nc_u32_e32 v3, v24, v3
	ds_bpermute_b32 v3, v16, v3
	s_waitcnt lgkmcnt(0)
	v_cndmask_b32_e32 v3, v3, v24, vcc_lo
	s_delay_alu instid0(VALU_DEP_1) | instskip(NEXT) | instid1(VALU_DEP_1)
	v_cndmask_b32_e64 v3, v3, 0, s7
	v_add_nc_u32_e32 v4, v3, v4
	s_delay_alu instid0(VALU_DEP_1) | instskip(NEXT) | instid1(VALU_DEP_1)
	v_add_nc_u32_e32 v5, v4, v5
	v_add_nc_u32_e32 v6, v5, v6
	s_delay_alu instid0(VALU_DEP_1) | instskip(NEXT) | instid1(VALU_DEP_1)
	v_add_nc_u32_e32 v24, v6, v7
	;; [unrolled: 3-line block ×3, first 2 shown]
	v_add_nc_u32_e32 v1, v0, v2
	ds_store_2addr_b64 v13, v[3:4], v[5:6] offset0:3 offset1:4
	ds_store_2addr_b64 v15, v[24:25], v[0:1] offset0:2 offset1:3
	s_waitcnt lgkmcnt(0)
	s_barrier
	buffer_gl0_inv
	ds_load_b32 v0, v23
	v_lshlrev_b32_e32 v1, 2, v22
	s_waitcnt lgkmcnt(0)
	s_barrier
	buffer_gl0_inv
	v_lshl_add_u32 v0, v0, 2, v1
	ds_store_b32 v0, v21
	s_waitcnt lgkmcnt(0)
	s_barrier
	buffer_gl0_inv
	ds_load_b32 v21, v18
	s_waitcnt lgkmcnt(0)
	s_barrier
	buffer_gl0_inv
	v_bfe_u32 v0, v21, 16, 1
	v_lshrrev_b32_e32 v1, 16, v21
	s_delay_alu instid0(VALU_DEP_2) | instskip(NEXT) | instid1(VALU_DEP_1)
	v_add_co_u32 v0, s12, v0, -1
	v_cndmask_b32_e64 v2, 0, 1, s12
	s_delay_alu instid0(VALU_DEP_3)
	v_lshlrev_b32_e32 v3, 30, v1
	v_lshlrev_b32_e32 v4, 29, v1
	;; [unrolled: 1-line block ×4, first 2 shown]
	v_cmp_ne_u32_e64 s12, 0, v2
	v_not_b32_e32 v2, v3
	v_cmp_gt_i32_e64 s13, 0, v3
	v_not_b32_e32 v3, v4
	v_lshlrev_b32_e32 v7, 26, v1
	v_xor_b32_e32 v0, s12, v0
	v_ashrrev_i32_e32 v2, 31, v2
	v_cmp_gt_i32_e64 s12, 0, v4
	v_not_b32_e32 v4, v5
	v_ashrrev_i32_e32 v3, 31, v3
	v_and_b32_e32 v0, exec_lo, v0
	v_xor_b32_e32 v2, s13, v2
	v_cmp_gt_i32_e64 s13, 0, v5
	v_not_b32_e32 v5, v6
	v_ashrrev_i32_e32 v4, 31, v4
	v_xor_b32_e32 v3, s12, v3
	v_and_b32_e32 v0, v0, v2
	v_lshlrev_b32_e32 v22, 25, v1
	v_cmp_gt_i32_e64 s12, 0, v6
	v_not_b32_e32 v2, v7
	v_ashrrev_i32_e32 v5, 31, v5
	v_xor_b32_e32 v4, s13, v4
	v_and_b32_e32 v0, v0, v3
	v_lshlrev_b32_e32 v1, 24, v1
	v_cmp_gt_i32_e64 s13, 0, v7
	v_not_b32_e32 v3, v22
	v_ashrrev_i32_e32 v2, 31, v2
	v_xor_b32_e32 v5, s12, v5
	v_and_b32_e32 v0, v0, v4
	v_cmp_gt_i32_e64 s12, 0, v22
	v_not_b32_e32 v4, v1
	v_ashrrev_i32_e32 v3, 31, v3
	v_xor_b32_e32 v2, s13, v2
	v_and_b32_e32 v0, v0, v5
	v_cmp_gt_i32_e64 s13, 0, v1
	v_ashrrev_i32_e32 v1, 31, v4
	v_xor_b32_e32 v3, s12, v3
	s_delay_alu instid0(VALU_DEP_4) | instskip(NEXT) | instid1(VALU_DEP_3)
	v_and_b32_e32 v0, v0, v2
	v_xor_b32_e32 v5, s13, v1
	v_dual_mov_b32 v1, s22 :: v_dual_mov_b32 v2, s23
	s_delay_alu instid0(VALU_DEP_3)
	v_dual_mov_b32 v3, s16 :: v_dual_and_b32 v0, v0, v3
	v_mov_b32_e32 v4, s17
	ds_store_2addr_b64 v13, v[1:2], v[3:4] offset0:3 offset1:4
	ds_store_2addr_b64 v15, v[1:2], v[3:4] offset0:2 offset1:3
	v_and_b32_e32 v0, v0, v5
	v_bfe_u32 v5, v21, 16, 8
	s_waitcnt lgkmcnt(0)
	s_barrier
	buffer_gl0_inv
	v_mbcnt_lo_u32_b32 v22, v0, 0
	v_mad_u32_u24 v1, v5, 6, v19
	v_cmp_ne_u32_e64 s13, 0, v0
	; wave barrier
	s_delay_alu instid0(VALU_DEP_3) | instskip(NEXT) | instid1(VALU_DEP_3)
	v_cmp_eq_u32_e64 s12, 0, v22
	v_lshl_add_u32 v23, v1, 2, 24
	s_delay_alu instid0(VALU_DEP_2) | instskip(NEXT) | instid1(SALU_CYCLE_1)
	s_and_b32 s13, s13, s12
	s_and_saveexec_b32 s12, s13
	s_cbranch_execz .LBB208_20
; %bb.19:                               ;   in Loop: Header=BB208_2 Depth=1
	v_bcnt_u32_b32 v0, v0, 0
	ds_store_b32 v23, v0
.LBB208_20:                             ;   in Loop: Header=BB208_2 Depth=1
	s_or_b32 exec_lo, exec_lo, s12
	; wave barrier
	s_waitcnt lgkmcnt(0)
	s_barrier
	buffer_gl0_inv
	ds_load_2addr_b64 v[4:7], v13 offset0:3 offset1:4
	ds_load_2addr_b64 v[0:3], v15 offset0:2 offset1:3
	s_waitcnt lgkmcnt(1)
	v_add_nc_u32_e32 v24, v5, v4
	s_delay_alu instid0(VALU_DEP_1) | instskip(SKIP_1) | instid1(VALU_DEP_1)
	v_add3_u32 v24, v24, v6, v7
	s_waitcnt lgkmcnt(0)
	v_add3_u32 v24, v24, v0, v1
	s_delay_alu instid0(VALU_DEP_1) | instskip(NEXT) | instid1(VALU_DEP_1)
	v_add3_u32 v3, v24, v2, v3
	v_mov_b32_dpp v24, v3 row_shr:1 row_mask:0xf bank_mask:0xf
	s_delay_alu instid0(VALU_DEP_1) | instskip(NEXT) | instid1(VALU_DEP_1)
	v_cndmask_b32_e64 v24, v24, 0, s0
	v_add_nc_u32_e32 v3, v24, v3
	s_delay_alu instid0(VALU_DEP_1) | instskip(NEXT) | instid1(VALU_DEP_1)
	v_mov_b32_dpp v24, v3 row_shr:2 row_mask:0xf bank_mask:0xf
	v_cndmask_b32_e64 v24, 0, v24, s1
	s_delay_alu instid0(VALU_DEP_1) | instskip(NEXT) | instid1(VALU_DEP_1)
	v_add_nc_u32_e32 v3, v3, v24
	v_mov_b32_dpp v24, v3 row_shr:4 row_mask:0xf bank_mask:0xf
	s_delay_alu instid0(VALU_DEP_1) | instskip(NEXT) | instid1(VALU_DEP_1)
	v_cndmask_b32_e64 v24, 0, v24, s2
	v_add_nc_u32_e32 v3, v3, v24
	s_delay_alu instid0(VALU_DEP_1) | instskip(NEXT) | instid1(VALU_DEP_1)
	v_mov_b32_dpp v24, v3 row_shr:8 row_mask:0xf bank_mask:0xf
	v_cndmask_b32_e64 v24, 0, v24, s3
	s_delay_alu instid0(VALU_DEP_1) | instskip(SKIP_3) | instid1(VALU_DEP_1)
	v_add_nc_u32_e32 v3, v3, v24
	ds_swizzle_b32 v24, v3 offset:swizzle(BROADCAST,32,15)
	s_waitcnt lgkmcnt(0)
	v_cndmask_b32_e64 v24, v24, 0, s4
	v_add_nc_u32_e32 v3, v3, v24
	s_and_saveexec_b32 s12, s11
	s_cbranch_execz .LBB208_22
; %bb.21:                               ;   in Loop: Header=BB208_2 Depth=1
	ds_store_b32 v14, v3
.LBB208_22:                             ;   in Loop: Header=BB208_2 Depth=1
	s_or_b32 exec_lo, exec_lo, s12
	s_waitcnt lgkmcnt(0)
	s_barrier
	buffer_gl0_inv
	s_and_saveexec_b32 s12, s5
	s_cbranch_execz .LBB208_24
; %bb.23:                               ;   in Loop: Header=BB208_2 Depth=1
	ds_load_b32 v24, v20
	s_waitcnt lgkmcnt(0)
	v_mov_b32_dpp v25, v24 row_shr:1 row_mask:0xf bank_mask:0xf
	s_delay_alu instid0(VALU_DEP_1) | instskip(NEXT) | instid1(VALU_DEP_1)
	v_cndmask_b32_e64 v25, v25, 0, s8
	v_add_nc_u32_e32 v24, v25, v24
	s_delay_alu instid0(VALU_DEP_1) | instskip(NEXT) | instid1(VALU_DEP_1)
	v_mov_b32_dpp v25, v24 row_shr:2 row_mask:0xf bank_mask:0xf
	v_cndmask_b32_e64 v25, 0, v25, s9
	s_delay_alu instid0(VALU_DEP_1) | instskip(NEXT) | instid1(VALU_DEP_1)
	v_add_nc_u32_e32 v24, v24, v25
	v_mov_b32_dpp v25, v24 row_shr:4 row_mask:0xf bank_mask:0xf
	s_delay_alu instid0(VALU_DEP_1) | instskip(NEXT) | instid1(VALU_DEP_1)
	v_cndmask_b32_e64 v25, 0, v25, s10
	v_add_nc_u32_e32 v24, v24, v25
	ds_store_b32 v20, v24
.LBB208_24:                             ;   in Loop: Header=BB208_2 Depth=1
	s_or_b32 exec_lo, exec_lo, s12
	v_mov_b32_e32 v24, 0
	s_waitcnt lgkmcnt(0)
	s_barrier
	buffer_gl0_inv
	s_and_saveexec_b32 s12, s6
	s_cbranch_execz .LBB208_26
; %bb.25:                               ;   in Loop: Header=BB208_2 Depth=1
	ds_load_b32 v24, v17
.LBB208_26:                             ;   in Loop: Header=BB208_2 Depth=1
	s_or_b32 exec_lo, exec_lo, s12
	s_waitcnt lgkmcnt(0)
	v_add_nc_u32_e32 v3, v24, v3
	ds_bpermute_b32 v3, v16, v3
	s_waitcnt lgkmcnt(0)
	v_cndmask_b32_e32 v3, v3, v24, vcc_lo
	s_delay_alu instid0(VALU_DEP_1) | instskip(NEXT) | instid1(VALU_DEP_1)
	v_cndmask_b32_e64 v3, v3, 0, s7
	v_add_nc_u32_e32 v4, v3, v4
	s_delay_alu instid0(VALU_DEP_1) | instskip(NEXT) | instid1(VALU_DEP_1)
	v_add_nc_u32_e32 v5, v4, v5
	v_add_nc_u32_e32 v6, v5, v6
	s_delay_alu instid0(VALU_DEP_1) | instskip(NEXT) | instid1(VALU_DEP_1)
	v_add_nc_u32_e32 v24, v6, v7
	;; [unrolled: 3-line block ×3, first 2 shown]
	v_add_nc_u32_e32 v1, v0, v2
	ds_store_2addr_b64 v13, v[3:4], v[5:6] offset0:3 offset1:4
	ds_store_2addr_b64 v15, v[24:25], v[0:1] offset0:2 offset1:3
	s_waitcnt lgkmcnt(0)
	s_barrier
	buffer_gl0_inv
	ds_load_b32 v0, v23
	v_lshlrev_b32_e32 v1, 2, v22
	s_waitcnt lgkmcnt(0)
	s_barrier
	buffer_gl0_inv
	v_lshl_add_u32 v0, v0, 2, v1
	ds_store_b32 v0, v21
	s_waitcnt lgkmcnt(0)
	s_barrier
	buffer_gl0_inv
	ds_load_b32 v21, v18
	s_waitcnt lgkmcnt(0)
	s_barrier
	buffer_gl0_inv
	v_bfe_u32 v0, v21, 24, 1
	v_lshrrev_b32_e32 v5, 24, v21
	s_delay_alu instid0(VALU_DEP_2) | instskip(NEXT) | instid1(VALU_DEP_1)
	v_add_co_u32 v0, s12, v0, -1
	v_cndmask_b32_e64 v1, 0, 1, s12
	s_delay_alu instid0(VALU_DEP_3)
	v_lshlrev_b32_e32 v2, 30, v5
	v_lshlrev_b32_e32 v3, 29, v5
	v_lshlrev_b32_e32 v4, 28, v5
	v_lshlrev_b32_e32 v6, 27, v5
	v_cmp_ne_u32_e64 s12, 0, v1
	v_not_b32_e32 v1, v2
	v_cmp_gt_i32_e64 s13, 0, v2
	v_not_b32_e32 v2, v3
	v_lshlrev_b32_e32 v7, 26, v5
	v_xor_b32_e32 v0, s12, v0
	v_ashrrev_i32_e32 v1, 31, v1
	v_cmp_gt_i32_e64 s12, 0, v3
	v_not_b32_e32 v3, v4
	v_ashrrev_i32_e32 v2, 31, v2
	v_and_b32_e32 v0, exec_lo, v0
	v_xor_b32_e32 v1, s13, v1
	v_cmp_gt_i32_e64 s13, 0, v4
	v_not_b32_e32 v4, v6
	v_ashrrev_i32_e32 v3, 31, v3
	v_xor_b32_e32 v2, s12, v2
	v_and_b32_e32 v0, v0, v1
	v_lshlrev_b32_e32 v22, 25, v5
	v_cmp_gt_i32_e64 s12, 0, v6
	v_not_b32_e32 v1, v7
	v_ashrrev_i32_e32 v4, 31, v4
	v_xor_b32_e32 v3, s13, v3
	v_and_b32_e32 v0, v0, v2
	v_cmp_gt_i32_e64 s13, 0, v7
	v_not_b32_e32 v2, v22
	v_ashrrev_i32_e32 v1, 31, v1
	v_xor_b32_e32 v4, s12, v4
	v_and_b32_e32 v0, v0, v3
	v_not_b32_e32 v3, v21
	v_cmp_gt_i32_e64 s12, 0, v22
	v_ashrrev_i32_e32 v2, 31, v2
	v_xor_b32_e32 v1, s13, v1
	v_and_b32_e32 v0, v0, v4
	v_cmp_gt_i32_e64 s13, 0, v21
	v_ashrrev_i32_e32 v3, 31, v3
	v_xor_b32_e32 v2, s12, v2
	s_delay_alu instid0(VALU_DEP_4) | instskip(NEXT) | instid1(VALU_DEP_3)
	v_and_b32_e32 v0, v0, v1
	v_xor_b32_e32 v3, s13, v3
	s_delay_alu instid0(VALU_DEP_2) | instskip(SKIP_1) | instid1(VALU_DEP_2)
	v_dual_mov_b32 v1, s22 :: v_dual_and_b32 v0, v0, v2
	v_mov_b32_e32 v2, s23
	v_dual_mov_b32 v3, s16 :: v_dual_and_b32 v0, v0, v3
	v_mov_b32_e32 v4, s17
	ds_store_2addr_b64 v13, v[1:2], v[3:4] offset0:3 offset1:4
	ds_store_2addr_b64 v15, v[1:2], v[3:4] offset0:2 offset1:3
	v_mbcnt_lo_u32_b32 v22, v0, 0
	v_mad_u32_u24 v1, v5, 6, v19
	v_cmp_ne_u32_e64 s13, 0, v0
	s_waitcnt lgkmcnt(0)
	s_barrier
	v_cmp_eq_u32_e64 s12, 0, v22
	v_lshl_add_u32 v23, v1, 2, 24
	buffer_gl0_inv
	; wave barrier
	s_and_b32 s13, s13, s12
	s_delay_alu instid0(SALU_CYCLE_1)
	s_and_saveexec_b32 s12, s13
	s_cbranch_execz .LBB208_28
; %bb.27:                               ;   in Loop: Header=BB208_2 Depth=1
	v_bcnt_u32_b32 v0, v0, 0
	ds_store_b32 v23, v0
.LBB208_28:                             ;   in Loop: Header=BB208_2 Depth=1
	s_or_b32 exec_lo, exec_lo, s12
	; wave barrier
	s_waitcnt lgkmcnt(0)
	s_barrier
	buffer_gl0_inv
	ds_load_2addr_b64 v[4:7], v13 offset0:3 offset1:4
	ds_load_2addr_b64 v[0:3], v15 offset0:2 offset1:3
	s_waitcnt lgkmcnt(1)
	v_add_nc_u32_e32 v24, v5, v4
	s_delay_alu instid0(VALU_DEP_1) | instskip(SKIP_1) | instid1(VALU_DEP_1)
	v_add3_u32 v24, v24, v6, v7
	s_waitcnt lgkmcnt(0)
	v_add3_u32 v24, v24, v0, v1
	s_delay_alu instid0(VALU_DEP_1) | instskip(NEXT) | instid1(VALU_DEP_1)
	v_add3_u32 v3, v24, v2, v3
	v_mov_b32_dpp v24, v3 row_shr:1 row_mask:0xf bank_mask:0xf
	s_delay_alu instid0(VALU_DEP_1) | instskip(NEXT) | instid1(VALU_DEP_1)
	v_cndmask_b32_e64 v24, v24, 0, s0
	v_add_nc_u32_e32 v3, v24, v3
	s_delay_alu instid0(VALU_DEP_1) | instskip(NEXT) | instid1(VALU_DEP_1)
	v_mov_b32_dpp v24, v3 row_shr:2 row_mask:0xf bank_mask:0xf
	v_cndmask_b32_e64 v24, 0, v24, s1
	s_delay_alu instid0(VALU_DEP_1) | instskip(NEXT) | instid1(VALU_DEP_1)
	v_add_nc_u32_e32 v3, v3, v24
	v_mov_b32_dpp v24, v3 row_shr:4 row_mask:0xf bank_mask:0xf
	s_delay_alu instid0(VALU_DEP_1) | instskip(NEXT) | instid1(VALU_DEP_1)
	v_cndmask_b32_e64 v24, 0, v24, s2
	v_add_nc_u32_e32 v3, v3, v24
	s_delay_alu instid0(VALU_DEP_1) | instskip(NEXT) | instid1(VALU_DEP_1)
	v_mov_b32_dpp v24, v3 row_shr:8 row_mask:0xf bank_mask:0xf
	v_cndmask_b32_e64 v24, 0, v24, s3
	s_delay_alu instid0(VALU_DEP_1) | instskip(SKIP_3) | instid1(VALU_DEP_1)
	v_add_nc_u32_e32 v3, v3, v24
	ds_swizzle_b32 v24, v3 offset:swizzle(BROADCAST,32,15)
	s_waitcnt lgkmcnt(0)
	v_cndmask_b32_e64 v24, v24, 0, s4
	v_add_nc_u32_e32 v3, v3, v24
	s_and_saveexec_b32 s12, s11
	s_cbranch_execz .LBB208_30
; %bb.29:                               ;   in Loop: Header=BB208_2 Depth=1
	ds_store_b32 v14, v3
.LBB208_30:                             ;   in Loop: Header=BB208_2 Depth=1
	s_or_b32 exec_lo, exec_lo, s12
	s_waitcnt lgkmcnt(0)
	s_barrier
	buffer_gl0_inv
	s_and_saveexec_b32 s12, s5
	s_cbranch_execz .LBB208_32
; %bb.31:                               ;   in Loop: Header=BB208_2 Depth=1
	ds_load_b32 v24, v20
	s_waitcnt lgkmcnt(0)
	v_mov_b32_dpp v25, v24 row_shr:1 row_mask:0xf bank_mask:0xf
	s_delay_alu instid0(VALU_DEP_1) | instskip(NEXT) | instid1(VALU_DEP_1)
	v_cndmask_b32_e64 v25, v25, 0, s8
	v_add_nc_u32_e32 v24, v25, v24
	s_delay_alu instid0(VALU_DEP_1) | instskip(NEXT) | instid1(VALU_DEP_1)
	v_mov_b32_dpp v25, v24 row_shr:2 row_mask:0xf bank_mask:0xf
	v_cndmask_b32_e64 v25, 0, v25, s9
	s_delay_alu instid0(VALU_DEP_1) | instskip(NEXT) | instid1(VALU_DEP_1)
	v_add_nc_u32_e32 v24, v24, v25
	v_mov_b32_dpp v25, v24 row_shr:4 row_mask:0xf bank_mask:0xf
	s_delay_alu instid0(VALU_DEP_1) | instskip(NEXT) | instid1(VALU_DEP_1)
	v_cndmask_b32_e64 v25, 0, v25, s10
	v_add_nc_u32_e32 v24, v24, v25
	ds_store_b32 v20, v24
.LBB208_32:                             ;   in Loop: Header=BB208_2 Depth=1
	s_or_b32 exec_lo, exec_lo, s12
	v_mov_b32_e32 v24, 0
	s_waitcnt lgkmcnt(0)
	s_barrier
	buffer_gl0_inv
	s_and_saveexec_b32 s12, s6
	s_cbranch_execz .LBB208_1
; %bb.33:                               ;   in Loop: Header=BB208_2 Depth=1
	ds_load_b32 v24, v17
	s_branch .LBB208_1
.LBB208_34:
	s_waitcnt lgkmcnt(0)
	v_xor_b32_e32 v0, 0x80000000, v21
	v_lshlrev_b32_e32 v1, 2, v8
	s_add_u32 s0, s18, s20
	s_addc_u32 s1, s19, s21
	global_store_b32 v1, v0, s[0:1]
	s_nop 0
	s_sendmsg sendmsg(MSG_DEALLOC_VGPRS)
	s_endpgm
	.section	.rodata,"a",@progbits
	.p2align	6, 0x0
	.amdhsa_kernel _Z16sort_keys_kernelI22helper_blocked_stripediLj192ELj1ELj10EEvPKT0_PS1_
		.amdhsa_group_segment_fixed_size 6176
		.amdhsa_private_segment_fixed_size 0
		.amdhsa_kernarg_size 272
		.amdhsa_user_sgpr_count 15
		.amdhsa_user_sgpr_dispatch_ptr 0
		.amdhsa_user_sgpr_queue_ptr 0
		.amdhsa_user_sgpr_kernarg_segment_ptr 1
		.amdhsa_user_sgpr_dispatch_id 0
		.amdhsa_user_sgpr_private_segment_size 0
		.amdhsa_wavefront_size32 1
		.amdhsa_uses_dynamic_stack 0
		.amdhsa_enable_private_segment 0
		.amdhsa_system_sgpr_workgroup_id_x 1
		.amdhsa_system_sgpr_workgroup_id_y 0
		.amdhsa_system_sgpr_workgroup_id_z 0
		.amdhsa_system_sgpr_workgroup_info 0
		.amdhsa_system_vgpr_workitem_id 2
		.amdhsa_next_free_vgpr 26
		.amdhsa_next_free_sgpr 24
		.amdhsa_reserve_vcc 1
		.amdhsa_float_round_mode_32 0
		.amdhsa_float_round_mode_16_64 0
		.amdhsa_float_denorm_mode_32 3
		.amdhsa_float_denorm_mode_16_64 3
		.amdhsa_dx10_clamp 1
		.amdhsa_ieee_mode 1
		.amdhsa_fp16_overflow 0
		.amdhsa_workgroup_processor_mode 1
		.amdhsa_memory_ordered 1
		.amdhsa_forward_progress 0
		.amdhsa_shared_vgpr_count 0
		.amdhsa_exception_fp_ieee_invalid_op 0
		.amdhsa_exception_fp_denorm_src 0
		.amdhsa_exception_fp_ieee_div_zero 0
		.amdhsa_exception_fp_ieee_overflow 0
		.amdhsa_exception_fp_ieee_underflow 0
		.amdhsa_exception_fp_ieee_inexact 0
		.amdhsa_exception_int_div_zero 0
	.end_amdhsa_kernel
	.section	.text._Z16sort_keys_kernelI22helper_blocked_stripediLj192ELj1ELj10EEvPKT0_PS1_,"axG",@progbits,_Z16sort_keys_kernelI22helper_blocked_stripediLj192ELj1ELj10EEvPKT0_PS1_,comdat
.Lfunc_end208:
	.size	_Z16sort_keys_kernelI22helper_blocked_stripediLj192ELj1ELj10EEvPKT0_PS1_, .Lfunc_end208-_Z16sort_keys_kernelI22helper_blocked_stripediLj192ELj1ELj10EEvPKT0_PS1_
                                        ; -- End function
	.section	.AMDGPU.csdata,"",@progbits
; Kernel info:
; codeLenInByte = 4268
; NumSgprs: 26
; NumVgprs: 26
; ScratchSize: 0
; MemoryBound: 0
; FloatMode: 240
; IeeeMode: 1
; LDSByteSize: 6176 bytes/workgroup (compile time only)
; SGPRBlocks: 3
; VGPRBlocks: 3
; NumSGPRsForWavesPerEU: 26
; NumVGPRsForWavesPerEU: 26
; Occupancy: 15
; WaveLimiterHint : 0
; COMPUTE_PGM_RSRC2:SCRATCH_EN: 0
; COMPUTE_PGM_RSRC2:USER_SGPR: 15
; COMPUTE_PGM_RSRC2:TRAP_HANDLER: 0
; COMPUTE_PGM_RSRC2:TGID_X_EN: 1
; COMPUTE_PGM_RSRC2:TGID_Y_EN: 0
; COMPUTE_PGM_RSRC2:TGID_Z_EN: 0
; COMPUTE_PGM_RSRC2:TIDIG_COMP_CNT: 2
	.section	.text._Z17sort_pairs_kernelI22helper_blocked_stripediLj192ELj1ELj10EEvPKT0_PS1_,"axG",@progbits,_Z17sort_pairs_kernelI22helper_blocked_stripediLj192ELj1ELj10EEvPKT0_PS1_,comdat
	.protected	_Z17sort_pairs_kernelI22helper_blocked_stripediLj192ELj1ELj10EEvPKT0_PS1_ ; -- Begin function _Z17sort_pairs_kernelI22helper_blocked_stripediLj192ELj1ELj10EEvPKT0_PS1_
	.globl	_Z17sort_pairs_kernelI22helper_blocked_stripediLj192ELj1ELj10EEvPKT0_PS1_
	.p2align	8
	.type	_Z17sort_pairs_kernelI22helper_blocked_stripediLj192ELj1ELj10EEvPKT0_PS1_,@function
_Z17sort_pairs_kernelI22helper_blocked_stripediLj192ELj1ELj10EEvPKT0_PS1_: ; @_Z17sort_pairs_kernelI22helper_blocked_stripediLj192ELj1ELj10EEvPKT0_PS1_
; %bb.0:
	s_clause 0x1
	s_load_b128 s[16:19], s[0:1], 0x0
	s_load_b32 s11, s[0:1], 0x1c
	s_mov_b32 s23, 0
	s_mul_i32 s22, s15, 0xc0
	v_mbcnt_lo_u32_b32 v3, -1, 0
	s_lshl_b64 s[20:21], s[22:23], 2
	s_mov_b32 s22, s23
	s_mov_b32 s15, 10
	s_delay_alu instid0(VALU_DEP_1) | instskip(SKIP_3) | instid1(VALU_DEP_4)
	v_dual_mov_b32 v11, s22 :: v_dual_and_b32 v4, 15, v3
	v_add_nc_u32_e32 v6, -1, v3
	v_and_b32_e32 v7, 7, v3
	v_dual_mov_b32 v12, s23 :: v_dual_and_b32 v5, 16, v3
	v_cmp_lt_u32_e64 s2, 3, v4
	v_cmp_lt_u32_e64 s3, 7, v4
	v_cmp_gt_i32_e64 s7, 0, v6
	v_cmp_eq_u32_e64 s8, 0, v7
	v_cmp_lt_u32_e64 s9, 1, v7
	v_cmp_lt_u32_e64 s10, 3, v7
	s_waitcnt lgkmcnt(0)
	s_add_u32 s0, s16, s20
	s_addc_u32 s1, s17, s21
	s_mov_b32 s16, s23
	s_mov_b32 s17, s23
	v_dual_mov_b32 v9, s16 :: v_dual_and_b32 v8, 0x3ff, v0
	v_mov_b32_e32 v10, s17
	s_lshr_b32 s12, s11, 16
	v_cmp_eq_u32_e64 s4, 0, v5
	s_delay_alu instid0(VALU_DEP_3)
	v_lshlrev_b32_e32 v1, 2, v8
	v_cndmask_b32_e64 v5, v6, v3, s7
	v_lshrrev_b32_e32 v6, 3, v8
	s_and_b32 s11, s11, 0xffff
	v_cmp_eq_u32_e32 vcc_lo, 0, v3
	global_load_b32 v2, v1, s[0:1]
	v_bfe_u32 v1, v0, 10, 10
	v_bfe_u32 v0, v0, 20, 10
	v_cmp_eq_u32_e64 s0, 0, v4
	v_cmp_lt_u32_e64 s1, 1, v4
	v_and_b32_e32 v4, 0xe0, v8
	v_lshlrev_b32_e32 v13, 5, v8
	v_mad_u32_u24 v7, v0, s12, v1
	v_mul_i32_i24_e32 v20, 0xffffffe4, v8
	v_and_b32_e32 v14, 28, v6
	v_min_u32_e32 v15, 0xa0, v4
	v_cmp_gt_u32_e64 s5, 6, v8
	v_mad_u64_u32 v[0:1], null, v7, s11, v[8:9]
	v_or_b32_e32 v1, v3, v4
	s_delay_alu instid0(VALU_DEP_4)
	v_or_b32_e32 v3, 31, v15
	v_cmp_lt_u32_e64 s6, 31, v8
	v_cmp_eq_u32_e64 s7, 0, v8
	v_or_b32_e32 v15, 24, v13
	v_lshlrev_b32_e32 v16, 2, v5
	v_add_nc_u32_e32 v17, -4, v14
	v_lshlrev_b32_e32 v18, 2, v1
	v_cmp_eq_u32_e64 s11, v3, v8
	v_lshrrev_b32_e32 v19, 5, v0
	v_add_nc_u32_e32 v20, v13, v20
	s_waitcnt vmcnt(0)
	v_add_nc_u32_e32 v21, 1, v2
	v_xor_b32_e32 v22, 0x80000000, v2
	s_branch .LBB209_2
.LBB209_1:                              ;   in Loop: Header=BB209_2 Depth=1
	s_or_b32 exec_lo, exec_lo, s12
	s_waitcnt lgkmcnt(0)
	v_add_nc_u32_e32 v3, v25, v3
	s_add_i32 s15, s15, -1
	s_delay_alu instid0(SALU_CYCLE_1) | instskip(SKIP_3) | instid1(VALU_DEP_1)
	s_cmp_lg_u32 s15, 0
	ds_bpermute_b32 v3, v16, v3
	s_waitcnt lgkmcnt(0)
	v_cndmask_b32_e32 v3, v3, v25, vcc_lo
	v_cndmask_b32_e64 v3, v3, 0, s7
	s_delay_alu instid0(VALU_DEP_1) | instskip(NEXT) | instid1(VALU_DEP_1)
	v_add_nc_u32_e32 v4, v3, v4
	v_add_nc_u32_e32 v5, v4, v5
	s_delay_alu instid0(VALU_DEP_1) | instskip(NEXT) | instid1(VALU_DEP_1)
	v_add_nc_u32_e32 v6, v5, v6
	v_add_nc_u32_e32 v25, v6, v7
	;; [unrolled: 3-line block ×3, first 2 shown]
	s_delay_alu instid0(VALU_DEP_1)
	v_add_nc_u32_e32 v1, v0, v2
	ds_store_2addr_b64 v13, v[3:4], v[5:6] offset0:3 offset1:4
	ds_store_2addr_b64 v15, v[25:26], v[0:1] offset0:2 offset1:3
	s_waitcnt lgkmcnt(0)
	s_barrier
	buffer_gl0_inv
	ds_load_b32 v0, v24
	v_lshlrev_b32_e32 v1, 2, v22
	s_waitcnt lgkmcnt(0)
	s_barrier
	buffer_gl0_inv
	v_lshl_add_u32 v0, v0, 2, v1
	ds_store_b32 v0, v21
	s_waitcnt lgkmcnt(0)
	s_barrier
	buffer_gl0_inv
	ds_load_b32 v22, v20
	s_waitcnt lgkmcnt(0)
	s_barrier
	buffer_gl0_inv
	ds_store_b32 v0, v23
	s_waitcnt lgkmcnt(0)
	s_barrier
	buffer_gl0_inv
	ds_load_b32 v21, v20
	s_cbranch_scc0 .LBB209_34
.LBB209_2:                              ; =>This Inner Loop Header: Depth=1
	s_delay_alu instid0(VALU_DEP_1)
	v_and_b32_e32 v0, 1, v22
	v_lshlrev_b32_e32 v1, 30, v22
	v_lshlrev_b32_e32 v2, 29, v22
	;; [unrolled: 1-line block ×4, first 2 shown]
	v_add_co_u32 v0, s12, v0, -1
	s_delay_alu instid0(VALU_DEP_1)
	v_cndmask_b32_e64 v3, 0, 1, s12
	v_not_b32_e32 v7, v1
	v_cmp_gt_i32_e64 s13, 0, v1
	v_not_b32_e32 v1, v2
	v_lshlrev_b32_e32 v6, 26, v22
	v_cmp_ne_u32_e64 s12, 0, v3
	v_ashrrev_i32_e32 v7, 31, v7
	v_lshlrev_b32_e32 v3, 25, v22
	v_ashrrev_i32_e32 v1, 31, v1
	v_cmp_gt_i32_e64 s14, 0, v5
	v_xor_b32_e32 v0, s12, v0
	v_cmp_gt_i32_e64 s12, 0, v2
	v_not_b32_e32 v2, v4
	v_xor_b32_e32 v7, s13, v7
	v_cmp_gt_i32_e64 s13, 0, v4
	v_and_b32_e32 v0, exec_lo, v0
	v_xor_b32_e32 v1, s12, v1
	v_ashrrev_i32_e32 v2, 31, v2
	v_not_b32_e32 v4, v5
	v_not_b32_e32 v5, v6
	v_and_b32_e32 v0, v0, v7
	v_cmp_gt_i32_e64 s12, 0, v6
	v_xor_b32_e32 v2, s13, v2
	v_not_b32_e32 v6, v3
	ds_store_2addr_b64 v13, v[11:12], v[9:10] offset0:3 offset1:4
	ds_store_2addr_b64 v15, v[11:12], v[9:10] offset0:2 offset1:3
	v_and_b32_e32 v0, v0, v1
	v_ashrrev_i32_e32 v1, 31, v4
	v_ashrrev_i32_e32 v4, 31, v5
	v_lshlrev_b32_e32 v5, 24, v22
	s_waitcnt lgkmcnt(0)
	v_and_b32_e32 v0, v0, v2
	v_xor_b32_e32 v1, s14, v1
	v_xor_b32_e32 v2, s12, v4
	v_cmp_gt_i32_e64 s12, 0, v3
	v_not_b32_e32 v3, v5
	v_ashrrev_i32_e32 v4, 31, v6
	v_and_b32_e32 v0, v0, v1
	v_cmp_gt_i32_e64 s13, 0, v5
	s_barrier
	v_ashrrev_i32_e32 v1, 31, v3
	v_xor_b32_e32 v3, s12, v4
	v_and_b32_e32 v0, v0, v2
	buffer_gl0_inv
	v_xor_b32_e32 v1, s13, v1
	; wave barrier
	v_and_b32_e32 v0, v0, v3
	s_delay_alu instid0(VALU_DEP_1) | instskip(SKIP_1) | instid1(VALU_DEP_2)
	v_and_b32_e32 v0, v0, v1
	v_and_b32_e32 v1, 0xff, v22
	v_mbcnt_lo_u32_b32 v23, v0, 0
	s_delay_alu instid0(VALU_DEP_2) | instskip(SKIP_1) | instid1(VALU_DEP_3)
	v_mad_u32_u24 v1, v1, 6, v19
	v_cmp_ne_u32_e64 s13, 0, v0
	v_cmp_eq_u32_e64 s12, 0, v23
	s_delay_alu instid0(VALU_DEP_3) | instskip(NEXT) | instid1(VALU_DEP_2)
	v_lshl_add_u32 v24, v1, 2, 24
	s_and_b32 s13, s13, s12
	s_delay_alu instid0(SALU_CYCLE_1)
	s_and_saveexec_b32 s12, s13
	s_cbranch_execz .LBB209_4
; %bb.3:                                ;   in Loop: Header=BB209_2 Depth=1
	v_bcnt_u32_b32 v0, v0, 0
	ds_store_b32 v24, v0
.LBB209_4:                              ;   in Loop: Header=BB209_2 Depth=1
	s_or_b32 exec_lo, exec_lo, s12
	; wave barrier
	s_waitcnt lgkmcnt(0)
	s_barrier
	buffer_gl0_inv
	ds_load_2addr_b64 v[4:7], v13 offset0:3 offset1:4
	ds_load_2addr_b64 v[0:3], v15 offset0:2 offset1:3
	s_waitcnt lgkmcnt(1)
	v_add_nc_u32_e32 v25, v5, v4
	s_delay_alu instid0(VALU_DEP_1) | instskip(SKIP_1) | instid1(VALU_DEP_1)
	v_add3_u32 v25, v25, v6, v7
	s_waitcnt lgkmcnt(0)
	v_add3_u32 v25, v25, v0, v1
	s_delay_alu instid0(VALU_DEP_1) | instskip(NEXT) | instid1(VALU_DEP_1)
	v_add3_u32 v3, v25, v2, v3
	v_mov_b32_dpp v25, v3 row_shr:1 row_mask:0xf bank_mask:0xf
	s_delay_alu instid0(VALU_DEP_1) | instskip(NEXT) | instid1(VALU_DEP_1)
	v_cndmask_b32_e64 v25, v25, 0, s0
	v_add_nc_u32_e32 v3, v25, v3
	s_delay_alu instid0(VALU_DEP_1) | instskip(NEXT) | instid1(VALU_DEP_1)
	v_mov_b32_dpp v25, v3 row_shr:2 row_mask:0xf bank_mask:0xf
	v_cndmask_b32_e64 v25, 0, v25, s1
	s_delay_alu instid0(VALU_DEP_1) | instskip(NEXT) | instid1(VALU_DEP_1)
	v_add_nc_u32_e32 v3, v3, v25
	v_mov_b32_dpp v25, v3 row_shr:4 row_mask:0xf bank_mask:0xf
	s_delay_alu instid0(VALU_DEP_1) | instskip(NEXT) | instid1(VALU_DEP_1)
	v_cndmask_b32_e64 v25, 0, v25, s2
	v_add_nc_u32_e32 v3, v3, v25
	s_delay_alu instid0(VALU_DEP_1) | instskip(NEXT) | instid1(VALU_DEP_1)
	v_mov_b32_dpp v25, v3 row_shr:8 row_mask:0xf bank_mask:0xf
	v_cndmask_b32_e64 v25, 0, v25, s3
	s_delay_alu instid0(VALU_DEP_1) | instskip(SKIP_3) | instid1(VALU_DEP_1)
	v_add_nc_u32_e32 v3, v3, v25
	ds_swizzle_b32 v25, v3 offset:swizzle(BROADCAST,32,15)
	s_waitcnt lgkmcnt(0)
	v_cndmask_b32_e64 v25, v25, 0, s4
	v_add_nc_u32_e32 v3, v3, v25
	s_and_saveexec_b32 s12, s11
	s_cbranch_execz .LBB209_6
; %bb.5:                                ;   in Loop: Header=BB209_2 Depth=1
	ds_store_b32 v14, v3
.LBB209_6:                              ;   in Loop: Header=BB209_2 Depth=1
	s_or_b32 exec_lo, exec_lo, s12
	s_waitcnt lgkmcnt(0)
	s_barrier
	buffer_gl0_inv
	s_and_saveexec_b32 s12, s5
	s_cbranch_execz .LBB209_8
; %bb.7:                                ;   in Loop: Header=BB209_2 Depth=1
	ds_load_b32 v25, v20
	s_waitcnt lgkmcnt(0)
	v_mov_b32_dpp v26, v25 row_shr:1 row_mask:0xf bank_mask:0xf
	s_delay_alu instid0(VALU_DEP_1) | instskip(NEXT) | instid1(VALU_DEP_1)
	v_cndmask_b32_e64 v26, v26, 0, s8
	v_add_nc_u32_e32 v25, v26, v25
	s_delay_alu instid0(VALU_DEP_1) | instskip(NEXT) | instid1(VALU_DEP_1)
	v_mov_b32_dpp v26, v25 row_shr:2 row_mask:0xf bank_mask:0xf
	v_cndmask_b32_e64 v26, 0, v26, s9
	s_delay_alu instid0(VALU_DEP_1) | instskip(NEXT) | instid1(VALU_DEP_1)
	v_add_nc_u32_e32 v25, v25, v26
	v_mov_b32_dpp v26, v25 row_shr:4 row_mask:0xf bank_mask:0xf
	s_delay_alu instid0(VALU_DEP_1) | instskip(NEXT) | instid1(VALU_DEP_1)
	v_cndmask_b32_e64 v26, 0, v26, s10
	v_add_nc_u32_e32 v25, v25, v26
	ds_store_b32 v20, v25
.LBB209_8:                              ;   in Loop: Header=BB209_2 Depth=1
	s_or_b32 exec_lo, exec_lo, s12
	v_mov_b32_e32 v25, 0
	s_waitcnt lgkmcnt(0)
	s_barrier
	buffer_gl0_inv
	s_and_saveexec_b32 s12, s6
	s_cbranch_execz .LBB209_10
; %bb.9:                                ;   in Loop: Header=BB209_2 Depth=1
	ds_load_b32 v25, v17
.LBB209_10:                             ;   in Loop: Header=BB209_2 Depth=1
	s_or_b32 exec_lo, exec_lo, s12
	s_waitcnt lgkmcnt(0)
	v_add_nc_u32_e32 v3, v25, v3
	ds_bpermute_b32 v3, v16, v3
	s_waitcnt lgkmcnt(0)
	v_cndmask_b32_e32 v3, v3, v25, vcc_lo
	s_delay_alu instid0(VALU_DEP_1) | instskip(NEXT) | instid1(VALU_DEP_1)
	v_cndmask_b32_e64 v3, v3, 0, s7
	v_add_nc_u32_e32 v4, v3, v4
	s_delay_alu instid0(VALU_DEP_1) | instskip(NEXT) | instid1(VALU_DEP_1)
	v_add_nc_u32_e32 v5, v4, v5
	v_add_nc_u32_e32 v6, v5, v6
	s_delay_alu instid0(VALU_DEP_1) | instskip(NEXT) | instid1(VALU_DEP_1)
	v_add_nc_u32_e32 v25, v6, v7
	;; [unrolled: 3-line block ×3, first 2 shown]
	v_add_nc_u32_e32 v1, v0, v2
	ds_store_2addr_b64 v13, v[3:4], v[5:6] offset0:3 offset1:4
	ds_store_2addr_b64 v15, v[25:26], v[0:1] offset0:2 offset1:3
	s_waitcnt lgkmcnt(0)
	s_barrier
	buffer_gl0_inv
	ds_load_b32 v0, v24
	v_lshlrev_b32_e32 v1, 2, v23
	s_waitcnt lgkmcnt(0)
	s_barrier
	buffer_gl0_inv
	v_lshl_add_u32 v0, v0, 2, v1
	ds_store_b32 v0, v22
	s_waitcnt lgkmcnt(0)
	s_barrier
	buffer_gl0_inv
	ds_load_b32 v23, v18
	s_waitcnt lgkmcnt(0)
	s_barrier
	buffer_gl0_inv
	ds_store_b32 v0, v21
	s_waitcnt lgkmcnt(0)
	s_barrier
	buffer_gl0_inv
	v_bfe_u32 v1, v23, 8, 1
	v_lshrrev_b32_e32 v2, 8, v23
	s_delay_alu instid0(VALU_DEP_2) | instskip(NEXT) | instid1(VALU_DEP_1)
	v_add_co_u32 v1, s12, v1, -1
	v_cndmask_b32_e64 v3, 0, 1, s12
	s_delay_alu instid0(VALU_DEP_3)
	v_lshlrev_b32_e32 v4, 30, v2
	v_lshlrev_b32_e32 v5, 29, v2
	;; [unrolled: 1-line block ×4, first 2 shown]
	v_cmp_ne_u32_e64 s12, 0, v3
	v_not_b32_e32 v3, v4
	v_cmp_gt_i32_e64 s13, 0, v4
	v_not_b32_e32 v4, v5
	v_lshlrev_b32_e32 v22, 26, v2
	v_xor_b32_e32 v1, s12, v1
	v_ashrrev_i32_e32 v3, 31, v3
	v_cmp_gt_i32_e64 s12, 0, v5
	v_not_b32_e32 v5, v6
	v_ashrrev_i32_e32 v4, 31, v4
	v_and_b32_e32 v1, exec_lo, v1
	v_xor_b32_e32 v3, s13, v3
	v_cmp_gt_i32_e64 s13, 0, v6
	v_not_b32_e32 v6, v7
	v_ashrrev_i32_e32 v5, 31, v5
	v_xor_b32_e32 v4, s12, v4
	v_and_b32_e32 v1, v1, v3
	v_lshlrev_b32_e32 v24, 25, v2
	v_cmp_gt_i32_e64 s12, 0, v7
	v_not_b32_e32 v3, v22
	v_ashrrev_i32_e32 v6, 31, v6
	v_xor_b32_e32 v5, s13, v5
	v_and_b32_e32 v1, v1, v4
	v_lshlrev_b32_e32 v2, 24, v2
	v_cmp_gt_i32_e64 s13, 0, v22
	v_not_b32_e32 v4, v24
	v_ashrrev_i32_e32 v3, 31, v3
	v_xor_b32_e32 v6, s12, v6
	v_and_b32_e32 v1, v1, v5
	v_cmp_gt_i32_e64 s12, 0, v24
	v_not_b32_e32 v5, v2
	v_ashrrev_i32_e32 v4, 31, v4
	v_xor_b32_e32 v3, s13, v3
	v_and_b32_e32 v1, v1, v6
	v_cmp_gt_i32_e64 s13, 0, v2
	v_ashrrev_i32_e32 v2, 31, v5
	v_xor_b32_e32 v4, s12, v4
	ds_load_b32 v22, v18
	v_and_b32_e32 v1, v1, v3
	s_waitcnt lgkmcnt(0)
	v_xor_b32_e32 v0, s13, v2
	s_barrier
	buffer_gl0_inv
	v_and_b32_e32 v1, v1, v4
	ds_store_2addr_b64 v13, v[11:12], v[9:10] offset0:3 offset1:4
	ds_store_2addr_b64 v15, v[11:12], v[9:10] offset0:2 offset1:3
	s_waitcnt lgkmcnt(0)
	s_barrier
	buffer_gl0_inv
	v_and_b32_e32 v0, v1, v0
	v_bfe_u32 v1, v23, 8, 8
	; wave barrier
	s_delay_alu instid0(VALU_DEP_2) | instskip(NEXT) | instid1(VALU_DEP_2)
	v_mbcnt_lo_u32_b32 v21, v0, 0
	v_mad_u32_u24 v1, v1, 6, v19
	v_cmp_ne_u32_e64 s13, 0, v0
	s_delay_alu instid0(VALU_DEP_3) | instskip(NEXT) | instid1(VALU_DEP_3)
	v_cmp_eq_u32_e64 s12, 0, v21
	v_lshl_add_u32 v24, v1, 2, 24
	s_delay_alu instid0(VALU_DEP_2) | instskip(NEXT) | instid1(SALU_CYCLE_1)
	s_and_b32 s13, s13, s12
	s_and_saveexec_b32 s12, s13
	s_cbranch_execz .LBB209_12
; %bb.11:                               ;   in Loop: Header=BB209_2 Depth=1
	v_bcnt_u32_b32 v0, v0, 0
	ds_store_b32 v24, v0
.LBB209_12:                             ;   in Loop: Header=BB209_2 Depth=1
	s_or_b32 exec_lo, exec_lo, s12
	; wave barrier
	s_waitcnt lgkmcnt(0)
	s_barrier
	buffer_gl0_inv
	ds_load_2addr_b64 v[4:7], v13 offset0:3 offset1:4
	ds_load_2addr_b64 v[0:3], v15 offset0:2 offset1:3
	s_waitcnt lgkmcnt(1)
	v_add_nc_u32_e32 v25, v5, v4
	s_delay_alu instid0(VALU_DEP_1) | instskip(SKIP_1) | instid1(VALU_DEP_1)
	v_add3_u32 v25, v25, v6, v7
	s_waitcnt lgkmcnt(0)
	v_add3_u32 v25, v25, v0, v1
	s_delay_alu instid0(VALU_DEP_1) | instskip(NEXT) | instid1(VALU_DEP_1)
	v_add3_u32 v3, v25, v2, v3
	v_mov_b32_dpp v25, v3 row_shr:1 row_mask:0xf bank_mask:0xf
	s_delay_alu instid0(VALU_DEP_1) | instskip(NEXT) | instid1(VALU_DEP_1)
	v_cndmask_b32_e64 v25, v25, 0, s0
	v_add_nc_u32_e32 v3, v25, v3
	s_delay_alu instid0(VALU_DEP_1) | instskip(NEXT) | instid1(VALU_DEP_1)
	v_mov_b32_dpp v25, v3 row_shr:2 row_mask:0xf bank_mask:0xf
	v_cndmask_b32_e64 v25, 0, v25, s1
	s_delay_alu instid0(VALU_DEP_1) | instskip(NEXT) | instid1(VALU_DEP_1)
	v_add_nc_u32_e32 v3, v3, v25
	v_mov_b32_dpp v25, v3 row_shr:4 row_mask:0xf bank_mask:0xf
	s_delay_alu instid0(VALU_DEP_1) | instskip(NEXT) | instid1(VALU_DEP_1)
	v_cndmask_b32_e64 v25, 0, v25, s2
	v_add_nc_u32_e32 v3, v3, v25
	s_delay_alu instid0(VALU_DEP_1) | instskip(NEXT) | instid1(VALU_DEP_1)
	v_mov_b32_dpp v25, v3 row_shr:8 row_mask:0xf bank_mask:0xf
	v_cndmask_b32_e64 v25, 0, v25, s3
	s_delay_alu instid0(VALU_DEP_1) | instskip(SKIP_3) | instid1(VALU_DEP_1)
	v_add_nc_u32_e32 v3, v3, v25
	ds_swizzle_b32 v25, v3 offset:swizzle(BROADCAST,32,15)
	s_waitcnt lgkmcnt(0)
	v_cndmask_b32_e64 v25, v25, 0, s4
	v_add_nc_u32_e32 v3, v3, v25
	s_and_saveexec_b32 s12, s11
	s_cbranch_execz .LBB209_14
; %bb.13:                               ;   in Loop: Header=BB209_2 Depth=1
	ds_store_b32 v14, v3
.LBB209_14:                             ;   in Loop: Header=BB209_2 Depth=1
	s_or_b32 exec_lo, exec_lo, s12
	s_waitcnt lgkmcnt(0)
	s_barrier
	buffer_gl0_inv
	s_and_saveexec_b32 s12, s5
	s_cbranch_execz .LBB209_16
; %bb.15:                               ;   in Loop: Header=BB209_2 Depth=1
	ds_load_b32 v25, v20
	s_waitcnt lgkmcnt(0)
	v_mov_b32_dpp v26, v25 row_shr:1 row_mask:0xf bank_mask:0xf
	s_delay_alu instid0(VALU_DEP_1) | instskip(NEXT) | instid1(VALU_DEP_1)
	v_cndmask_b32_e64 v26, v26, 0, s8
	v_add_nc_u32_e32 v25, v26, v25
	s_delay_alu instid0(VALU_DEP_1) | instskip(NEXT) | instid1(VALU_DEP_1)
	v_mov_b32_dpp v26, v25 row_shr:2 row_mask:0xf bank_mask:0xf
	v_cndmask_b32_e64 v26, 0, v26, s9
	s_delay_alu instid0(VALU_DEP_1) | instskip(NEXT) | instid1(VALU_DEP_1)
	v_add_nc_u32_e32 v25, v25, v26
	v_mov_b32_dpp v26, v25 row_shr:4 row_mask:0xf bank_mask:0xf
	s_delay_alu instid0(VALU_DEP_1) | instskip(NEXT) | instid1(VALU_DEP_1)
	v_cndmask_b32_e64 v26, 0, v26, s10
	v_add_nc_u32_e32 v25, v25, v26
	ds_store_b32 v20, v25
.LBB209_16:                             ;   in Loop: Header=BB209_2 Depth=1
	s_or_b32 exec_lo, exec_lo, s12
	v_mov_b32_e32 v25, 0
	s_waitcnt lgkmcnt(0)
	s_barrier
	buffer_gl0_inv
	s_and_saveexec_b32 s12, s6
	s_cbranch_execz .LBB209_18
; %bb.17:                               ;   in Loop: Header=BB209_2 Depth=1
	ds_load_b32 v25, v17
.LBB209_18:                             ;   in Loop: Header=BB209_2 Depth=1
	s_or_b32 exec_lo, exec_lo, s12
	s_waitcnt lgkmcnt(0)
	v_add_nc_u32_e32 v3, v25, v3
	ds_bpermute_b32 v3, v16, v3
	s_waitcnt lgkmcnt(0)
	v_cndmask_b32_e32 v3, v3, v25, vcc_lo
	s_delay_alu instid0(VALU_DEP_1) | instskip(NEXT) | instid1(VALU_DEP_1)
	v_cndmask_b32_e64 v3, v3, 0, s7
	v_add_nc_u32_e32 v4, v3, v4
	s_delay_alu instid0(VALU_DEP_1) | instskip(NEXT) | instid1(VALU_DEP_1)
	v_add_nc_u32_e32 v5, v4, v5
	v_add_nc_u32_e32 v6, v5, v6
	s_delay_alu instid0(VALU_DEP_1) | instskip(NEXT) | instid1(VALU_DEP_1)
	v_add_nc_u32_e32 v25, v6, v7
	;; [unrolled: 3-line block ×3, first 2 shown]
	v_add_nc_u32_e32 v1, v0, v2
	ds_store_2addr_b64 v13, v[3:4], v[5:6] offset0:3 offset1:4
	ds_store_2addr_b64 v15, v[25:26], v[0:1] offset0:2 offset1:3
	s_waitcnt lgkmcnt(0)
	s_barrier
	buffer_gl0_inv
	ds_load_b32 v0, v24
	v_lshlrev_b32_e32 v1, 2, v21
	s_waitcnt lgkmcnt(0)
	s_barrier
	buffer_gl0_inv
	v_lshl_add_u32 v0, v0, 2, v1
	v_dual_mov_b32 v1, s22 :: v_dual_mov_b32 v2, s23
	ds_store_b32 v0, v23
	s_waitcnt lgkmcnt(0)
	s_barrier
	buffer_gl0_inv
	ds_load_b32 v21, v18
	s_waitcnt lgkmcnt(0)
	s_barrier
	buffer_gl0_inv
	ds_store_b32 v0, v22
	s_waitcnt lgkmcnt(0)
	s_barrier
	buffer_gl0_inv
	ds_load_b32 v22, v18
	s_waitcnt lgkmcnt(0)
	s_barrier
	buffer_gl0_inv
	v_bfe_u32 v3, v21, 16, 1
	v_lshrrev_b32_e32 v4, 16, v21
	s_delay_alu instid0(VALU_DEP_2) | instskip(NEXT) | instid1(VALU_DEP_1)
	v_add_co_u32 v3, s12, v3, -1
	v_cndmask_b32_e64 v5, 0, 1, s12
	s_delay_alu instid0(VALU_DEP_3)
	v_lshlrev_b32_e32 v6, 30, v4
	v_lshlrev_b32_e32 v7, 29, v4
	;; [unrolled: 1-line block ×4, first 2 shown]
	v_cmp_ne_u32_e64 s12, 0, v5
	v_not_b32_e32 v5, v6
	v_cmp_gt_i32_e64 s13, 0, v6
	v_not_b32_e32 v6, v7
	v_lshlrev_b32_e32 v25, 26, v4
	v_xor_b32_e32 v3, s12, v3
	v_ashrrev_i32_e32 v5, 31, v5
	v_cmp_gt_i32_e64 s12, 0, v7
	v_not_b32_e32 v7, v23
	v_ashrrev_i32_e32 v6, 31, v6
	v_and_b32_e32 v3, exec_lo, v3
	v_xor_b32_e32 v5, s13, v5
	v_cmp_gt_i32_e64 s13, 0, v23
	v_not_b32_e32 v23, v24
	v_ashrrev_i32_e32 v7, 31, v7
	v_xor_b32_e32 v6, s12, v6
	v_and_b32_e32 v3, v3, v5
	v_lshlrev_b32_e32 v26, 25, v4
	v_cmp_gt_i32_e64 s12, 0, v24
	v_not_b32_e32 v5, v25
	v_ashrrev_i32_e32 v23, 31, v23
	v_xor_b32_e32 v7, s13, v7
	v_and_b32_e32 v3, v3, v6
	v_lshlrev_b32_e32 v4, 24, v4
	v_cmp_gt_i32_e64 s13, 0, v25
	v_not_b32_e32 v6, v26
	v_ashrrev_i32_e32 v5, 31, v5
	v_xor_b32_e32 v23, s12, v23
	v_and_b32_e32 v3, v3, v7
	v_cmp_gt_i32_e64 s12, 0, v26
	v_not_b32_e32 v7, v4
	v_ashrrev_i32_e32 v6, 31, v6
	v_xor_b32_e32 v5, s13, v5
	v_and_b32_e32 v3, v3, v23
	v_cmp_gt_i32_e64 s13, 0, v4
	v_ashrrev_i32_e32 v4, 31, v7
	v_xor_b32_e32 v6, s12, v6
	s_delay_alu instid0(VALU_DEP_4) | instskip(NEXT) | instid1(VALU_DEP_3)
	v_and_b32_e32 v3, v3, v5
	v_xor_b32_e32 v0, s13, v4
	s_delay_alu instid0(VALU_DEP_2)
	v_and_b32_e32 v5, v3, v6
	v_dual_mov_b32 v3, s16 :: v_dual_mov_b32 v4, s17
	ds_store_2addr_b64 v13, v[1:2], v[3:4] offset0:3 offset1:4
	ds_store_2addr_b64 v15, v[1:2], v[3:4] offset0:2 offset1:3
	v_and_b32_e32 v0, v5, v0
	v_bfe_u32 v5, v21, 16, 8
	s_waitcnt lgkmcnt(0)
	s_barrier
	buffer_gl0_inv
	v_mbcnt_lo_u32_b32 v23, v0, 0
	v_mad_u32_u24 v1, v5, 6, v19
	v_cmp_ne_u32_e64 s13, 0, v0
	; wave barrier
	s_delay_alu instid0(VALU_DEP_3) | instskip(NEXT) | instid1(VALU_DEP_3)
	v_cmp_eq_u32_e64 s12, 0, v23
	v_lshl_add_u32 v24, v1, 2, 24
	s_delay_alu instid0(VALU_DEP_2) | instskip(NEXT) | instid1(SALU_CYCLE_1)
	s_and_b32 s13, s13, s12
	s_and_saveexec_b32 s12, s13
	s_cbranch_execz .LBB209_20
; %bb.19:                               ;   in Loop: Header=BB209_2 Depth=1
	v_bcnt_u32_b32 v0, v0, 0
	ds_store_b32 v24, v0
.LBB209_20:                             ;   in Loop: Header=BB209_2 Depth=1
	s_or_b32 exec_lo, exec_lo, s12
	; wave barrier
	s_waitcnt lgkmcnt(0)
	s_barrier
	buffer_gl0_inv
	ds_load_2addr_b64 v[4:7], v13 offset0:3 offset1:4
	ds_load_2addr_b64 v[0:3], v15 offset0:2 offset1:3
	s_waitcnt lgkmcnt(1)
	v_add_nc_u32_e32 v25, v5, v4
	s_delay_alu instid0(VALU_DEP_1) | instskip(SKIP_1) | instid1(VALU_DEP_1)
	v_add3_u32 v25, v25, v6, v7
	s_waitcnt lgkmcnt(0)
	v_add3_u32 v25, v25, v0, v1
	s_delay_alu instid0(VALU_DEP_1) | instskip(NEXT) | instid1(VALU_DEP_1)
	v_add3_u32 v3, v25, v2, v3
	v_mov_b32_dpp v25, v3 row_shr:1 row_mask:0xf bank_mask:0xf
	s_delay_alu instid0(VALU_DEP_1) | instskip(NEXT) | instid1(VALU_DEP_1)
	v_cndmask_b32_e64 v25, v25, 0, s0
	v_add_nc_u32_e32 v3, v25, v3
	s_delay_alu instid0(VALU_DEP_1) | instskip(NEXT) | instid1(VALU_DEP_1)
	v_mov_b32_dpp v25, v3 row_shr:2 row_mask:0xf bank_mask:0xf
	v_cndmask_b32_e64 v25, 0, v25, s1
	s_delay_alu instid0(VALU_DEP_1) | instskip(NEXT) | instid1(VALU_DEP_1)
	v_add_nc_u32_e32 v3, v3, v25
	v_mov_b32_dpp v25, v3 row_shr:4 row_mask:0xf bank_mask:0xf
	s_delay_alu instid0(VALU_DEP_1) | instskip(NEXT) | instid1(VALU_DEP_1)
	v_cndmask_b32_e64 v25, 0, v25, s2
	v_add_nc_u32_e32 v3, v3, v25
	s_delay_alu instid0(VALU_DEP_1) | instskip(NEXT) | instid1(VALU_DEP_1)
	v_mov_b32_dpp v25, v3 row_shr:8 row_mask:0xf bank_mask:0xf
	v_cndmask_b32_e64 v25, 0, v25, s3
	s_delay_alu instid0(VALU_DEP_1) | instskip(SKIP_3) | instid1(VALU_DEP_1)
	v_add_nc_u32_e32 v3, v3, v25
	ds_swizzle_b32 v25, v3 offset:swizzle(BROADCAST,32,15)
	s_waitcnt lgkmcnt(0)
	v_cndmask_b32_e64 v25, v25, 0, s4
	v_add_nc_u32_e32 v3, v3, v25
	s_and_saveexec_b32 s12, s11
	s_cbranch_execz .LBB209_22
; %bb.21:                               ;   in Loop: Header=BB209_2 Depth=1
	ds_store_b32 v14, v3
.LBB209_22:                             ;   in Loop: Header=BB209_2 Depth=1
	s_or_b32 exec_lo, exec_lo, s12
	s_waitcnt lgkmcnt(0)
	s_barrier
	buffer_gl0_inv
	s_and_saveexec_b32 s12, s5
	s_cbranch_execz .LBB209_24
; %bb.23:                               ;   in Loop: Header=BB209_2 Depth=1
	ds_load_b32 v25, v20
	s_waitcnt lgkmcnt(0)
	v_mov_b32_dpp v26, v25 row_shr:1 row_mask:0xf bank_mask:0xf
	s_delay_alu instid0(VALU_DEP_1) | instskip(NEXT) | instid1(VALU_DEP_1)
	v_cndmask_b32_e64 v26, v26, 0, s8
	v_add_nc_u32_e32 v25, v26, v25
	s_delay_alu instid0(VALU_DEP_1) | instskip(NEXT) | instid1(VALU_DEP_1)
	v_mov_b32_dpp v26, v25 row_shr:2 row_mask:0xf bank_mask:0xf
	v_cndmask_b32_e64 v26, 0, v26, s9
	s_delay_alu instid0(VALU_DEP_1) | instskip(NEXT) | instid1(VALU_DEP_1)
	v_add_nc_u32_e32 v25, v25, v26
	v_mov_b32_dpp v26, v25 row_shr:4 row_mask:0xf bank_mask:0xf
	s_delay_alu instid0(VALU_DEP_1) | instskip(NEXT) | instid1(VALU_DEP_1)
	v_cndmask_b32_e64 v26, 0, v26, s10
	v_add_nc_u32_e32 v25, v25, v26
	ds_store_b32 v20, v25
.LBB209_24:                             ;   in Loop: Header=BB209_2 Depth=1
	s_or_b32 exec_lo, exec_lo, s12
	v_mov_b32_e32 v25, 0
	s_waitcnt lgkmcnt(0)
	s_barrier
	buffer_gl0_inv
	s_and_saveexec_b32 s12, s6
	s_cbranch_execz .LBB209_26
; %bb.25:                               ;   in Loop: Header=BB209_2 Depth=1
	ds_load_b32 v25, v17
.LBB209_26:                             ;   in Loop: Header=BB209_2 Depth=1
	s_or_b32 exec_lo, exec_lo, s12
	s_waitcnt lgkmcnt(0)
	v_add_nc_u32_e32 v3, v25, v3
	ds_bpermute_b32 v3, v16, v3
	s_waitcnt lgkmcnt(0)
	v_cndmask_b32_e32 v3, v3, v25, vcc_lo
	s_delay_alu instid0(VALU_DEP_1) | instskip(NEXT) | instid1(VALU_DEP_1)
	v_cndmask_b32_e64 v3, v3, 0, s7
	v_add_nc_u32_e32 v4, v3, v4
	s_delay_alu instid0(VALU_DEP_1) | instskip(NEXT) | instid1(VALU_DEP_1)
	v_add_nc_u32_e32 v5, v4, v5
	v_add_nc_u32_e32 v6, v5, v6
	s_delay_alu instid0(VALU_DEP_1) | instskip(NEXT) | instid1(VALU_DEP_1)
	v_add_nc_u32_e32 v25, v6, v7
	;; [unrolled: 3-line block ×3, first 2 shown]
	v_add_nc_u32_e32 v1, v0, v2
	ds_store_2addr_b64 v13, v[3:4], v[5:6] offset0:3 offset1:4
	ds_store_2addr_b64 v15, v[25:26], v[0:1] offset0:2 offset1:3
	s_waitcnt lgkmcnt(0)
	s_barrier
	buffer_gl0_inv
	ds_load_b32 v0, v24
	v_lshlrev_b32_e32 v1, 2, v23
	s_waitcnt lgkmcnt(0)
	s_barrier
	buffer_gl0_inv
	v_lshl_add_u32 v0, v0, 2, v1
	ds_store_b32 v0, v21
	s_waitcnt lgkmcnt(0)
	s_barrier
	buffer_gl0_inv
	ds_load_b32 v21, v18
	s_waitcnt lgkmcnt(0)
	s_barrier
	buffer_gl0_inv
	ds_store_b32 v0, v22
	s_waitcnt lgkmcnt(0)
	s_barrier
	buffer_gl0_inv
	v_bfe_u32 v1, v21, 24, 1
	v_lshrrev_b32_e32 v5, 24, v21
	s_delay_alu instid0(VALU_DEP_2) | instskip(NEXT) | instid1(VALU_DEP_1)
	v_add_co_u32 v1, s12, v1, -1
	v_cndmask_b32_e64 v2, 0, 1, s12
	s_delay_alu instid0(VALU_DEP_3)
	v_lshlrev_b32_e32 v3, 30, v5
	v_lshlrev_b32_e32 v4, 29, v5
	;; [unrolled: 1-line block ×4, first 2 shown]
	v_cmp_ne_u32_e64 s12, 0, v2
	v_not_b32_e32 v2, v3
	v_cmp_gt_i32_e64 s13, 0, v3
	v_not_b32_e32 v3, v4
	v_lshlrev_b32_e32 v23, 26, v5
	v_xor_b32_e32 v1, s12, v1
	v_ashrrev_i32_e32 v2, 31, v2
	v_cmp_gt_i32_e64 s12, 0, v4
	v_not_b32_e32 v4, v6
	v_ashrrev_i32_e32 v3, 31, v3
	v_and_b32_e32 v1, exec_lo, v1
	v_xor_b32_e32 v2, s13, v2
	v_cmp_gt_i32_e64 s13, 0, v6
	v_not_b32_e32 v6, v7
	v_ashrrev_i32_e32 v4, 31, v4
	v_xor_b32_e32 v3, s12, v3
	v_and_b32_e32 v1, v1, v2
	v_lshlrev_b32_e32 v24, 25, v5
	v_cmp_gt_i32_e64 s12, 0, v7
	v_not_b32_e32 v2, v23
	v_ashrrev_i32_e32 v6, 31, v6
	v_xor_b32_e32 v4, s13, v4
	v_and_b32_e32 v1, v1, v3
	v_cmp_gt_i32_e64 s13, 0, v23
	v_not_b32_e32 v3, v24
	v_ashrrev_i32_e32 v2, 31, v2
	v_xor_b32_e32 v6, s12, v6
	v_and_b32_e32 v1, v1, v4
	v_not_b32_e32 v4, v21
	v_cmp_gt_i32_e64 s12, 0, v24
	v_ashrrev_i32_e32 v3, 31, v3
	v_xor_b32_e32 v2, s13, v2
	v_and_b32_e32 v1, v1, v6
	v_cmp_gt_i32_e64 s13, 0, v21
	v_ashrrev_i32_e32 v4, 31, v4
	v_xor_b32_e32 v3, s12, v3
	ds_load_b32 v23, v18
	v_and_b32_e32 v1, v1, v2
	s_waitcnt lgkmcnt(0)
	v_xor_b32_e32 v0, s13, v4
	s_barrier
	buffer_gl0_inv
	v_and_b32_e32 v3, v1, v3
	v_dual_mov_b32 v1, s22 :: v_dual_mov_b32 v2, s23
	s_delay_alu instid0(VALU_DEP_2)
	v_dual_mov_b32 v3, s16 :: v_dual_and_b32 v0, v3, v0
	v_mov_b32_e32 v4, s17
	ds_store_2addr_b64 v13, v[1:2], v[3:4] offset0:3 offset1:4
	ds_store_2addr_b64 v15, v[1:2], v[3:4] offset0:2 offset1:3
	v_mbcnt_lo_u32_b32 v22, v0, 0
	v_mad_u32_u24 v1, v5, 6, v19
	v_cmp_ne_u32_e64 s13, 0, v0
	s_waitcnt lgkmcnt(0)
	s_barrier
	v_cmp_eq_u32_e64 s12, 0, v22
	v_lshl_add_u32 v24, v1, 2, 24
	buffer_gl0_inv
	; wave barrier
	s_and_b32 s13, s13, s12
	s_delay_alu instid0(SALU_CYCLE_1)
	s_and_saveexec_b32 s12, s13
	s_cbranch_execz .LBB209_28
; %bb.27:                               ;   in Loop: Header=BB209_2 Depth=1
	v_bcnt_u32_b32 v0, v0, 0
	ds_store_b32 v24, v0
.LBB209_28:                             ;   in Loop: Header=BB209_2 Depth=1
	s_or_b32 exec_lo, exec_lo, s12
	; wave barrier
	s_waitcnt lgkmcnt(0)
	s_barrier
	buffer_gl0_inv
	ds_load_2addr_b64 v[4:7], v13 offset0:3 offset1:4
	ds_load_2addr_b64 v[0:3], v15 offset0:2 offset1:3
	s_waitcnt lgkmcnt(1)
	v_add_nc_u32_e32 v25, v5, v4
	s_delay_alu instid0(VALU_DEP_1) | instskip(SKIP_1) | instid1(VALU_DEP_1)
	v_add3_u32 v25, v25, v6, v7
	s_waitcnt lgkmcnt(0)
	v_add3_u32 v25, v25, v0, v1
	s_delay_alu instid0(VALU_DEP_1) | instskip(NEXT) | instid1(VALU_DEP_1)
	v_add3_u32 v3, v25, v2, v3
	v_mov_b32_dpp v25, v3 row_shr:1 row_mask:0xf bank_mask:0xf
	s_delay_alu instid0(VALU_DEP_1) | instskip(NEXT) | instid1(VALU_DEP_1)
	v_cndmask_b32_e64 v25, v25, 0, s0
	v_add_nc_u32_e32 v3, v25, v3
	s_delay_alu instid0(VALU_DEP_1) | instskip(NEXT) | instid1(VALU_DEP_1)
	v_mov_b32_dpp v25, v3 row_shr:2 row_mask:0xf bank_mask:0xf
	v_cndmask_b32_e64 v25, 0, v25, s1
	s_delay_alu instid0(VALU_DEP_1) | instskip(NEXT) | instid1(VALU_DEP_1)
	v_add_nc_u32_e32 v3, v3, v25
	v_mov_b32_dpp v25, v3 row_shr:4 row_mask:0xf bank_mask:0xf
	s_delay_alu instid0(VALU_DEP_1) | instskip(NEXT) | instid1(VALU_DEP_1)
	v_cndmask_b32_e64 v25, 0, v25, s2
	v_add_nc_u32_e32 v3, v3, v25
	s_delay_alu instid0(VALU_DEP_1) | instskip(NEXT) | instid1(VALU_DEP_1)
	v_mov_b32_dpp v25, v3 row_shr:8 row_mask:0xf bank_mask:0xf
	v_cndmask_b32_e64 v25, 0, v25, s3
	s_delay_alu instid0(VALU_DEP_1) | instskip(SKIP_3) | instid1(VALU_DEP_1)
	v_add_nc_u32_e32 v3, v3, v25
	ds_swizzle_b32 v25, v3 offset:swizzle(BROADCAST,32,15)
	s_waitcnt lgkmcnt(0)
	v_cndmask_b32_e64 v25, v25, 0, s4
	v_add_nc_u32_e32 v3, v3, v25
	s_and_saveexec_b32 s12, s11
	s_cbranch_execz .LBB209_30
; %bb.29:                               ;   in Loop: Header=BB209_2 Depth=1
	ds_store_b32 v14, v3
.LBB209_30:                             ;   in Loop: Header=BB209_2 Depth=1
	s_or_b32 exec_lo, exec_lo, s12
	s_waitcnt lgkmcnt(0)
	s_barrier
	buffer_gl0_inv
	s_and_saveexec_b32 s12, s5
	s_cbranch_execz .LBB209_32
; %bb.31:                               ;   in Loop: Header=BB209_2 Depth=1
	ds_load_b32 v25, v20
	s_waitcnt lgkmcnt(0)
	v_mov_b32_dpp v26, v25 row_shr:1 row_mask:0xf bank_mask:0xf
	s_delay_alu instid0(VALU_DEP_1) | instskip(NEXT) | instid1(VALU_DEP_1)
	v_cndmask_b32_e64 v26, v26, 0, s8
	v_add_nc_u32_e32 v25, v26, v25
	s_delay_alu instid0(VALU_DEP_1) | instskip(NEXT) | instid1(VALU_DEP_1)
	v_mov_b32_dpp v26, v25 row_shr:2 row_mask:0xf bank_mask:0xf
	v_cndmask_b32_e64 v26, 0, v26, s9
	s_delay_alu instid0(VALU_DEP_1) | instskip(NEXT) | instid1(VALU_DEP_1)
	v_add_nc_u32_e32 v25, v25, v26
	v_mov_b32_dpp v26, v25 row_shr:4 row_mask:0xf bank_mask:0xf
	s_delay_alu instid0(VALU_DEP_1) | instskip(NEXT) | instid1(VALU_DEP_1)
	v_cndmask_b32_e64 v26, 0, v26, s10
	v_add_nc_u32_e32 v25, v25, v26
	ds_store_b32 v20, v25
.LBB209_32:                             ;   in Loop: Header=BB209_2 Depth=1
	s_or_b32 exec_lo, exec_lo, s12
	v_mov_b32_e32 v25, 0
	s_waitcnt lgkmcnt(0)
	s_barrier
	buffer_gl0_inv
	s_and_saveexec_b32 s12, s6
	s_cbranch_execz .LBB209_1
; %bb.33:                               ;   in Loop: Header=BB209_2 Depth=1
	ds_load_b32 v25, v17
	s_branch .LBB209_1
.LBB209_34:
	s_waitcnt lgkmcnt(0)
	v_add3_u32 v0, v21, v22, 0x80000000
	v_lshlrev_b32_e32 v1, 2, v8
	s_add_u32 s0, s18, s20
	s_addc_u32 s1, s19, s21
	global_store_b32 v1, v0, s[0:1]
	s_nop 0
	s_sendmsg sendmsg(MSG_DEALLOC_VGPRS)
	s_endpgm
	.section	.rodata,"a",@progbits
	.p2align	6, 0x0
	.amdhsa_kernel _Z17sort_pairs_kernelI22helper_blocked_stripediLj192ELj1ELj10EEvPKT0_PS1_
		.amdhsa_group_segment_fixed_size 6176
		.amdhsa_private_segment_fixed_size 0
		.amdhsa_kernarg_size 272
		.amdhsa_user_sgpr_count 15
		.amdhsa_user_sgpr_dispatch_ptr 0
		.amdhsa_user_sgpr_queue_ptr 0
		.amdhsa_user_sgpr_kernarg_segment_ptr 1
		.amdhsa_user_sgpr_dispatch_id 0
		.amdhsa_user_sgpr_private_segment_size 0
		.amdhsa_wavefront_size32 1
		.amdhsa_uses_dynamic_stack 0
		.amdhsa_enable_private_segment 0
		.amdhsa_system_sgpr_workgroup_id_x 1
		.amdhsa_system_sgpr_workgroup_id_y 0
		.amdhsa_system_sgpr_workgroup_id_z 0
		.amdhsa_system_sgpr_workgroup_info 0
		.amdhsa_system_vgpr_workitem_id 2
		.amdhsa_next_free_vgpr 27
		.amdhsa_next_free_sgpr 24
		.amdhsa_reserve_vcc 1
		.amdhsa_float_round_mode_32 0
		.amdhsa_float_round_mode_16_64 0
		.amdhsa_float_denorm_mode_32 3
		.amdhsa_float_denorm_mode_16_64 3
		.amdhsa_dx10_clamp 1
		.amdhsa_ieee_mode 1
		.amdhsa_fp16_overflow 0
		.amdhsa_workgroup_processor_mode 1
		.amdhsa_memory_ordered 1
		.amdhsa_forward_progress 0
		.amdhsa_shared_vgpr_count 0
		.amdhsa_exception_fp_ieee_invalid_op 0
		.amdhsa_exception_fp_denorm_src 0
		.amdhsa_exception_fp_ieee_div_zero 0
		.amdhsa_exception_fp_ieee_overflow 0
		.amdhsa_exception_fp_ieee_underflow 0
		.amdhsa_exception_fp_ieee_inexact 0
		.amdhsa_exception_int_div_zero 0
	.end_amdhsa_kernel
	.section	.text._Z17sort_pairs_kernelI22helper_blocked_stripediLj192ELj1ELj10EEvPKT0_PS1_,"axG",@progbits,_Z17sort_pairs_kernelI22helper_blocked_stripediLj192ELj1ELj10EEvPKT0_PS1_,comdat
.Lfunc_end209:
	.size	_Z17sort_pairs_kernelI22helper_blocked_stripediLj192ELj1ELj10EEvPKT0_PS1_, .Lfunc_end209-_Z17sort_pairs_kernelI22helper_blocked_stripediLj192ELj1ELj10EEvPKT0_PS1_
                                        ; -- End function
	.section	.AMDGPU.csdata,"",@progbits
; Kernel info:
; codeLenInByte = 4452
; NumSgprs: 26
; NumVgprs: 27
; ScratchSize: 0
; MemoryBound: 0
; FloatMode: 240
; IeeeMode: 1
; LDSByteSize: 6176 bytes/workgroup (compile time only)
; SGPRBlocks: 3
; VGPRBlocks: 3
; NumSGPRsForWavesPerEU: 26
; NumVGPRsForWavesPerEU: 27
; Occupancy: 15
; WaveLimiterHint : 0
; COMPUTE_PGM_RSRC2:SCRATCH_EN: 0
; COMPUTE_PGM_RSRC2:USER_SGPR: 15
; COMPUTE_PGM_RSRC2:TRAP_HANDLER: 0
; COMPUTE_PGM_RSRC2:TGID_X_EN: 1
; COMPUTE_PGM_RSRC2:TGID_Y_EN: 0
; COMPUTE_PGM_RSRC2:TGID_Z_EN: 0
; COMPUTE_PGM_RSRC2:TIDIG_COMP_CNT: 2
	.section	.text._Z16sort_keys_kernelI22helper_blocked_stripediLj192ELj3ELj10EEvPKT0_PS1_,"axG",@progbits,_Z16sort_keys_kernelI22helper_blocked_stripediLj192ELj3ELj10EEvPKT0_PS1_,comdat
	.protected	_Z16sort_keys_kernelI22helper_blocked_stripediLj192ELj3ELj10EEvPKT0_PS1_ ; -- Begin function _Z16sort_keys_kernelI22helper_blocked_stripediLj192ELj3ELj10EEvPKT0_PS1_
	.globl	_Z16sort_keys_kernelI22helper_blocked_stripediLj192ELj3ELj10EEvPKT0_PS1_
	.p2align	8
	.type	_Z16sort_keys_kernelI22helper_blocked_stripediLj192ELj3ELj10EEvPKT0_PS1_,@function
_Z16sort_keys_kernelI22helper_blocked_stripediLj192ELj3ELj10EEvPKT0_PS1_: ; @_Z16sort_keys_kernelI22helper_blocked_stripediLj192ELj3ELj10EEvPKT0_PS1_
; %bb.0:
	s_clause 0x1
	s_load_b128 s[16:19], s[0:1], 0x0
	s_load_b32 s2, s[0:1], 0x1c
	s_mul_i32 s20, s15, 0x240
	s_mov_b32 s21, 0
	v_bfe_u32 v4, v0, 10, 10
	s_lshl_b64 s[14:15], s[20:21], 2
	s_mov_b32 s20, s21
	v_and_b32_e32 v8, 0x3ff, v0
	v_bfe_u32 v0, v0, 20, 10
	v_mbcnt_lo_u32_b32 v9, -1, 0
	s_delay_alu instid0(VALU_DEP_3) | instskip(SKIP_1) | instid1(VALU_DEP_3)
	v_mul_u32_u24_e32 v1, 3, v8
	v_lshrrev_b32_e32 v6, 5, v8
	v_cmp_eq_u32_e64 s8, 0, v9
	s_delay_alu instid0(VALU_DEP_3) | instskip(NEXT) | instid1(VALU_DEP_3)
	v_lshlrev_b32_e32 v1, 2, v1
	v_mul_u32_u24_e32 v7, 0x60, v6
	v_lshlrev_b32_e32 v19, 2, v6
	s_waitcnt lgkmcnt(0)
	s_add_u32 s0, s16, s14
	s_addc_u32 s1, s17, s15
	s_mov_b32 s16, s21
	global_load_b96 v[1:3], v1, s[0:1]
	s_lshr_b32 s0, s2, 16
	s_mov_b32 s17, s21
	v_mad_u32_u24 v0, v0, s0, v4
	s_and_b32 s0, s2, 0xffff
	v_dual_mov_b32 v11, s16 :: v_dual_lshlrev_b32 v10, 2, v7
	v_add_nc_u32_e32 v20, -4, v19
	s_delay_alu instid0(VALU_DEP_3) | instskip(SKIP_1) | instid1(VALU_DEP_4)
	v_mad_u64_u32 v[4:5], null, v0, s0, v[8:9]
	v_or_b32_e32 v0, v9, v7
	v_mad_u32_u24 v14, v9, 12, v10
	v_and_b32_e32 v5, 15, v9
	v_and_b32_e32 v10, 16, v9
	s_delay_alu instid0(VALU_DEP_4)
	v_dual_mov_b32 v12, s17 :: v_dual_lshlrev_b32 v15, 2, v0
	v_lshrrev_b32_e32 v17, 5, v4
	v_add_nc_u32_e32 v4, -1, v9
	v_cmp_eq_u32_e64 s0, 0, v5
	v_cmp_lt_u32_e64 s1, 1, v5
	v_cmp_lt_u32_e64 s2, 3, v5
	;; [unrolled: 1-line block ×3, first 2 shown]
	v_cmp_gt_i32_e32 vcc_lo, 0, v4
	v_and_b32_e32 v7, 0xe0, v8
	v_cmp_eq_u32_e64 s4, 0, v10
	v_cndmask_b32_e32 v4, v4, v9, vcc_lo
	s_delay_alu instid0(VALU_DEP_3) | instskip(NEXT) | instid1(VALU_DEP_2)
	v_min_u32_e32 v0, 0xa0, v7
	v_lshlrev_b32_e32 v18, 2, v4
	s_delay_alu instid0(VALU_DEP_2) | instskip(SKIP_1) | instid1(VALU_DEP_2)
	v_or_b32_e32 v0, 31, v0
	v_and_b32_e32 v4, 7, v9
	v_cmp_eq_u32_e64 s5, v0, v8
	v_mul_u32_u24_e32 v0, 3, v7
	s_delay_alu instid0(VALU_DEP_3) | instskip(SKIP_2) | instid1(VALU_DEP_4)
	v_cmp_eq_u32_e64 s10, 0, v4
	v_cmp_lt_u32_e64 s11, 1, v4
	v_cmp_lt_u32_e64 s12, 3, v4
	v_or_b32_e32 v0, v9, v0
	v_mov_b32_e32 v9, s20
	v_lshlrev_b32_e32 v13, 5, v8
	v_mul_i32_i24_e32 v5, 0xffffffe4, v8
	v_cmp_gt_u32_e64 s6, 6, v8
	v_cmp_lt_u32_e64 s7, 31, v8
	v_cmp_eq_u32_e64 s9, 0, v8
	v_or_b32_e32 v16, 24, v13
	v_dual_mov_b32 v10, s21 :: v_dual_lshlrev_b32 v21, 2, v0
	v_add_nc_u32_e32 v22, v13, v5
	s_branch .LBB210_2
.LBB210_1:                              ;   in Loop: Header=BB210_2 Depth=1
	v_lshlrev_b32_e32 v0, 2, v5
	v_lshlrev_b32_e32 v1, 2, v4
	;; [unrolled: 1-line block ×3, first 2 shown]
	s_barrier
	buffer_gl0_inv
	ds_store_b32 v0, v23
	ds_store_b32 v1, v25
	;; [unrolled: 1-line block ×3, first 2 shown]
	s_waitcnt lgkmcnt(0)
	s_barrier
	buffer_gl0_inv
	ds_load_2addr_stride64_b32 v[1:2], v22 offset1:3
	ds_load_b32 v0, v22 offset:1536
	s_add_i32 s21, s21, 1
	s_delay_alu instid0(SALU_CYCLE_1)
	s_cmp_eq_u32 s21, 10
	s_waitcnt lgkmcnt(1)
	v_xor_b32_e32 v1, 0x80000000, v1
	v_xor_b32_e32 v2, 0x80000000, v2
	s_waitcnt lgkmcnt(0)
	v_xor_b32_e32 v3, 0x80000000, v0
	s_cbranch_scc1 .LBB210_18
.LBB210_2:                              ; =>This Loop Header: Depth=1
                                        ;     Child Loop BB210_4 Depth 2
	s_waitcnt vmcnt(0)
	v_xor_b32_e32 v0, 0x80000000, v1
	v_xor_b32_e32 v1, 0x80000000, v2
	;; [unrolled: 1-line block ×3, first 2 shown]
	s_mov_b32 s16, 0
	ds_store_2addr_b32 v14, v0, v1 offset1:1
	ds_store_b32 v14, v2 offset:8
	; wave barrier
	ds_load_2addr_b32 v[0:1], v15 offset1:32
	ds_load_b32 v2, v15 offset:256
	s_waitcnt lgkmcnt(0)
	s_barrier
	buffer_gl0_inv
	; wave barrier
	s_barrier
	s_branch .LBB210_4
.LBB210_3:                              ;   in Loop: Header=BB210_4 Depth=2
	v_lshlrev_b32_e32 v0, 2, v5
	v_lshlrev_b32_e32 v1, 2, v4
	s_delay_alu instid0(VALU_DEP_3)
	v_lshlrev_b32_e32 v2, 2, v3
	s_barrier
	buffer_gl0_inv
	ds_store_b32 v0, v23
	ds_store_b32 v1, v25
	;; [unrolled: 1-line block ×3, first 2 shown]
	s_waitcnt lgkmcnt(0)
	s_barrier
	buffer_gl0_inv
	ds_load_2addr_b32 v[0:1], v21 offset1:32
	ds_load_b32 v2, v21 offset:256
	s_add_i32 s16, s16, 8
	s_waitcnt lgkmcnt(0)
	s_barrier
	s_cbranch_execz .LBB210_1
.LBB210_4:                              ;   Parent Loop BB210_2 Depth=1
                                        ; =>  This Inner Loop Header: Depth=2
	v_mov_b32_e32 v23, v0
	buffer_gl0_inv
	ds_store_2addr_b64 v13, v[9:10], v[11:12] offset0:3 offset1:4
	ds_store_2addr_b64 v16, v[9:10], v[11:12] offset0:2 offset1:3
	s_waitcnt lgkmcnt(0)
	s_barrier
	v_lshrrev_b32_e32 v3, s16, v23
	buffer_gl0_inv
	; wave barrier
	v_lshlrev_b32_e32 v6, 29, v3
	v_bfe_u32 v0, v23, s16, 1
	v_lshlrev_b32_e32 v5, 30, v3
	v_lshlrev_b32_e32 v7, 28, v3
	;; [unrolled: 1-line block ×4, first 2 shown]
	v_add_co_u32 v0, s13, v0, -1
	s_delay_alu instid0(VALU_DEP_1) | instskip(SKIP_3) | instid1(VALU_DEP_4)
	v_cndmask_b32_e64 v4, 0, 1, s13
	v_cmp_gt_i32_e64 s13, 0, v5
	v_lshlrev_b32_e32 v26, 25, v3
	v_lshlrev_b32_e32 v3, 24, v3
	v_cmp_ne_u32_e32 vcc_lo, 0, v4
	v_not_b32_e32 v4, v5
	v_not_b32_e32 v5, v6
	v_xor_b32_e32 v0, vcc_lo, v0
	s_delay_alu instid0(VALU_DEP_3)
	v_ashrrev_i32_e32 v4, 31, v4
	v_cmp_gt_i32_e32 vcc_lo, 0, v6
	v_not_b32_e32 v6, v7
	v_ashrrev_i32_e32 v5, 31, v5
	v_and_b32_e32 v0, exec_lo, v0
	v_xor_b32_e32 v4, s13, v4
	v_cmp_gt_i32_e64 s13, 0, v7
	v_ashrrev_i32_e32 v6, 31, v6
	v_xor_b32_e32 v5, vcc_lo, v5
	s_delay_alu instid0(VALU_DEP_4) | instskip(SKIP_1) | instid1(VALU_DEP_4)
	v_and_b32_e32 v0, v0, v4
	v_not_b32_e32 v4, v25
	v_xor_b32_e32 v6, s13, v6
	v_cmp_gt_i32_e64 s13, 0, v25
	v_mov_b32_e32 v25, v1
	v_not_b32_e32 v7, v24
	v_cmp_gt_i32_e32 vcc_lo, 0, v24
	v_and_b32_e32 v0, v0, v5
	v_not_b32_e32 v5, v26
	v_ashrrev_i32_e32 v4, 31, v4
	v_ashrrev_i32_e32 v7, 31, v7
	v_bfe_u32 v1, v23, s16, 8
	v_and_b32_e32 v0, v0, v6
	v_not_b32_e32 v6, v3
	v_ashrrev_i32_e32 v5, 31, v5
	v_xor_b32_e32 v7, vcc_lo, v7
	v_cmp_gt_i32_e32 vcc_lo, 0, v26
	v_xor_b32_e32 v4, s13, v4
	v_cmp_gt_i32_e64 s13, 0, v3
	v_ashrrev_i32_e32 v3, 31, v6
	v_and_b32_e32 v0, v0, v7
	v_xor_b32_e32 v5, vcc_lo, v5
	v_mad_u32_u24 v1, v1, 6, v17
	v_mov_b32_e32 v24, v2
	v_xor_b32_e32 v3, s13, v3
	v_and_b32_e32 v0, v0, v4
	s_delay_alu instid0(VALU_DEP_4) | instskip(NEXT) | instid1(VALU_DEP_2)
	v_lshl_add_u32 v27, v1, 2, 24
	v_and_b32_e32 v0, v0, v5
	s_delay_alu instid0(VALU_DEP_1) | instskip(NEXT) | instid1(VALU_DEP_1)
	v_and_b32_e32 v0, v0, v3
	v_mbcnt_lo_u32_b32 v26, v0, 0
	v_cmp_ne_u32_e64 s13, 0, v0
	s_delay_alu instid0(VALU_DEP_2) | instskip(NEXT) | instid1(VALU_DEP_2)
	v_cmp_eq_u32_e32 vcc_lo, 0, v26
	s_and_b32 s17, s13, vcc_lo
	s_delay_alu instid0(SALU_CYCLE_1)
	s_and_saveexec_b32 s13, s17
	s_cbranch_execz .LBB210_6
; %bb.5:                                ;   in Loop: Header=BB210_4 Depth=2
	v_bcnt_u32_b32 v0, v0, 0
	ds_store_b32 v27, v0
.LBB210_6:                              ;   in Loop: Header=BB210_4 Depth=2
	s_or_b32 exec_lo, exec_lo, s13
	v_bfe_u32 v0, v25, s16, 1
	v_lshrrev_b32_e32 v1, s16, v25
	; wave barrier
	s_delay_alu instid0(VALU_DEP_2) | instskip(NEXT) | instid1(VALU_DEP_1)
	v_add_co_u32 v0, s13, v0, -1
	v_cndmask_b32_e64 v2, 0, 1, s13
	s_delay_alu instid0(VALU_DEP_3)
	v_lshlrev_b32_e32 v3, 30, v1
	v_lshlrev_b32_e32 v4, 29, v1
	;; [unrolled: 1-line block ×4, first 2 shown]
	v_cmp_ne_u32_e32 vcc_lo, 0, v2
	v_not_b32_e32 v2, v3
	v_cmp_gt_i32_e64 s13, 0, v3
	v_not_b32_e32 v3, v4
	v_lshlrev_b32_e32 v7, 26, v1
	v_xor_b32_e32 v0, vcc_lo, v0
	v_ashrrev_i32_e32 v2, 31, v2
	v_cmp_gt_i32_e32 vcc_lo, 0, v4
	v_not_b32_e32 v4, v5
	v_ashrrev_i32_e32 v3, 31, v3
	v_and_b32_e32 v0, exec_lo, v0
	v_xor_b32_e32 v2, s13, v2
	v_cmp_gt_i32_e64 s13, 0, v5
	v_not_b32_e32 v5, v6
	v_ashrrev_i32_e32 v4, 31, v4
	v_xor_b32_e32 v3, vcc_lo, v3
	v_and_b32_e32 v0, v0, v2
	v_cmp_gt_i32_e32 vcc_lo, 0, v6
	v_not_b32_e32 v2, v7
	v_ashrrev_i32_e32 v5, 31, v5
	v_xor_b32_e32 v4, s13, v4
	v_and_b32_e32 v0, v0, v3
	v_lshlrev_b32_e32 v3, 25, v1
	v_cmp_gt_i32_e64 s13, 0, v7
	v_ashrrev_i32_e32 v2, 31, v2
	v_xor_b32_e32 v5, vcc_lo, v5
	v_and_b32_e32 v0, v0, v4
	v_not_b32_e32 v6, v3
	v_lshlrev_b32_e32 v1, 24, v1
	v_bfe_u32 v4, v25, s16, 8
	v_xor_b32_e32 v2, s13, v2
	v_and_b32_e32 v0, v0, v5
	v_cmp_gt_i32_e32 vcc_lo, 0, v3
	v_ashrrev_i32_e32 v3, 31, v6
	v_not_b32_e32 v5, v1
	v_mul_u32_u24_e32 v4, 6, v4
	v_and_b32_e32 v0, v0, v2
	s_delay_alu instid0(VALU_DEP_4) | instskip(SKIP_3) | instid1(VALU_DEP_4)
	v_xor_b32_e32 v2, vcc_lo, v3
	v_cmp_gt_i32_e32 vcc_lo, 0, v1
	v_ashrrev_i32_e32 v1, 31, v5
	v_add_lshl_u32 v3, v4, v17, 2
	v_and_b32_e32 v0, v0, v2
	s_delay_alu instid0(VALU_DEP_3) | instskip(SKIP_3) | instid1(VALU_DEP_1)
	v_xor_b32_e32 v1, vcc_lo, v1
	ds_load_b32 v28, v3 offset:24
	v_add_nc_u32_e32 v30, 24, v3
	; wave barrier
	v_and_b32_e32 v0, v0, v1
	v_mbcnt_lo_u32_b32 v29, v0, 0
	v_cmp_ne_u32_e64 s13, 0, v0
	s_delay_alu instid0(VALU_DEP_2) | instskip(NEXT) | instid1(VALU_DEP_2)
	v_cmp_eq_u32_e32 vcc_lo, 0, v29
	s_and_b32 s17, s13, vcc_lo
	s_delay_alu instid0(SALU_CYCLE_1)
	s_and_saveexec_b32 s13, s17
	s_cbranch_execz .LBB210_8
; %bb.7:                                ;   in Loop: Header=BB210_4 Depth=2
	s_waitcnt lgkmcnt(0)
	v_bcnt_u32_b32 v0, v0, v28
	ds_store_b32 v30, v0
.LBB210_8:                              ;   in Loop: Header=BB210_4 Depth=2
	s_or_b32 exec_lo, exec_lo, s13
	v_bfe_u32 v0, v24, s16, 1
	v_lshrrev_b32_e32 v1, s16, v24
	; wave barrier
	s_delay_alu instid0(VALU_DEP_2) | instskip(NEXT) | instid1(VALU_DEP_1)
	v_add_co_u32 v0, s13, v0, -1
	v_cndmask_b32_e64 v2, 0, 1, s13
	s_delay_alu instid0(VALU_DEP_3)
	v_lshlrev_b32_e32 v3, 30, v1
	v_lshlrev_b32_e32 v4, 29, v1
	;; [unrolled: 1-line block ×4, first 2 shown]
	v_cmp_ne_u32_e32 vcc_lo, 0, v2
	v_not_b32_e32 v2, v3
	v_cmp_gt_i32_e64 s13, 0, v3
	v_not_b32_e32 v3, v4
	v_lshlrev_b32_e32 v7, 26, v1
	v_xor_b32_e32 v0, vcc_lo, v0
	v_ashrrev_i32_e32 v2, 31, v2
	v_cmp_gt_i32_e32 vcc_lo, 0, v4
	v_not_b32_e32 v4, v5
	v_ashrrev_i32_e32 v3, 31, v3
	v_and_b32_e32 v0, exec_lo, v0
	v_xor_b32_e32 v2, s13, v2
	v_cmp_gt_i32_e64 s13, 0, v5
	v_not_b32_e32 v5, v6
	v_ashrrev_i32_e32 v4, 31, v4
	v_xor_b32_e32 v3, vcc_lo, v3
	v_and_b32_e32 v0, v0, v2
	v_cmp_gt_i32_e32 vcc_lo, 0, v6
	v_not_b32_e32 v2, v7
	v_ashrrev_i32_e32 v5, 31, v5
	v_xor_b32_e32 v4, s13, v4
	v_and_b32_e32 v0, v0, v3
	v_lshlrev_b32_e32 v3, 25, v1
	v_cmp_gt_i32_e64 s13, 0, v7
	v_ashrrev_i32_e32 v2, 31, v2
	v_xor_b32_e32 v5, vcc_lo, v5
	v_and_b32_e32 v0, v0, v4
	v_not_b32_e32 v6, v3
	v_lshlrev_b32_e32 v1, 24, v1
	v_bfe_u32 v4, v24, s16, 8
	v_xor_b32_e32 v2, s13, v2
	v_and_b32_e32 v0, v0, v5
	v_cmp_gt_i32_e32 vcc_lo, 0, v3
	v_ashrrev_i32_e32 v3, 31, v6
	v_not_b32_e32 v5, v1
	v_mul_u32_u24_e32 v4, 6, v4
	v_and_b32_e32 v0, v0, v2
	s_delay_alu instid0(VALU_DEP_4) | instskip(SKIP_3) | instid1(VALU_DEP_4)
	v_xor_b32_e32 v2, vcc_lo, v3
	v_cmp_gt_i32_e32 vcc_lo, 0, v1
	v_ashrrev_i32_e32 v1, 31, v5
	v_add_lshl_u32 v3, v4, v17, 2
	v_and_b32_e32 v0, v0, v2
	s_delay_alu instid0(VALU_DEP_3) | instskip(SKIP_3) | instid1(VALU_DEP_1)
	v_xor_b32_e32 v1, vcc_lo, v1
	ds_load_b32 v31, v3 offset:24
	v_add_nc_u32_e32 v33, 24, v3
	; wave barrier
	v_and_b32_e32 v0, v0, v1
	v_mbcnt_lo_u32_b32 v32, v0, 0
	v_cmp_ne_u32_e64 s13, 0, v0
	s_delay_alu instid0(VALU_DEP_2) | instskip(NEXT) | instid1(VALU_DEP_2)
	v_cmp_eq_u32_e32 vcc_lo, 0, v32
	s_and_b32 s17, s13, vcc_lo
	s_delay_alu instid0(SALU_CYCLE_1)
	s_and_saveexec_b32 s13, s17
	s_cbranch_execz .LBB210_10
; %bb.9:                                ;   in Loop: Header=BB210_4 Depth=2
	s_waitcnt lgkmcnt(0)
	v_bcnt_u32_b32 v0, v0, v31
	ds_store_b32 v33, v0
.LBB210_10:                             ;   in Loop: Header=BB210_4 Depth=2
	s_or_b32 exec_lo, exec_lo, s13
	; wave barrier
	s_waitcnt lgkmcnt(0)
	s_barrier
	buffer_gl0_inv
	ds_load_2addr_b64 v[4:7], v13 offset0:3 offset1:4
	ds_load_2addr_b64 v[0:3], v16 offset0:2 offset1:3
	s_waitcnt lgkmcnt(1)
	v_add_nc_u32_e32 v34, v5, v4
	s_delay_alu instid0(VALU_DEP_1) | instskip(SKIP_1) | instid1(VALU_DEP_1)
	v_add3_u32 v34, v34, v6, v7
	s_waitcnt lgkmcnt(0)
	v_add3_u32 v34, v34, v0, v1
	s_delay_alu instid0(VALU_DEP_1) | instskip(NEXT) | instid1(VALU_DEP_1)
	v_add3_u32 v3, v34, v2, v3
	v_mov_b32_dpp v34, v3 row_shr:1 row_mask:0xf bank_mask:0xf
	s_delay_alu instid0(VALU_DEP_1) | instskip(NEXT) | instid1(VALU_DEP_1)
	v_cndmask_b32_e64 v34, v34, 0, s0
	v_add_nc_u32_e32 v3, v34, v3
	s_delay_alu instid0(VALU_DEP_1) | instskip(NEXT) | instid1(VALU_DEP_1)
	v_mov_b32_dpp v34, v3 row_shr:2 row_mask:0xf bank_mask:0xf
	v_cndmask_b32_e64 v34, 0, v34, s1
	s_delay_alu instid0(VALU_DEP_1) | instskip(NEXT) | instid1(VALU_DEP_1)
	v_add_nc_u32_e32 v3, v3, v34
	v_mov_b32_dpp v34, v3 row_shr:4 row_mask:0xf bank_mask:0xf
	s_delay_alu instid0(VALU_DEP_1) | instskip(NEXT) | instid1(VALU_DEP_1)
	v_cndmask_b32_e64 v34, 0, v34, s2
	v_add_nc_u32_e32 v3, v3, v34
	s_delay_alu instid0(VALU_DEP_1) | instskip(NEXT) | instid1(VALU_DEP_1)
	v_mov_b32_dpp v34, v3 row_shr:8 row_mask:0xf bank_mask:0xf
	v_cndmask_b32_e64 v34, 0, v34, s3
	s_delay_alu instid0(VALU_DEP_1) | instskip(SKIP_3) | instid1(VALU_DEP_1)
	v_add_nc_u32_e32 v3, v3, v34
	ds_swizzle_b32 v34, v3 offset:swizzle(BROADCAST,32,15)
	s_waitcnt lgkmcnt(0)
	v_cndmask_b32_e64 v34, v34, 0, s4
	v_add_nc_u32_e32 v3, v3, v34
	s_and_saveexec_b32 s13, s5
	s_cbranch_execz .LBB210_12
; %bb.11:                               ;   in Loop: Header=BB210_4 Depth=2
	ds_store_b32 v19, v3
.LBB210_12:                             ;   in Loop: Header=BB210_4 Depth=2
	s_or_b32 exec_lo, exec_lo, s13
	s_waitcnt lgkmcnt(0)
	s_barrier
	buffer_gl0_inv
	s_and_saveexec_b32 s13, s6
	s_cbranch_execz .LBB210_14
; %bb.13:                               ;   in Loop: Header=BB210_4 Depth=2
	ds_load_b32 v34, v22
	s_waitcnt lgkmcnt(0)
	v_mov_b32_dpp v35, v34 row_shr:1 row_mask:0xf bank_mask:0xf
	s_delay_alu instid0(VALU_DEP_1) | instskip(NEXT) | instid1(VALU_DEP_1)
	v_cndmask_b32_e64 v35, v35, 0, s10
	v_add_nc_u32_e32 v34, v35, v34
	s_delay_alu instid0(VALU_DEP_1) | instskip(NEXT) | instid1(VALU_DEP_1)
	v_mov_b32_dpp v35, v34 row_shr:2 row_mask:0xf bank_mask:0xf
	v_cndmask_b32_e64 v35, 0, v35, s11
	s_delay_alu instid0(VALU_DEP_1) | instskip(NEXT) | instid1(VALU_DEP_1)
	v_add_nc_u32_e32 v34, v34, v35
	v_mov_b32_dpp v35, v34 row_shr:4 row_mask:0xf bank_mask:0xf
	s_delay_alu instid0(VALU_DEP_1) | instskip(NEXT) | instid1(VALU_DEP_1)
	v_cndmask_b32_e64 v35, 0, v35, s12
	v_add_nc_u32_e32 v34, v34, v35
	ds_store_b32 v22, v34
.LBB210_14:                             ;   in Loop: Header=BB210_4 Depth=2
	s_or_b32 exec_lo, exec_lo, s13
	v_mov_b32_e32 v34, 0
	s_waitcnt lgkmcnt(0)
	s_barrier
	buffer_gl0_inv
	s_and_saveexec_b32 s13, s7
	s_cbranch_execz .LBB210_16
; %bb.15:                               ;   in Loop: Header=BB210_4 Depth=2
	ds_load_b32 v34, v20
.LBB210_16:                             ;   in Loop: Header=BB210_4 Depth=2
	s_or_b32 exec_lo, exec_lo, s13
	s_waitcnt lgkmcnt(0)
	v_add_nc_u32_e32 v3, v34, v3
	s_cmp_gt_u32 s16, 23
	ds_bpermute_b32 v3, v18, v3
	s_waitcnt lgkmcnt(0)
	v_cndmask_b32_e64 v3, v3, v34, s8
	s_delay_alu instid0(VALU_DEP_1) | instskip(NEXT) | instid1(VALU_DEP_1)
	v_cndmask_b32_e64 v3, v3, 0, s9
	v_add_nc_u32_e32 v4, v3, v4
	s_delay_alu instid0(VALU_DEP_1) | instskip(NEXT) | instid1(VALU_DEP_1)
	v_add_nc_u32_e32 v5, v4, v5
	v_add_nc_u32_e32 v6, v5, v6
	s_delay_alu instid0(VALU_DEP_1) | instskip(NEXT) | instid1(VALU_DEP_1)
	v_add_nc_u32_e32 v34, v6, v7
	;; [unrolled: 3-line block ×3, first 2 shown]
	v_add_nc_u32_e32 v1, v0, v2
	ds_store_2addr_b64 v13, v[3:4], v[5:6] offset0:3 offset1:4
	ds_store_2addr_b64 v16, v[34:35], v[0:1] offset0:2 offset1:3
	s_waitcnt lgkmcnt(0)
	s_barrier
	buffer_gl0_inv
	ds_load_b32 v0, v27
	ds_load_b32 v1, v30
	;; [unrolled: 1-line block ×3, first 2 shown]
	s_waitcnt lgkmcnt(2)
	v_add_nc_u32_e32 v5, v0, v26
	s_waitcnt lgkmcnt(1)
	v_add3_u32 v4, v29, v28, v1
	s_waitcnt lgkmcnt(0)
	v_add3_u32 v3, v32, v31, v2
	s_cbranch_scc0 .LBB210_3
; %bb.17:                               ;   in Loop: Header=BB210_2 Depth=1
                                        ; implicit-def: $vgpr2
                                        ; implicit-def: $vgpr1
                                        ; implicit-def: $sgpr16
	s_branch .LBB210_1
.LBB210_18:
	v_lshlrev_b32_e32 v0, 2, v8
	s_add_u32 s0, s18, s14
	s_addc_u32 s1, s19, s15
	s_clause 0x2
	global_store_b32 v0, v1, s[0:1]
	global_store_b32 v0, v2, s[0:1] offset:768
	global_store_b32 v0, v3, s[0:1] offset:1536
	s_nop 0
	s_sendmsg sendmsg(MSG_DEALLOC_VGPRS)
	s_endpgm
	.section	.rodata,"a",@progbits
	.p2align	6, 0x0
	.amdhsa_kernel _Z16sort_keys_kernelI22helper_blocked_stripediLj192ELj3ELj10EEvPKT0_PS1_
		.amdhsa_group_segment_fixed_size 6176
		.amdhsa_private_segment_fixed_size 0
		.amdhsa_kernarg_size 272
		.amdhsa_user_sgpr_count 15
		.amdhsa_user_sgpr_dispatch_ptr 0
		.amdhsa_user_sgpr_queue_ptr 0
		.amdhsa_user_sgpr_kernarg_segment_ptr 1
		.amdhsa_user_sgpr_dispatch_id 0
		.amdhsa_user_sgpr_private_segment_size 0
		.amdhsa_wavefront_size32 1
		.amdhsa_uses_dynamic_stack 0
		.amdhsa_enable_private_segment 0
		.amdhsa_system_sgpr_workgroup_id_x 1
		.amdhsa_system_sgpr_workgroup_id_y 0
		.amdhsa_system_sgpr_workgroup_id_z 0
		.amdhsa_system_sgpr_workgroup_info 0
		.amdhsa_system_vgpr_workitem_id 2
		.amdhsa_next_free_vgpr 36
		.amdhsa_next_free_sgpr 22
		.amdhsa_reserve_vcc 1
		.amdhsa_float_round_mode_32 0
		.amdhsa_float_round_mode_16_64 0
		.amdhsa_float_denorm_mode_32 3
		.amdhsa_float_denorm_mode_16_64 3
		.amdhsa_dx10_clamp 1
		.amdhsa_ieee_mode 1
		.amdhsa_fp16_overflow 0
		.amdhsa_workgroup_processor_mode 1
		.amdhsa_memory_ordered 1
		.amdhsa_forward_progress 0
		.amdhsa_shared_vgpr_count 0
		.amdhsa_exception_fp_ieee_invalid_op 0
		.amdhsa_exception_fp_denorm_src 0
		.amdhsa_exception_fp_ieee_div_zero 0
		.amdhsa_exception_fp_ieee_overflow 0
		.amdhsa_exception_fp_ieee_underflow 0
		.amdhsa_exception_fp_ieee_inexact 0
		.amdhsa_exception_int_div_zero 0
	.end_amdhsa_kernel
	.section	.text._Z16sort_keys_kernelI22helper_blocked_stripediLj192ELj3ELj10EEvPKT0_PS1_,"axG",@progbits,_Z16sort_keys_kernelI22helper_blocked_stripediLj192ELj3ELj10EEvPKT0_PS1_,comdat
.Lfunc_end210:
	.size	_Z16sort_keys_kernelI22helper_blocked_stripediLj192ELj3ELj10EEvPKT0_PS1_, .Lfunc_end210-_Z16sort_keys_kernelI22helper_blocked_stripediLj192ELj3ELj10EEvPKT0_PS1_
                                        ; -- End function
	.section	.AMDGPU.csdata,"",@progbits
; Kernel info:
; codeLenInByte = 2392
; NumSgprs: 24
; NumVgprs: 36
; ScratchSize: 0
; MemoryBound: 0
; FloatMode: 240
; IeeeMode: 1
; LDSByteSize: 6176 bytes/workgroup (compile time only)
; SGPRBlocks: 2
; VGPRBlocks: 4
; NumSGPRsForWavesPerEU: 24
; NumVGPRsForWavesPerEU: 36
; Occupancy: 15
; WaveLimiterHint : 1
; COMPUTE_PGM_RSRC2:SCRATCH_EN: 0
; COMPUTE_PGM_RSRC2:USER_SGPR: 15
; COMPUTE_PGM_RSRC2:TRAP_HANDLER: 0
; COMPUTE_PGM_RSRC2:TGID_X_EN: 1
; COMPUTE_PGM_RSRC2:TGID_Y_EN: 0
; COMPUTE_PGM_RSRC2:TGID_Z_EN: 0
; COMPUTE_PGM_RSRC2:TIDIG_COMP_CNT: 2
	.section	.text._Z17sort_pairs_kernelI22helper_blocked_stripediLj192ELj3ELj10EEvPKT0_PS1_,"axG",@progbits,_Z17sort_pairs_kernelI22helper_blocked_stripediLj192ELj3ELj10EEvPKT0_PS1_,comdat
	.protected	_Z17sort_pairs_kernelI22helper_blocked_stripediLj192ELj3ELj10EEvPKT0_PS1_ ; -- Begin function _Z17sort_pairs_kernelI22helper_blocked_stripediLj192ELj3ELj10EEvPKT0_PS1_
	.globl	_Z17sort_pairs_kernelI22helper_blocked_stripediLj192ELj3ELj10EEvPKT0_PS1_
	.p2align	8
	.type	_Z17sort_pairs_kernelI22helper_blocked_stripediLj192ELj3ELj10EEvPKT0_PS1_,@function
_Z17sort_pairs_kernelI22helper_blocked_stripediLj192ELj3ELj10EEvPKT0_PS1_: ; @_Z17sort_pairs_kernelI22helper_blocked_stripediLj192ELj3ELj10EEvPKT0_PS1_
; %bb.0:
	s_clause 0x1
	s_load_b128 s[16:19], s[0:1], 0x0
	s_load_b32 s12, s[0:1], 0x1c
	s_mov_b32 s21, 0
	s_mul_i32 s20, s15, 0x240
	v_mbcnt_lo_u32_b32 v6, -1, 0
	s_lshl_b64 s[14:15], s[20:21], 2
	s_mov_b32 s20, s21
	s_delay_alu instid0(SALU_CYCLE_1) | instskip(NEXT) | instid1(VALU_DEP_2)
	v_dual_mov_b32 v9, s20 :: v_dual_and_b32 v8, 0x3ff, v0
	v_add_nc_u32_e32 v11, -1, v6
	v_and_b32_e32 v7, 16, v6
	v_bfe_u32 v4, v0, 10, 10
	s_delay_alu instid0(VALU_DEP_4)
	v_mul_u32_u24_e32 v1, 3, v8
	v_mov_b32_e32 v10, s21
	v_lshrrev_b32_e32 v17, 5, v8
	v_cmp_gt_i32_e32 vcc_lo, 0, v11
	v_bfe_u32 v0, v0, 20, 10
	v_lshlrev_b32_e32 v1, 2, v1
	v_and_b32_e32 v12, 7, v6
	v_cmp_eq_u32_e64 s5, 0, v7
	s_waitcnt lgkmcnt(0)
	s_add_u32 s0, s16, s14
	s_addc_u32 s1, s17, s15
	s_mov_b32 s16, s21
	global_load_b96 v[1:3], v1, s[0:1]
	s_mov_b32 s17, s21
	v_and_b32_e32 v5, 15, v6
	v_cndmask_b32_e32 v7, v11, v6, vcc_lo
	v_mul_u32_u24_e32 v11, 0x60, v17
	v_lshlrev_b32_e32 v17, 2, v17
	s_lshr_b32 s13, s12, 16
	v_cmp_eq_u32_e64 s1, 0, v5
	v_cmp_lt_u32_e64 s2, 1, v5
	v_cmp_lt_u32_e64 s3, 3, v5
	v_add_nc_u32_e32 v18, -4, v17
	v_cmp_lt_u32_e64 s4, 7, v5
	v_and_b32_e32 v5, 0xe0, v8
	v_mad_u32_u24 v0, v0, s13, v4
	v_cmp_eq_u32_e64 s9, 0, v12
	v_cmp_lt_u32_e64 s10, 1, v12
	v_cmp_lt_u32_e64 s11, 3, v12
	v_min_u32_e32 v12, 0xa0, v5
	v_lshlrev_b32_e32 v16, 2, v7
	v_mul_u32_u24_e32 v7, 3, v5
	s_and_b32 s12, s12, 0xffff
	v_lshlrev_b32_e32 v19, 2, v11
	v_mad_u64_u32 v[4:5], null, v0, s12, v[8:9]
	v_or_b32_e32 v11, v6, v11
	v_lshlrev_b32_e32 v13, 5, v8
	v_or_b32_e32 v0, 31, v12
	v_or_b32_e32 v5, v6, v7
	v_cmp_eq_u32_e64 s0, 0, v6
	v_dual_mov_b32 v11, s16 :: v_dual_lshlrev_b32 v20, 2, v11
	v_cmp_gt_u32_e64 s6, 6, v8
	v_cmp_lt_u32_e64 s7, 31, v8
	v_cmp_eq_u32_e64 s8, 0, v8
	v_mul_i32_i24_e32 v14, 0xffffffe4, v8
	v_or_b32_e32 v15, 24, v13
	v_mad_u32_u24 v19, v6, 12, v19
	v_cmp_eq_u32_e64 s12, v0, v8
	v_lshlrev_b32_e32 v21, 2, v5
	v_lshrrev_b32_e32 v22, 5, v4
	v_mov_b32_e32 v12, s17
	s_waitcnt vmcnt(0)
	v_add_nc_u32_e32 v4, 1, v1
	v_add_nc_u32_e32 v5, 1, v2
	v_add_nc_u32_e32 v7, 1, v3
	s_branch .LBB211_2
.LBB211_1:                              ;   in Loop: Header=BB211_2 Depth=1
	v_lshlrev_b32_e32 v0, 2, v29
	s_delay_alu instid0(VALU_DEP_2)
	v_lshlrev_b32_e32 v4, 2, v5
	v_add_nc_u32_e32 v6, v13, v14
	v_lshlrev_b32_e32 v3, 2, v7
	s_barrier
	buffer_gl0_inv
	ds_store_b32 v0, v23
	ds_store_b32 v3, v28
	;; [unrolled: 1-line block ×3, first 2 shown]
	s_waitcnt lgkmcnt(0)
	s_barrier
	buffer_gl0_inv
	ds_load_2addr_stride64_b32 v[1:2], v6 offset1:3
	ds_load_b32 v23, v6 offset:1536
	s_waitcnt lgkmcnt(0)
	s_barrier
	buffer_gl0_inv
	ds_store_b32 v0, v26
	ds_store_b32 v3, v25
	;; [unrolled: 1-line block ×3, first 2 shown]
	s_waitcnt lgkmcnt(0)
	s_barrier
	buffer_gl0_inv
	ds_load_2addr_stride64_b32 v[4:5], v6 offset1:3
	ds_load_b32 v7, v6 offset:1536
	s_add_i32 s21, s21, 1
	s_delay_alu instid0(SALU_CYCLE_1)
	s_cmp_eq_u32 s21, 10
	v_xor_b32_e32 v1, 0x80000000, v1
	v_xor_b32_e32 v2, 0x80000000, v2
	;; [unrolled: 1-line block ×3, first 2 shown]
	s_cbranch_scc1 .LBB211_18
.LBB211_2:                              ; =>This Loop Header: Depth=1
                                        ;     Child Loop BB211_4 Depth 2
	s_delay_alu instid0(VALU_DEP_3) | instskip(NEXT) | instid1(VALU_DEP_3)
	v_xor_b32_e32 v0, 0x80000000, v1
	v_xor_b32_e32 v1, 0x80000000, v2
	s_delay_alu instid0(VALU_DEP_3)
	v_xor_b32_e32 v2, 0x80000000, v3
	s_mov_b32 s16, 0
	ds_store_2addr_b32 v19, v0, v1 offset1:1
	ds_store_b32 v19, v2 offset:8
	; wave barrier
	ds_load_2addr_b32 v[0:1], v20 offset1:32
	ds_load_b32 v6, v20 offset:256
	; wave barrier
	s_waitcnt lgkmcnt(5)
	ds_store_2addr_b32 v19, v4, v5 offset1:1
	s_waitcnt lgkmcnt(5)
	ds_store_b32 v19, v7 offset:8
	; wave barrier
	ds_load_2addr_b32 v[2:3], v20 offset1:32
	ds_load_b32 v4, v20 offset:256
	s_waitcnt lgkmcnt(0)
	s_barrier
	s_branch .LBB211_4
.LBB211_3:                              ;   in Loop: Header=BB211_4 Depth=2
	v_lshlrev_b32_e32 v2, 2, v29
	v_lshlrev_b32_e32 v3, 2, v7
	s_delay_alu instid0(VALU_DEP_3)
	v_lshlrev_b32_e32 v4, 2, v5
	s_barrier
	buffer_gl0_inv
	ds_store_b32 v2, v23
	ds_store_b32 v3, v28
	ds_store_b32 v4, v27
	s_waitcnt lgkmcnt(0)
	s_barrier
	buffer_gl0_inv
	ds_load_2addr_b32 v[0:1], v21 offset1:32
	ds_load_b32 v6, v21 offset:256
	s_waitcnt lgkmcnt(0)
	s_barrier
	buffer_gl0_inv
	ds_store_b32 v2, v26
	ds_store_b32 v3, v25
	;; [unrolled: 1-line block ×3, first 2 shown]
	s_waitcnt lgkmcnt(0)
	s_barrier
	buffer_gl0_inv
	ds_load_2addr_b32 v[2:3], v21 offset1:32
	ds_load_b32 v4, v21 offset:256
	s_add_i32 s16, s16, 8
	s_waitcnt lgkmcnt(0)
	s_barrier
	s_cbranch_execz .LBB211_1
.LBB211_4:                              ;   Parent Loop BB211_2 Depth=1
                                        ; =>  This Inner Loop Header: Depth=2
	v_mov_b32_e32 v23, v0
	buffer_gl0_inv
	ds_store_2addr_b64 v13, v[9:10], v[11:12] offset0:3 offset1:4
	ds_store_2addr_b64 v15, v[9:10], v[11:12] offset0:2 offset1:3
	s_waitcnt lgkmcnt(0)
	s_barrier
	v_lshrrev_b32_e32 v5, s16, v23
	buffer_gl0_inv
	; wave barrier
	v_lshlrev_b32_e32 v24, 30, v5
	v_bfe_u32 v0, v23, s16, 1
	v_lshlrev_b32_e32 v25, 29, v5
	v_lshlrev_b32_e32 v26, 28, v5
	;; [unrolled: 1-line block ×4, first 2 shown]
	v_add_co_u32 v0, s13, v0, -1
	s_delay_alu instid0(VALU_DEP_1) | instskip(SKIP_3) | instid1(VALU_DEP_4)
	v_cndmask_b32_e64 v7, 0, 1, s13
	v_cmp_gt_i32_e64 s13, 0, v24
	v_lshlrev_b32_e32 v29, 25, v5
	v_lshlrev_b32_e32 v5, 24, v5
	v_cmp_ne_u32_e32 vcc_lo, 0, v7
	v_not_b32_e32 v7, v24
	v_not_b32_e32 v24, v25
	v_xor_b32_e32 v0, vcc_lo, v0
	s_delay_alu instid0(VALU_DEP_3)
	v_ashrrev_i32_e32 v7, 31, v7
	v_cmp_gt_i32_e32 vcc_lo, 0, v25
	v_not_b32_e32 v25, v26
	v_ashrrev_i32_e32 v24, 31, v24
	v_and_b32_e32 v0, exec_lo, v0
	v_xor_b32_e32 v7, s13, v7
	v_cmp_gt_i32_e64 s13, 0, v26
	v_not_b32_e32 v26, v27
	v_ashrrev_i32_e32 v25, 31, v25
	v_xor_b32_e32 v24, vcc_lo, v24
	v_and_b32_e32 v0, v0, v7
	v_cmp_gt_i32_e32 vcc_lo, 0, v27
	v_ashrrev_i32_e32 v26, 31, v26
	v_xor_b32_e32 v25, s13, v25
	v_not_b32_e32 v7, v28
	v_and_b32_e32 v0, v0, v24
	v_cmp_gt_i32_e64 s13, 0, v28
	v_xor_b32_e32 v26, vcc_lo, v26
	v_mov_b32_e32 v28, v1
	v_ashrrev_i32_e32 v7, 31, v7
	v_and_b32_e32 v0, v0, v25
	v_not_b32_e32 v25, v5
	v_bfe_u32 v1, v23, s16, 8
	v_mov_b32_e32 v27, v6
	v_xor_b32_e32 v7, s13, v7
	v_and_b32_e32 v0, v0, v26
	v_mov_b32_e32 v26, v2
	v_not_b32_e32 v24, v29
	v_cmp_gt_i32_e32 vcc_lo, 0, v29
	v_cmp_gt_i32_e64 s13, 0, v5
	v_ashrrev_i32_e32 v5, 31, v25
	v_and_b32_e32 v0, v0, v7
	v_ashrrev_i32_e32 v24, 31, v24
	v_mad_u32_u24 v1, v1, 6, v22
	v_mov_b32_e32 v25, v3
	v_xor_b32_e32 v5, s13, v5
	s_delay_alu instid0(VALU_DEP_4) | instskip(NEXT) | instid1(VALU_DEP_4)
	v_xor_b32_e32 v24, vcc_lo, v24
	v_lshl_add_u32 v30, v1, 2, 24
	s_delay_alu instid0(VALU_DEP_2) | instskip(SKIP_1) | instid1(VALU_DEP_2)
	v_and_b32_e32 v0, v0, v24
	v_mov_b32_e32 v24, v4
	v_and_b32_e32 v0, v0, v5
	s_delay_alu instid0(VALU_DEP_1) | instskip(SKIP_1) | instid1(VALU_DEP_2)
	v_mbcnt_lo_u32_b32 v29, v0, 0
	v_cmp_ne_u32_e64 s13, 0, v0
	v_cmp_eq_u32_e32 vcc_lo, 0, v29
	s_delay_alu instid0(VALU_DEP_2) | instskip(NEXT) | instid1(SALU_CYCLE_1)
	s_and_b32 s17, s13, vcc_lo
	s_and_saveexec_b32 s13, s17
	s_cbranch_execz .LBB211_6
; %bb.5:                                ;   in Loop: Header=BB211_4 Depth=2
	v_bcnt_u32_b32 v0, v0, 0
	ds_store_b32 v30, v0
.LBB211_6:                              ;   in Loop: Header=BB211_4 Depth=2
	s_or_b32 exec_lo, exec_lo, s13
	v_bfe_u32 v0, v28, s16, 1
	v_lshrrev_b32_e32 v1, s16, v28
	; wave barrier
	s_delay_alu instid0(VALU_DEP_2) | instskip(NEXT) | instid1(VALU_DEP_1)
	v_add_co_u32 v0, s13, v0, -1
	v_cndmask_b32_e64 v2, 0, 1, s13
	s_delay_alu instid0(VALU_DEP_3)
	v_lshlrev_b32_e32 v3, 30, v1
	v_lshlrev_b32_e32 v4, 29, v1
	;; [unrolled: 1-line block ×4, first 2 shown]
	v_cmp_ne_u32_e32 vcc_lo, 0, v2
	v_not_b32_e32 v2, v3
	v_cmp_gt_i32_e64 s13, 0, v3
	v_not_b32_e32 v3, v4
	v_lshlrev_b32_e32 v7, 26, v1
	v_xor_b32_e32 v0, vcc_lo, v0
	v_ashrrev_i32_e32 v2, 31, v2
	v_cmp_gt_i32_e32 vcc_lo, 0, v4
	v_not_b32_e32 v4, v5
	v_ashrrev_i32_e32 v3, 31, v3
	v_and_b32_e32 v0, exec_lo, v0
	v_xor_b32_e32 v2, s13, v2
	v_cmp_gt_i32_e64 s13, 0, v5
	v_not_b32_e32 v5, v6
	v_ashrrev_i32_e32 v4, 31, v4
	v_xor_b32_e32 v3, vcc_lo, v3
	v_and_b32_e32 v0, v0, v2
	v_cmp_gt_i32_e32 vcc_lo, 0, v6
	v_not_b32_e32 v2, v7
	v_ashrrev_i32_e32 v5, 31, v5
	v_xor_b32_e32 v4, s13, v4
	v_and_b32_e32 v0, v0, v3
	v_lshlrev_b32_e32 v3, 25, v1
	v_cmp_gt_i32_e64 s13, 0, v7
	v_ashrrev_i32_e32 v2, 31, v2
	v_xor_b32_e32 v5, vcc_lo, v5
	v_and_b32_e32 v0, v0, v4
	v_not_b32_e32 v6, v3
	v_lshlrev_b32_e32 v1, 24, v1
	v_bfe_u32 v4, v28, s16, 8
	v_xor_b32_e32 v2, s13, v2
	v_and_b32_e32 v0, v0, v5
	v_cmp_gt_i32_e32 vcc_lo, 0, v3
	v_ashrrev_i32_e32 v3, 31, v6
	v_not_b32_e32 v5, v1
	v_mul_u32_u24_e32 v4, 6, v4
	v_and_b32_e32 v0, v0, v2
	s_delay_alu instid0(VALU_DEP_4) | instskip(SKIP_3) | instid1(VALU_DEP_4)
	v_xor_b32_e32 v2, vcc_lo, v3
	v_cmp_gt_i32_e32 vcc_lo, 0, v1
	v_ashrrev_i32_e32 v1, 31, v5
	v_add_lshl_u32 v3, v4, v22, 2
	v_and_b32_e32 v0, v0, v2
	s_delay_alu instid0(VALU_DEP_3) | instskip(SKIP_3) | instid1(VALU_DEP_1)
	v_xor_b32_e32 v1, vcc_lo, v1
	ds_load_b32 v31, v3 offset:24
	v_add_nc_u32_e32 v33, 24, v3
	; wave barrier
	v_and_b32_e32 v0, v0, v1
	v_mbcnt_lo_u32_b32 v32, v0, 0
	v_cmp_ne_u32_e64 s13, 0, v0
	s_delay_alu instid0(VALU_DEP_2) | instskip(NEXT) | instid1(VALU_DEP_2)
	v_cmp_eq_u32_e32 vcc_lo, 0, v32
	s_and_b32 s17, s13, vcc_lo
	s_delay_alu instid0(SALU_CYCLE_1)
	s_and_saveexec_b32 s13, s17
	s_cbranch_execz .LBB211_8
; %bb.7:                                ;   in Loop: Header=BB211_4 Depth=2
	s_waitcnt lgkmcnt(0)
	v_bcnt_u32_b32 v0, v0, v31
	ds_store_b32 v33, v0
.LBB211_8:                              ;   in Loop: Header=BB211_4 Depth=2
	s_or_b32 exec_lo, exec_lo, s13
	v_bfe_u32 v0, v27, s16, 1
	v_lshrrev_b32_e32 v1, s16, v27
	; wave barrier
	s_delay_alu instid0(VALU_DEP_2) | instskip(NEXT) | instid1(VALU_DEP_1)
	v_add_co_u32 v0, s13, v0, -1
	v_cndmask_b32_e64 v2, 0, 1, s13
	s_delay_alu instid0(VALU_DEP_3)
	v_lshlrev_b32_e32 v3, 30, v1
	v_lshlrev_b32_e32 v4, 29, v1
	;; [unrolled: 1-line block ×4, first 2 shown]
	v_cmp_ne_u32_e32 vcc_lo, 0, v2
	v_not_b32_e32 v2, v3
	v_cmp_gt_i32_e64 s13, 0, v3
	v_not_b32_e32 v3, v4
	v_lshlrev_b32_e32 v7, 26, v1
	v_xor_b32_e32 v0, vcc_lo, v0
	v_ashrrev_i32_e32 v2, 31, v2
	v_cmp_gt_i32_e32 vcc_lo, 0, v4
	v_not_b32_e32 v4, v5
	v_ashrrev_i32_e32 v3, 31, v3
	v_and_b32_e32 v0, exec_lo, v0
	v_xor_b32_e32 v2, s13, v2
	v_cmp_gt_i32_e64 s13, 0, v5
	v_not_b32_e32 v5, v6
	v_ashrrev_i32_e32 v4, 31, v4
	v_xor_b32_e32 v3, vcc_lo, v3
	v_and_b32_e32 v0, v0, v2
	v_cmp_gt_i32_e32 vcc_lo, 0, v6
	v_not_b32_e32 v2, v7
	v_ashrrev_i32_e32 v5, 31, v5
	v_xor_b32_e32 v4, s13, v4
	v_and_b32_e32 v0, v0, v3
	v_lshlrev_b32_e32 v3, 25, v1
	v_cmp_gt_i32_e64 s13, 0, v7
	v_ashrrev_i32_e32 v2, 31, v2
	v_xor_b32_e32 v5, vcc_lo, v5
	v_and_b32_e32 v0, v0, v4
	v_not_b32_e32 v6, v3
	v_lshlrev_b32_e32 v1, 24, v1
	v_bfe_u32 v4, v27, s16, 8
	v_xor_b32_e32 v2, s13, v2
	v_and_b32_e32 v0, v0, v5
	v_cmp_gt_i32_e32 vcc_lo, 0, v3
	v_ashrrev_i32_e32 v3, 31, v6
	v_not_b32_e32 v5, v1
	v_mul_u32_u24_e32 v4, 6, v4
	v_and_b32_e32 v0, v0, v2
	s_delay_alu instid0(VALU_DEP_4) | instskip(SKIP_3) | instid1(VALU_DEP_4)
	v_xor_b32_e32 v2, vcc_lo, v3
	v_cmp_gt_i32_e32 vcc_lo, 0, v1
	v_ashrrev_i32_e32 v1, 31, v5
	v_add_lshl_u32 v3, v4, v22, 2
	v_and_b32_e32 v0, v0, v2
	s_delay_alu instid0(VALU_DEP_3) | instskip(SKIP_3) | instid1(VALU_DEP_1)
	v_xor_b32_e32 v1, vcc_lo, v1
	ds_load_b32 v34, v3 offset:24
	v_add_nc_u32_e32 v36, 24, v3
	; wave barrier
	v_and_b32_e32 v0, v0, v1
	v_mbcnt_lo_u32_b32 v35, v0, 0
	v_cmp_ne_u32_e64 s13, 0, v0
	s_delay_alu instid0(VALU_DEP_2) | instskip(NEXT) | instid1(VALU_DEP_2)
	v_cmp_eq_u32_e32 vcc_lo, 0, v35
	s_and_b32 s17, s13, vcc_lo
	s_delay_alu instid0(SALU_CYCLE_1)
	s_and_saveexec_b32 s13, s17
	s_cbranch_execz .LBB211_10
; %bb.9:                                ;   in Loop: Header=BB211_4 Depth=2
	s_waitcnt lgkmcnt(0)
	v_bcnt_u32_b32 v0, v0, v34
	ds_store_b32 v36, v0
.LBB211_10:                             ;   in Loop: Header=BB211_4 Depth=2
	s_or_b32 exec_lo, exec_lo, s13
	; wave barrier
	s_waitcnt lgkmcnt(0)
	s_barrier
	buffer_gl0_inv
	ds_load_2addr_b64 v[4:7], v13 offset0:3 offset1:4
	ds_load_2addr_b64 v[0:3], v15 offset0:2 offset1:3
	s_waitcnt lgkmcnt(1)
	v_add_nc_u32_e32 v37, v5, v4
	s_delay_alu instid0(VALU_DEP_1) | instskip(SKIP_1) | instid1(VALU_DEP_1)
	v_add3_u32 v37, v37, v6, v7
	s_waitcnt lgkmcnt(0)
	v_add3_u32 v37, v37, v0, v1
	s_delay_alu instid0(VALU_DEP_1) | instskip(NEXT) | instid1(VALU_DEP_1)
	v_add3_u32 v3, v37, v2, v3
	v_mov_b32_dpp v37, v3 row_shr:1 row_mask:0xf bank_mask:0xf
	s_delay_alu instid0(VALU_DEP_1) | instskip(NEXT) | instid1(VALU_DEP_1)
	v_cndmask_b32_e64 v37, v37, 0, s1
	v_add_nc_u32_e32 v3, v37, v3
	s_delay_alu instid0(VALU_DEP_1) | instskip(NEXT) | instid1(VALU_DEP_1)
	v_mov_b32_dpp v37, v3 row_shr:2 row_mask:0xf bank_mask:0xf
	v_cndmask_b32_e64 v37, 0, v37, s2
	s_delay_alu instid0(VALU_DEP_1) | instskip(NEXT) | instid1(VALU_DEP_1)
	v_add_nc_u32_e32 v3, v3, v37
	v_mov_b32_dpp v37, v3 row_shr:4 row_mask:0xf bank_mask:0xf
	s_delay_alu instid0(VALU_DEP_1) | instskip(NEXT) | instid1(VALU_DEP_1)
	v_cndmask_b32_e64 v37, 0, v37, s3
	v_add_nc_u32_e32 v3, v3, v37
	s_delay_alu instid0(VALU_DEP_1) | instskip(NEXT) | instid1(VALU_DEP_1)
	v_mov_b32_dpp v37, v3 row_shr:8 row_mask:0xf bank_mask:0xf
	v_cndmask_b32_e64 v37, 0, v37, s4
	s_delay_alu instid0(VALU_DEP_1) | instskip(SKIP_3) | instid1(VALU_DEP_1)
	v_add_nc_u32_e32 v3, v3, v37
	ds_swizzle_b32 v37, v3 offset:swizzle(BROADCAST,32,15)
	s_waitcnt lgkmcnt(0)
	v_cndmask_b32_e64 v37, v37, 0, s5
	v_add_nc_u32_e32 v3, v3, v37
	s_and_saveexec_b32 s13, s12
	s_cbranch_execz .LBB211_12
; %bb.11:                               ;   in Loop: Header=BB211_4 Depth=2
	ds_store_b32 v17, v3
.LBB211_12:                             ;   in Loop: Header=BB211_4 Depth=2
	s_or_b32 exec_lo, exec_lo, s13
	s_waitcnt lgkmcnt(0)
	s_barrier
	buffer_gl0_inv
	s_and_saveexec_b32 s13, s6
	s_cbranch_execz .LBB211_14
; %bb.13:                               ;   in Loop: Header=BB211_4 Depth=2
	v_add_nc_u32_e32 v37, v13, v14
	ds_load_b32 v38, v37
	s_waitcnt lgkmcnt(0)
	v_mov_b32_dpp v39, v38 row_shr:1 row_mask:0xf bank_mask:0xf
	s_delay_alu instid0(VALU_DEP_1) | instskip(NEXT) | instid1(VALU_DEP_1)
	v_cndmask_b32_e64 v39, v39, 0, s9
	v_add_nc_u32_e32 v38, v39, v38
	s_delay_alu instid0(VALU_DEP_1) | instskip(NEXT) | instid1(VALU_DEP_1)
	v_mov_b32_dpp v39, v38 row_shr:2 row_mask:0xf bank_mask:0xf
	v_cndmask_b32_e64 v39, 0, v39, s10
	s_delay_alu instid0(VALU_DEP_1) | instskip(NEXT) | instid1(VALU_DEP_1)
	v_add_nc_u32_e32 v38, v38, v39
	v_mov_b32_dpp v39, v38 row_shr:4 row_mask:0xf bank_mask:0xf
	s_delay_alu instid0(VALU_DEP_1) | instskip(NEXT) | instid1(VALU_DEP_1)
	v_cndmask_b32_e64 v39, 0, v39, s11
	v_add_nc_u32_e32 v38, v38, v39
	ds_store_b32 v37, v38
.LBB211_14:                             ;   in Loop: Header=BB211_4 Depth=2
	s_or_b32 exec_lo, exec_lo, s13
	v_mov_b32_e32 v37, 0
	s_waitcnt lgkmcnt(0)
	s_barrier
	buffer_gl0_inv
	s_and_saveexec_b32 s13, s7
	s_cbranch_execz .LBB211_16
; %bb.15:                               ;   in Loop: Header=BB211_4 Depth=2
	ds_load_b32 v37, v18
.LBB211_16:                             ;   in Loop: Header=BB211_4 Depth=2
	s_or_b32 exec_lo, exec_lo, s13
	s_waitcnt lgkmcnt(0)
	v_add_nc_u32_e32 v3, v37, v3
	s_cmp_gt_u32 s16, 23
	ds_bpermute_b32 v3, v16, v3
	s_waitcnt lgkmcnt(0)
	v_cndmask_b32_e64 v3, v3, v37, s0
	s_delay_alu instid0(VALU_DEP_1) | instskip(NEXT) | instid1(VALU_DEP_1)
	v_cndmask_b32_e64 v3, v3, 0, s8
	v_add_nc_u32_e32 v4, v3, v4
	s_delay_alu instid0(VALU_DEP_1) | instskip(NEXT) | instid1(VALU_DEP_1)
	v_add_nc_u32_e32 v5, v4, v5
	v_add_nc_u32_e32 v6, v5, v6
	s_delay_alu instid0(VALU_DEP_1) | instskip(NEXT) | instid1(VALU_DEP_1)
	v_add_nc_u32_e32 v37, v6, v7
	;; [unrolled: 3-line block ×3, first 2 shown]
	v_add_nc_u32_e32 v1, v0, v2
	ds_store_2addr_b64 v13, v[3:4], v[5:6] offset0:3 offset1:4
	ds_store_2addr_b64 v15, v[37:38], v[0:1] offset0:2 offset1:3
	s_waitcnt lgkmcnt(0)
	s_barrier
	buffer_gl0_inv
	ds_load_b32 v0, v30
	ds_load_b32 v1, v33
	ds_load_b32 v2, v36
	s_waitcnt lgkmcnt(2)
	v_add_nc_u32_e32 v29, v0, v29
	s_waitcnt lgkmcnt(1)
	v_add3_u32 v7, v32, v31, v1
	s_waitcnt lgkmcnt(0)
	v_add3_u32 v5, v35, v34, v2
	s_cbranch_scc0 .LBB211_3
; %bb.17:                               ;   in Loop: Header=BB211_2 Depth=1
                                        ; implicit-def: $vgpr6
                                        ; implicit-def: $vgpr1
                                        ; implicit-def: $vgpr4
                                        ; implicit-def: $vgpr3
                                        ; implicit-def: $sgpr16
	s_branch .LBB211_1
.LBB211_18:
	s_waitcnt lgkmcnt(1)
	v_add_nc_u32_e32 v0, v1, v4
	v_add_nc_u32_e32 v1, v2, v5
	v_lshlrev_b32_e32 v2, 2, v8
	s_waitcnt lgkmcnt(0)
	v_add_nc_u32_e32 v3, v3, v7
	s_add_u32 s0, s18, s14
	s_addc_u32 s1, s19, s15
	s_clause 0x2
	global_store_b32 v2, v0, s[0:1]
	global_store_b32 v2, v1, s[0:1] offset:768
	global_store_b32 v2, v3, s[0:1] offset:1536
	s_nop 0
	s_sendmsg sendmsg(MSG_DEALLOC_VGPRS)
	s_endpgm
	.section	.rodata,"a",@progbits
	.p2align	6, 0x0
	.amdhsa_kernel _Z17sort_pairs_kernelI22helper_blocked_stripediLj192ELj3ELj10EEvPKT0_PS1_
		.amdhsa_group_segment_fixed_size 6176
		.amdhsa_private_segment_fixed_size 0
		.amdhsa_kernarg_size 272
		.amdhsa_user_sgpr_count 15
		.amdhsa_user_sgpr_dispatch_ptr 0
		.amdhsa_user_sgpr_queue_ptr 0
		.amdhsa_user_sgpr_kernarg_segment_ptr 1
		.amdhsa_user_sgpr_dispatch_id 0
		.amdhsa_user_sgpr_private_segment_size 0
		.amdhsa_wavefront_size32 1
		.amdhsa_uses_dynamic_stack 0
		.amdhsa_enable_private_segment 0
		.amdhsa_system_sgpr_workgroup_id_x 1
		.amdhsa_system_sgpr_workgroup_id_y 0
		.amdhsa_system_sgpr_workgroup_id_z 0
		.amdhsa_system_sgpr_workgroup_info 0
		.amdhsa_system_vgpr_workitem_id 2
		.amdhsa_next_free_vgpr 40
		.amdhsa_next_free_sgpr 22
		.amdhsa_reserve_vcc 1
		.amdhsa_float_round_mode_32 0
		.amdhsa_float_round_mode_16_64 0
		.amdhsa_float_denorm_mode_32 3
		.amdhsa_float_denorm_mode_16_64 3
		.amdhsa_dx10_clamp 1
		.amdhsa_ieee_mode 1
		.amdhsa_fp16_overflow 0
		.amdhsa_workgroup_processor_mode 1
		.amdhsa_memory_ordered 1
		.amdhsa_forward_progress 0
		.amdhsa_shared_vgpr_count 0
		.amdhsa_exception_fp_ieee_invalid_op 0
		.amdhsa_exception_fp_denorm_src 0
		.amdhsa_exception_fp_ieee_div_zero 0
		.amdhsa_exception_fp_ieee_overflow 0
		.amdhsa_exception_fp_ieee_underflow 0
		.amdhsa_exception_fp_ieee_inexact 0
		.amdhsa_exception_int_div_zero 0
	.end_amdhsa_kernel
	.section	.text._Z17sort_pairs_kernelI22helper_blocked_stripediLj192ELj3ELj10EEvPKT0_PS1_,"axG",@progbits,_Z17sort_pairs_kernelI22helper_blocked_stripediLj192ELj3ELj10EEvPKT0_PS1_,comdat
.Lfunc_end211:
	.size	_Z17sort_pairs_kernelI22helper_blocked_stripediLj192ELj3ELj10EEvPKT0_PS1_, .Lfunc_end211-_Z17sort_pairs_kernelI22helper_blocked_stripediLj192ELj3ELj10EEvPKT0_PS1_
                                        ; -- End function
	.section	.AMDGPU.csdata,"",@progbits
; Kernel info:
; codeLenInByte = 2592
; NumSgprs: 24
; NumVgprs: 40
; ScratchSize: 0
; MemoryBound: 0
; FloatMode: 240
; IeeeMode: 1
; LDSByteSize: 6176 bytes/workgroup (compile time only)
; SGPRBlocks: 2
; VGPRBlocks: 4
; NumSGPRsForWavesPerEU: 24
; NumVGPRsForWavesPerEU: 40
; Occupancy: 15
; WaveLimiterHint : 1
; COMPUTE_PGM_RSRC2:SCRATCH_EN: 0
; COMPUTE_PGM_RSRC2:USER_SGPR: 15
; COMPUTE_PGM_RSRC2:TRAP_HANDLER: 0
; COMPUTE_PGM_RSRC2:TGID_X_EN: 1
; COMPUTE_PGM_RSRC2:TGID_Y_EN: 0
; COMPUTE_PGM_RSRC2:TGID_Z_EN: 0
; COMPUTE_PGM_RSRC2:TIDIG_COMP_CNT: 2
	.section	.text._Z16sort_keys_kernelI22helper_blocked_stripediLj192ELj4ELj10EEvPKT0_PS1_,"axG",@progbits,_Z16sort_keys_kernelI22helper_blocked_stripediLj192ELj4ELj10EEvPKT0_PS1_,comdat
	.protected	_Z16sort_keys_kernelI22helper_blocked_stripediLj192ELj4ELj10EEvPKT0_PS1_ ; -- Begin function _Z16sort_keys_kernelI22helper_blocked_stripediLj192ELj4ELj10EEvPKT0_PS1_
	.globl	_Z16sort_keys_kernelI22helper_blocked_stripediLj192ELj4ELj10EEvPKT0_PS1_
	.p2align	8
	.type	_Z16sort_keys_kernelI22helper_blocked_stripediLj192ELj4ELj10EEvPKT0_PS1_,@function
_Z16sort_keys_kernelI22helper_blocked_stripediLj192ELj4ELj10EEvPKT0_PS1_: ; @_Z16sort_keys_kernelI22helper_blocked_stripediLj192ELj4ELj10EEvPKT0_PS1_
; %bb.0:
	s_clause 0x1
	s_load_b128 s[16:19], s[0:1], 0x0
	s_load_b32 s3, s[0:1], 0x1c
	v_mbcnt_lo_u32_b32 v8, -1, 0
	s_mul_i32 s20, s15, 0x300
	s_mov_b32 s21, 0
	v_bfe_u32 v7, v0, 10, 10
	s_lshl_b64 s[22:23], s[20:21], 2
	v_add_nc_u32_e32 v9, -1, v8
	s_mov_b32 s20, s21
	v_and_b32_e32 v5, 0x3ff, v0
	v_bfe_u32 v0, v0, 20, 10
	v_and_b32_e32 v6, 3, v8
	v_cmp_gt_i32_e32 vcc_lo, 0, v9
	v_cmp_eq_u32_e64 s11, 0, v8
	v_lshlrev_b32_e32 v1, 4, v5
	v_lshlrev_b32_e32 v15, 5, v5
	v_cmp_gt_u32_e64 s9, 6, v5
	v_cmp_lt_u32_e64 s10, 31, v5
	v_cmp_eq_u32_e64 s12, 0, v5
	v_mul_i32_i24_e32 v22, 0xffffffe4, v5
	s_waitcnt lgkmcnt(0)
	s_add_u32 s0, s16, s22
	s_addc_u32 s1, s17, s23
	s_lshr_b32 s2, s3, 16
	global_load_b128 v[1:4], v1, s[0:1]
	v_mad_u32_u24 v0, v0, s2, v7
	s_and_b32 s3, s3, 0xffff
	v_cmp_eq_u32_e64 s0, 3, v6
	v_cmp_eq_u32_e64 s1, 2, v6
	;; [unrolled: 1-line block ×3, first 2 shown]
	v_mad_u64_u32 v[6:7], null, v0, s3, v[5:6]
	v_and_b32_e32 v7, 0xe0, v5
	v_and_b32_e32 v0, 15, v8
	s_mov_b32 s16, s21
	s_mov_b32 s17, s21
	v_lshlrev_b32_e32 v12, 2, v5
	v_dual_mov_b32 v10, s16 :: v_dual_and_b32 v13, 28, v8
	v_lshrrev_b32_e32 v19, 5, v6
	v_min_u32_e32 v6, 0xa0, v7
	v_cmp_eq_u32_e64 s3, 0, v0
	v_cmp_lt_u32_e64 s4, 1, v0
	v_cmp_lt_u32_e64 s5, 3, v0
	;; [unrolled: 1-line block ×3, first 2 shown]
	v_or_b32_e32 v6, 31, v6
	v_cndmask_b32_e32 v0, v9, v8, vcc_lo
	v_and_b32_e32 v7, 16, v8
	v_mov_b32_e32 v11, s17
	v_or_b32_e32 v14, 32, v13
	v_cmp_eq_u32_e64 s8, v6, v5
	v_lshrrev_b32_e32 v6, 3, v5
	v_lshlrev_b32_e32 v20, 2, v0
	v_and_b32_e32 v0, 7, v8
	v_and_or_b32 v5, 0x380, v12, v8
	s_delay_alu instid0(VALU_DEP_4)
	v_dual_mov_b32 v8, s20 :: v_dual_and_b32 v21, 28, v6
	v_or_b32_e32 v16, 64, v13
	v_or_b32_e32 v17, 0x60, v13
	;; [unrolled: 1-line block ×3, first 2 shown]
	v_cmp_eq_u32_e64 s7, 0, v7
	v_cmp_eq_u32_e64 s13, 0, v0
	v_cmp_lt_u32_e64 s14, 1, v0
	v_cmp_lt_u32_e64 s15, 3, v0
	v_add_nc_u32_e32 v23, -4, v21
	v_dual_mov_b32 v9, s21 :: v_dual_lshlrev_b32 v24, 2, v5
	s_branch .LBB212_2
.LBB212_1:                              ;   in Loop: Header=BB212_2 Depth=1
	v_lshlrev_b32_e32 v0, 2, v7
	v_lshlrev_b32_e32 v1, 2, v6
	;; [unrolled: 1-line block ×3, first 2 shown]
	s_barrier
	buffer_gl0_inv
	v_lshlrev_b32_e32 v3, 2, v4
	ds_store_b32 v0, v25
	ds_store_b32 v1, v28
	;; [unrolled: 1-line block ×3, first 2 shown]
	v_add_nc_u32_e32 v0, v15, v22
	s_add_i32 s21, s21, 1
	ds_store_b32 v3, v26
	s_waitcnt lgkmcnt(0)
	s_barrier
	buffer_gl0_inv
	ds_load_2addr_stride64_b32 v[1:2], v0 offset1:3
	ds_load_2addr_stride64_b32 v[3:4], v0 offset0:6 offset1:9
	s_cmp_eq_u32 s21, 10
	s_waitcnt lgkmcnt(1)
	v_xor_b32_e32 v1, 0x80000000, v1
	v_xor_b32_e32 v2, 0x80000000, v2
	s_waitcnt lgkmcnt(0)
	v_xor_b32_e32 v3, 0x80000000, v3
	v_xor_b32_e32 v4, 0x80000000, v4
	s_cbranch_scc1 .LBB212_20
.LBB212_2:                              ; =>This Loop Header: Depth=1
                                        ;     Child Loop BB212_4 Depth 2
	s_waitcnt vmcnt(0)
	v_xor_b32_e32 v0, 0x80000000, v1
	v_xor_b32_e32 v1, 0x80000000, v2
	;; [unrolled: 1-line block ×4, first 2 shown]
	s_mov_b32 s17, 0
	ds_bpermute_b32 v3, v13, v0
	ds_bpermute_b32 v5, v13, v1
	;; [unrolled: 1-line block ×16, first 2 shown]
	s_waitcnt lgkmcnt(0)
	s_barrier
	v_cndmask_b32_e64 v3, v3, v5, s2
	v_cndmask_b32_e64 v5, v6, v7, s2
	;; [unrolled: 1-line block ×4, first 2 shown]
	s_delay_alu instid0(VALU_DEP_4) | instskip(NEXT) | instid1(VALU_DEP_4)
	v_cndmask_b32_e64 v1, v3, v27, s1
	v_cndmask_b32_e64 v3, v5, v28, s1
	s_delay_alu instid0(VALU_DEP_4) | instskip(NEXT) | instid1(VALU_DEP_4)
	v_cndmask_b32_e64 v5, v6, v29, s1
	v_cndmask_b32_e64 v6, v0, v2, s1
	;; [unrolled: 3-line block ×4, first 2 shown]
	s_branch .LBB212_4
.LBB212_3:                              ;   in Loop: Header=BB212_4 Depth=2
	v_lshlrev_b32_e32 v0, 2, v7
	v_lshlrev_b32_e32 v1, 2, v6
	;; [unrolled: 1-line block ×4, first 2 shown]
	s_barrier
	buffer_gl0_inv
	ds_store_b32 v0, v25
	ds_store_b32 v1, v28
	;; [unrolled: 1-line block ×4, first 2 shown]
	s_waitcnt lgkmcnt(0)
	s_barrier
	buffer_gl0_inv
	ds_load_2addr_b32 v[0:1], v24 offset1:32
	ds_load_2addr_b32 v[2:3], v24 offset0:64 offset1:96
	s_add_i32 s17, s17, 8
	s_waitcnt lgkmcnt(0)
	s_barrier
	s_cbranch_execz .LBB212_1
.LBB212_4:                              ;   Parent Loop BB212_2 Depth=1
                                        ; =>  This Inner Loop Header: Depth=2
	v_mov_b32_e32 v25, v0
	buffer_gl0_inv
	ds_store_2addr_b64 v15, v[8:9], v[10:11] offset0:3 offset1:4
	ds_store_2addr_b64 v18, v[8:9], v[10:11] offset0:2 offset1:3
	s_waitcnt lgkmcnt(0)
	s_barrier
	v_lshrrev_b32_e32 v4, s17, v25
	buffer_gl0_inv
	; wave barrier
	v_lshlrev_b32_e32 v6, 30, v4
	v_bfe_u32 v0, v25, s17, 1
	v_lshlrev_b32_e32 v7, 29, v4
	v_lshlrev_b32_e32 v26, 28, v4
	;; [unrolled: 1-line block ×4, first 2 shown]
	v_add_co_u32 v0, s16, v0, -1
	s_delay_alu instid0(VALU_DEP_1) | instskip(SKIP_3) | instid1(VALU_DEP_4)
	v_cndmask_b32_e64 v5, 0, 1, s16
	v_cmp_gt_i32_e64 s16, 0, v6
	v_lshlrev_b32_e32 v29, 25, v4
	v_lshlrev_b32_e32 v4, 24, v4
	v_cmp_ne_u32_e32 vcc_lo, 0, v5
	v_not_b32_e32 v5, v6
	v_not_b32_e32 v6, v7
	v_xor_b32_e32 v0, vcc_lo, v0
	s_delay_alu instid0(VALU_DEP_3)
	v_ashrrev_i32_e32 v5, 31, v5
	v_cmp_gt_i32_e32 vcc_lo, 0, v7
	v_not_b32_e32 v7, v26
	v_ashrrev_i32_e32 v6, 31, v6
	v_and_b32_e32 v0, exec_lo, v0
	v_xor_b32_e32 v5, s16, v5
	v_cmp_gt_i32_e64 s16, 0, v26
	v_ashrrev_i32_e32 v7, 31, v7
	v_xor_b32_e32 v6, vcc_lo, v6
	s_delay_alu instid0(VALU_DEP_4) | instskip(SKIP_1) | instid1(VALU_DEP_4)
	v_and_b32_e32 v0, v0, v5
	v_not_b32_e32 v5, v28
	v_xor_b32_e32 v7, s16, v7
	v_cmp_gt_i32_e64 s16, 0, v28
	v_mov_b32_e32 v28, v1
	v_not_b32_e32 v26, v27
	v_cmp_gt_i32_e32 vcc_lo, 0, v27
	v_and_b32_e32 v0, v0, v6
	v_not_b32_e32 v6, v29
	v_ashrrev_i32_e32 v5, 31, v5
	v_ashrrev_i32_e32 v26, 31, v26
	v_bfe_u32 v1, v25, s17, 8
	v_and_b32_e32 v0, v0, v7
	v_not_b32_e32 v7, v4
	v_ashrrev_i32_e32 v6, 31, v6
	v_xor_b32_e32 v26, vcc_lo, v26
	v_cmp_gt_i32_e32 vcc_lo, 0, v29
	v_xor_b32_e32 v5, s16, v5
	v_cmp_gt_i32_e64 s16, 0, v4
	v_ashrrev_i32_e32 v4, 31, v7
	v_and_b32_e32 v0, v0, v26
	v_xor_b32_e32 v6, vcc_lo, v6
	v_mad_u32_u24 v1, v1, 6, v19
	v_mov_b32_e32 v26, v3
	v_xor_b32_e32 v4, s16, v4
	v_dual_mov_b32 v27, v2 :: v_dual_and_b32 v0, v0, v5
	s_delay_alu instid0(VALU_DEP_4) | instskip(NEXT) | instid1(VALU_DEP_2)
	v_lshl_add_u32 v30, v1, 2, 24
	v_and_b32_e32 v0, v0, v6
	s_delay_alu instid0(VALU_DEP_1) | instskip(NEXT) | instid1(VALU_DEP_1)
	v_and_b32_e32 v0, v0, v4
	v_mbcnt_lo_u32_b32 v29, v0, 0
	v_cmp_ne_u32_e64 s16, 0, v0
	s_delay_alu instid0(VALU_DEP_2) | instskip(NEXT) | instid1(VALU_DEP_2)
	v_cmp_eq_u32_e32 vcc_lo, 0, v29
	s_and_b32 s20, s16, vcc_lo
	s_delay_alu instid0(SALU_CYCLE_1)
	s_and_saveexec_b32 s16, s20
	s_cbranch_execz .LBB212_6
; %bb.5:                                ;   in Loop: Header=BB212_4 Depth=2
	v_bcnt_u32_b32 v0, v0, 0
	ds_store_b32 v30, v0
.LBB212_6:                              ;   in Loop: Header=BB212_4 Depth=2
	s_or_b32 exec_lo, exec_lo, s16
	v_bfe_u32 v0, v28, s17, 1
	v_lshrrev_b32_e32 v1, s17, v28
	; wave barrier
	s_delay_alu instid0(VALU_DEP_2) | instskip(NEXT) | instid1(VALU_DEP_1)
	v_add_co_u32 v0, s16, v0, -1
	v_cndmask_b32_e64 v2, 0, 1, s16
	s_delay_alu instid0(VALU_DEP_3)
	v_lshlrev_b32_e32 v3, 30, v1
	v_lshlrev_b32_e32 v4, 29, v1
	;; [unrolled: 1-line block ×4, first 2 shown]
	v_cmp_ne_u32_e32 vcc_lo, 0, v2
	v_not_b32_e32 v2, v3
	v_cmp_gt_i32_e64 s16, 0, v3
	v_not_b32_e32 v3, v4
	v_lshlrev_b32_e32 v7, 26, v1
	v_xor_b32_e32 v0, vcc_lo, v0
	v_ashrrev_i32_e32 v2, 31, v2
	v_cmp_gt_i32_e32 vcc_lo, 0, v4
	v_not_b32_e32 v4, v5
	v_ashrrev_i32_e32 v3, 31, v3
	v_and_b32_e32 v0, exec_lo, v0
	v_xor_b32_e32 v2, s16, v2
	v_cmp_gt_i32_e64 s16, 0, v5
	v_not_b32_e32 v5, v6
	v_ashrrev_i32_e32 v4, 31, v4
	v_xor_b32_e32 v3, vcc_lo, v3
	v_and_b32_e32 v0, v0, v2
	v_cmp_gt_i32_e32 vcc_lo, 0, v6
	v_not_b32_e32 v2, v7
	v_ashrrev_i32_e32 v5, 31, v5
	v_xor_b32_e32 v4, s16, v4
	v_and_b32_e32 v0, v0, v3
	v_lshlrev_b32_e32 v3, 25, v1
	v_cmp_gt_i32_e64 s16, 0, v7
	v_ashrrev_i32_e32 v2, 31, v2
	v_xor_b32_e32 v5, vcc_lo, v5
	v_and_b32_e32 v0, v0, v4
	v_not_b32_e32 v6, v3
	v_lshlrev_b32_e32 v1, 24, v1
	v_bfe_u32 v4, v28, s17, 8
	v_xor_b32_e32 v2, s16, v2
	v_and_b32_e32 v0, v0, v5
	v_cmp_gt_i32_e32 vcc_lo, 0, v3
	v_ashrrev_i32_e32 v3, 31, v6
	v_not_b32_e32 v5, v1
	v_mul_u32_u24_e32 v4, 6, v4
	v_and_b32_e32 v0, v0, v2
	s_delay_alu instid0(VALU_DEP_4) | instskip(SKIP_3) | instid1(VALU_DEP_4)
	v_xor_b32_e32 v2, vcc_lo, v3
	v_cmp_gt_i32_e32 vcc_lo, 0, v1
	v_ashrrev_i32_e32 v1, 31, v5
	v_add_lshl_u32 v3, v4, v19, 2
	v_and_b32_e32 v0, v0, v2
	s_delay_alu instid0(VALU_DEP_3) | instskip(SKIP_3) | instid1(VALU_DEP_1)
	v_xor_b32_e32 v1, vcc_lo, v1
	ds_load_b32 v31, v3 offset:24
	v_add_nc_u32_e32 v33, 24, v3
	; wave barrier
	v_and_b32_e32 v0, v0, v1
	v_mbcnt_lo_u32_b32 v32, v0, 0
	v_cmp_ne_u32_e64 s16, 0, v0
	s_delay_alu instid0(VALU_DEP_2) | instskip(NEXT) | instid1(VALU_DEP_2)
	v_cmp_eq_u32_e32 vcc_lo, 0, v32
	s_and_b32 s20, s16, vcc_lo
	s_delay_alu instid0(SALU_CYCLE_1)
	s_and_saveexec_b32 s16, s20
	s_cbranch_execz .LBB212_8
; %bb.7:                                ;   in Loop: Header=BB212_4 Depth=2
	s_waitcnt lgkmcnt(0)
	v_bcnt_u32_b32 v0, v0, v31
	ds_store_b32 v33, v0
.LBB212_8:                              ;   in Loop: Header=BB212_4 Depth=2
	s_or_b32 exec_lo, exec_lo, s16
	v_bfe_u32 v0, v27, s17, 1
	v_lshrrev_b32_e32 v1, s17, v27
	; wave barrier
	s_delay_alu instid0(VALU_DEP_2) | instskip(NEXT) | instid1(VALU_DEP_1)
	v_add_co_u32 v0, s16, v0, -1
	v_cndmask_b32_e64 v2, 0, 1, s16
	s_delay_alu instid0(VALU_DEP_3)
	v_lshlrev_b32_e32 v3, 30, v1
	v_lshlrev_b32_e32 v4, 29, v1
	;; [unrolled: 1-line block ×4, first 2 shown]
	v_cmp_ne_u32_e32 vcc_lo, 0, v2
	v_not_b32_e32 v2, v3
	v_cmp_gt_i32_e64 s16, 0, v3
	v_not_b32_e32 v3, v4
	v_lshlrev_b32_e32 v7, 26, v1
	v_xor_b32_e32 v0, vcc_lo, v0
	v_ashrrev_i32_e32 v2, 31, v2
	v_cmp_gt_i32_e32 vcc_lo, 0, v4
	v_not_b32_e32 v4, v5
	v_ashrrev_i32_e32 v3, 31, v3
	v_and_b32_e32 v0, exec_lo, v0
	v_xor_b32_e32 v2, s16, v2
	v_cmp_gt_i32_e64 s16, 0, v5
	v_not_b32_e32 v5, v6
	v_ashrrev_i32_e32 v4, 31, v4
	v_xor_b32_e32 v3, vcc_lo, v3
	v_and_b32_e32 v0, v0, v2
	v_cmp_gt_i32_e32 vcc_lo, 0, v6
	v_not_b32_e32 v2, v7
	v_ashrrev_i32_e32 v5, 31, v5
	v_xor_b32_e32 v4, s16, v4
	v_and_b32_e32 v0, v0, v3
	v_lshlrev_b32_e32 v3, 25, v1
	v_cmp_gt_i32_e64 s16, 0, v7
	v_ashrrev_i32_e32 v2, 31, v2
	v_xor_b32_e32 v5, vcc_lo, v5
	v_and_b32_e32 v0, v0, v4
	v_not_b32_e32 v6, v3
	v_lshlrev_b32_e32 v1, 24, v1
	v_bfe_u32 v4, v27, s17, 8
	v_xor_b32_e32 v2, s16, v2
	v_and_b32_e32 v0, v0, v5
	v_cmp_gt_i32_e32 vcc_lo, 0, v3
	v_ashrrev_i32_e32 v3, 31, v6
	v_not_b32_e32 v5, v1
	v_mul_u32_u24_e32 v4, 6, v4
	v_and_b32_e32 v0, v0, v2
	s_delay_alu instid0(VALU_DEP_4) | instskip(SKIP_3) | instid1(VALU_DEP_4)
	v_xor_b32_e32 v2, vcc_lo, v3
	v_cmp_gt_i32_e32 vcc_lo, 0, v1
	v_ashrrev_i32_e32 v1, 31, v5
	v_add_lshl_u32 v3, v4, v19, 2
	v_and_b32_e32 v0, v0, v2
	s_delay_alu instid0(VALU_DEP_3) | instskip(SKIP_3) | instid1(VALU_DEP_1)
	v_xor_b32_e32 v1, vcc_lo, v1
	ds_load_b32 v34, v3 offset:24
	v_add_nc_u32_e32 v36, 24, v3
	; wave barrier
	v_and_b32_e32 v0, v0, v1
	v_mbcnt_lo_u32_b32 v35, v0, 0
	v_cmp_ne_u32_e64 s16, 0, v0
	s_delay_alu instid0(VALU_DEP_2) | instskip(NEXT) | instid1(VALU_DEP_2)
	v_cmp_eq_u32_e32 vcc_lo, 0, v35
	s_and_b32 s20, s16, vcc_lo
	s_delay_alu instid0(SALU_CYCLE_1)
	s_and_saveexec_b32 s16, s20
	s_cbranch_execz .LBB212_10
; %bb.9:                                ;   in Loop: Header=BB212_4 Depth=2
	s_waitcnt lgkmcnt(0)
	v_bcnt_u32_b32 v0, v0, v34
	ds_store_b32 v36, v0
.LBB212_10:                             ;   in Loop: Header=BB212_4 Depth=2
	s_or_b32 exec_lo, exec_lo, s16
	v_bfe_u32 v0, v26, s17, 1
	v_lshrrev_b32_e32 v1, s17, v26
	; wave barrier
	s_delay_alu instid0(VALU_DEP_2) | instskip(NEXT) | instid1(VALU_DEP_1)
	v_add_co_u32 v0, s16, v0, -1
	v_cndmask_b32_e64 v2, 0, 1, s16
	s_delay_alu instid0(VALU_DEP_3)
	v_lshlrev_b32_e32 v3, 30, v1
	v_lshlrev_b32_e32 v4, 29, v1
	;; [unrolled: 1-line block ×4, first 2 shown]
	v_cmp_ne_u32_e32 vcc_lo, 0, v2
	v_not_b32_e32 v2, v3
	v_cmp_gt_i32_e64 s16, 0, v3
	v_not_b32_e32 v3, v4
	v_lshlrev_b32_e32 v7, 26, v1
	v_xor_b32_e32 v0, vcc_lo, v0
	v_ashrrev_i32_e32 v2, 31, v2
	v_cmp_gt_i32_e32 vcc_lo, 0, v4
	v_not_b32_e32 v4, v5
	v_ashrrev_i32_e32 v3, 31, v3
	v_and_b32_e32 v0, exec_lo, v0
	v_xor_b32_e32 v2, s16, v2
	v_cmp_gt_i32_e64 s16, 0, v5
	v_not_b32_e32 v5, v6
	v_ashrrev_i32_e32 v4, 31, v4
	v_xor_b32_e32 v3, vcc_lo, v3
	v_and_b32_e32 v0, v0, v2
	v_cmp_gt_i32_e32 vcc_lo, 0, v6
	v_not_b32_e32 v2, v7
	v_ashrrev_i32_e32 v5, 31, v5
	v_xor_b32_e32 v4, s16, v4
	v_and_b32_e32 v0, v0, v3
	v_lshlrev_b32_e32 v3, 25, v1
	v_cmp_gt_i32_e64 s16, 0, v7
	v_ashrrev_i32_e32 v2, 31, v2
	v_xor_b32_e32 v5, vcc_lo, v5
	v_and_b32_e32 v0, v0, v4
	v_not_b32_e32 v6, v3
	v_lshlrev_b32_e32 v1, 24, v1
	v_bfe_u32 v4, v26, s17, 8
	v_xor_b32_e32 v2, s16, v2
	v_and_b32_e32 v0, v0, v5
	v_cmp_gt_i32_e32 vcc_lo, 0, v3
	v_ashrrev_i32_e32 v3, 31, v6
	v_not_b32_e32 v5, v1
	v_mul_u32_u24_e32 v4, 6, v4
	v_and_b32_e32 v0, v0, v2
	s_delay_alu instid0(VALU_DEP_4) | instskip(SKIP_3) | instid1(VALU_DEP_4)
	v_xor_b32_e32 v2, vcc_lo, v3
	v_cmp_gt_i32_e32 vcc_lo, 0, v1
	v_ashrrev_i32_e32 v1, 31, v5
	v_add_lshl_u32 v3, v4, v19, 2
	v_and_b32_e32 v0, v0, v2
	s_delay_alu instid0(VALU_DEP_3) | instskip(SKIP_3) | instid1(VALU_DEP_1)
	v_xor_b32_e32 v1, vcc_lo, v1
	ds_load_b32 v37, v3 offset:24
	v_add_nc_u32_e32 v39, 24, v3
	; wave barrier
	v_and_b32_e32 v0, v0, v1
	v_mbcnt_lo_u32_b32 v38, v0, 0
	v_cmp_ne_u32_e64 s16, 0, v0
	s_delay_alu instid0(VALU_DEP_2) | instskip(NEXT) | instid1(VALU_DEP_2)
	v_cmp_eq_u32_e32 vcc_lo, 0, v38
	s_and_b32 s20, s16, vcc_lo
	s_delay_alu instid0(SALU_CYCLE_1)
	s_and_saveexec_b32 s16, s20
	s_cbranch_execz .LBB212_12
; %bb.11:                               ;   in Loop: Header=BB212_4 Depth=2
	s_waitcnt lgkmcnt(0)
	v_bcnt_u32_b32 v0, v0, v37
	ds_store_b32 v39, v0
.LBB212_12:                             ;   in Loop: Header=BB212_4 Depth=2
	s_or_b32 exec_lo, exec_lo, s16
	; wave barrier
	s_waitcnt lgkmcnt(0)
	s_barrier
	buffer_gl0_inv
	ds_load_2addr_b64 v[4:7], v15 offset0:3 offset1:4
	ds_load_2addr_b64 v[0:3], v18 offset0:2 offset1:3
	s_waitcnt lgkmcnt(1)
	v_add_nc_u32_e32 v40, v5, v4
	s_delay_alu instid0(VALU_DEP_1) | instskip(SKIP_1) | instid1(VALU_DEP_1)
	v_add3_u32 v40, v40, v6, v7
	s_waitcnt lgkmcnt(0)
	v_add3_u32 v40, v40, v0, v1
	s_delay_alu instid0(VALU_DEP_1) | instskip(NEXT) | instid1(VALU_DEP_1)
	v_add3_u32 v3, v40, v2, v3
	v_mov_b32_dpp v40, v3 row_shr:1 row_mask:0xf bank_mask:0xf
	s_delay_alu instid0(VALU_DEP_1) | instskip(NEXT) | instid1(VALU_DEP_1)
	v_cndmask_b32_e64 v40, v40, 0, s3
	v_add_nc_u32_e32 v3, v40, v3
	s_delay_alu instid0(VALU_DEP_1) | instskip(NEXT) | instid1(VALU_DEP_1)
	v_mov_b32_dpp v40, v3 row_shr:2 row_mask:0xf bank_mask:0xf
	v_cndmask_b32_e64 v40, 0, v40, s4
	s_delay_alu instid0(VALU_DEP_1) | instskip(NEXT) | instid1(VALU_DEP_1)
	v_add_nc_u32_e32 v3, v3, v40
	v_mov_b32_dpp v40, v3 row_shr:4 row_mask:0xf bank_mask:0xf
	s_delay_alu instid0(VALU_DEP_1) | instskip(NEXT) | instid1(VALU_DEP_1)
	v_cndmask_b32_e64 v40, 0, v40, s5
	v_add_nc_u32_e32 v3, v3, v40
	s_delay_alu instid0(VALU_DEP_1) | instskip(NEXT) | instid1(VALU_DEP_1)
	v_mov_b32_dpp v40, v3 row_shr:8 row_mask:0xf bank_mask:0xf
	v_cndmask_b32_e64 v40, 0, v40, s6
	s_delay_alu instid0(VALU_DEP_1) | instskip(SKIP_3) | instid1(VALU_DEP_1)
	v_add_nc_u32_e32 v3, v3, v40
	ds_swizzle_b32 v40, v3 offset:swizzle(BROADCAST,32,15)
	s_waitcnt lgkmcnt(0)
	v_cndmask_b32_e64 v40, v40, 0, s7
	v_add_nc_u32_e32 v3, v3, v40
	s_and_saveexec_b32 s16, s8
	s_cbranch_execz .LBB212_14
; %bb.13:                               ;   in Loop: Header=BB212_4 Depth=2
	ds_store_b32 v21, v3
.LBB212_14:                             ;   in Loop: Header=BB212_4 Depth=2
	s_or_b32 exec_lo, exec_lo, s16
	s_waitcnt lgkmcnt(0)
	s_barrier
	buffer_gl0_inv
	s_and_saveexec_b32 s16, s9
	s_cbranch_execz .LBB212_16
; %bb.15:                               ;   in Loop: Header=BB212_4 Depth=2
	v_add_nc_u32_e32 v40, v15, v22
	ds_load_b32 v41, v40
	s_waitcnt lgkmcnt(0)
	v_mov_b32_dpp v42, v41 row_shr:1 row_mask:0xf bank_mask:0xf
	s_delay_alu instid0(VALU_DEP_1) | instskip(NEXT) | instid1(VALU_DEP_1)
	v_cndmask_b32_e64 v42, v42, 0, s13
	v_add_nc_u32_e32 v41, v42, v41
	s_delay_alu instid0(VALU_DEP_1) | instskip(NEXT) | instid1(VALU_DEP_1)
	v_mov_b32_dpp v42, v41 row_shr:2 row_mask:0xf bank_mask:0xf
	v_cndmask_b32_e64 v42, 0, v42, s14
	s_delay_alu instid0(VALU_DEP_1) | instskip(NEXT) | instid1(VALU_DEP_1)
	v_add_nc_u32_e32 v41, v41, v42
	v_mov_b32_dpp v42, v41 row_shr:4 row_mask:0xf bank_mask:0xf
	s_delay_alu instid0(VALU_DEP_1) | instskip(NEXT) | instid1(VALU_DEP_1)
	v_cndmask_b32_e64 v42, 0, v42, s15
	v_add_nc_u32_e32 v41, v41, v42
	ds_store_b32 v40, v41
.LBB212_16:                             ;   in Loop: Header=BB212_4 Depth=2
	s_or_b32 exec_lo, exec_lo, s16
	v_mov_b32_e32 v40, 0
	s_waitcnt lgkmcnt(0)
	s_barrier
	buffer_gl0_inv
	s_and_saveexec_b32 s16, s10
	s_cbranch_execz .LBB212_18
; %bb.17:                               ;   in Loop: Header=BB212_4 Depth=2
	ds_load_b32 v40, v23
.LBB212_18:                             ;   in Loop: Header=BB212_4 Depth=2
	s_or_b32 exec_lo, exec_lo, s16
	s_waitcnt lgkmcnt(0)
	v_add_nc_u32_e32 v3, v40, v3
	s_cmp_gt_u32 s17, 23
	ds_bpermute_b32 v3, v20, v3
	s_waitcnt lgkmcnt(0)
	v_cndmask_b32_e64 v3, v3, v40, s11
	s_delay_alu instid0(VALU_DEP_1) | instskip(NEXT) | instid1(VALU_DEP_1)
	v_cndmask_b32_e64 v3, v3, 0, s12
	v_add_nc_u32_e32 v4, v3, v4
	s_delay_alu instid0(VALU_DEP_1) | instskip(NEXT) | instid1(VALU_DEP_1)
	v_add_nc_u32_e32 v5, v4, v5
	v_add_nc_u32_e32 v6, v5, v6
	s_delay_alu instid0(VALU_DEP_1) | instskip(NEXT) | instid1(VALU_DEP_1)
	v_add_nc_u32_e32 v40, v6, v7
	;; [unrolled: 3-line block ×3, first 2 shown]
	v_add_nc_u32_e32 v1, v0, v2
	ds_store_2addr_b64 v15, v[3:4], v[5:6] offset0:3 offset1:4
	ds_store_2addr_b64 v18, v[40:41], v[0:1] offset0:2 offset1:3
	s_waitcnt lgkmcnt(0)
	s_barrier
	buffer_gl0_inv
	ds_load_b32 v0, v30
	ds_load_b32 v1, v33
	;; [unrolled: 1-line block ×4, first 2 shown]
	s_waitcnt lgkmcnt(3)
	v_add_nc_u32_e32 v7, v0, v29
	s_waitcnt lgkmcnt(2)
	v_add3_u32 v6, v32, v31, v1
	s_waitcnt lgkmcnt(1)
	v_add3_u32 v5, v35, v34, v2
	;; [unrolled: 2-line block ×3, first 2 shown]
	s_cbranch_scc0 .LBB212_3
; %bb.19:                               ;   in Loop: Header=BB212_2 Depth=1
                                        ; implicit-def: $vgpr3
                                        ; implicit-def: $vgpr1
                                        ; implicit-def: $sgpr17
	s_branch .LBB212_1
.LBB212_20:
	s_add_u32 s0, s18, s22
	s_addc_u32 s1, s19, s23
	s_clause 0x3
	global_store_b32 v12, v1, s[0:1]
	global_store_b32 v12, v2, s[0:1] offset:768
	global_store_b32 v12, v3, s[0:1] offset:1536
	;; [unrolled: 1-line block ×3, first 2 shown]
	s_nop 0
	s_sendmsg sendmsg(MSG_DEALLOC_VGPRS)
	s_endpgm
	.section	.rodata,"a",@progbits
	.p2align	6, 0x0
	.amdhsa_kernel _Z16sort_keys_kernelI22helper_blocked_stripediLj192ELj4ELj10EEvPKT0_PS1_
		.amdhsa_group_segment_fixed_size 6176
		.amdhsa_private_segment_fixed_size 0
		.amdhsa_kernarg_size 272
		.amdhsa_user_sgpr_count 15
		.amdhsa_user_sgpr_dispatch_ptr 0
		.amdhsa_user_sgpr_queue_ptr 0
		.amdhsa_user_sgpr_kernarg_segment_ptr 1
		.amdhsa_user_sgpr_dispatch_id 0
		.amdhsa_user_sgpr_private_segment_size 0
		.amdhsa_wavefront_size32 1
		.amdhsa_uses_dynamic_stack 0
		.amdhsa_enable_private_segment 0
		.amdhsa_system_sgpr_workgroup_id_x 1
		.amdhsa_system_sgpr_workgroup_id_y 0
		.amdhsa_system_sgpr_workgroup_id_z 0
		.amdhsa_system_sgpr_workgroup_info 0
		.amdhsa_system_vgpr_workitem_id 2
		.amdhsa_next_free_vgpr 43
		.amdhsa_next_free_sgpr 24
		.amdhsa_reserve_vcc 1
		.amdhsa_float_round_mode_32 0
		.amdhsa_float_round_mode_16_64 0
		.amdhsa_float_denorm_mode_32 3
		.amdhsa_float_denorm_mode_16_64 3
		.amdhsa_dx10_clamp 1
		.amdhsa_ieee_mode 1
		.amdhsa_fp16_overflow 0
		.amdhsa_workgroup_processor_mode 1
		.amdhsa_memory_ordered 1
		.amdhsa_forward_progress 0
		.amdhsa_shared_vgpr_count 0
		.amdhsa_exception_fp_ieee_invalid_op 0
		.amdhsa_exception_fp_denorm_src 0
		.amdhsa_exception_fp_ieee_div_zero 0
		.amdhsa_exception_fp_ieee_overflow 0
		.amdhsa_exception_fp_ieee_underflow 0
		.amdhsa_exception_fp_ieee_inexact 0
		.amdhsa_exception_int_div_zero 0
	.end_amdhsa_kernel
	.section	.text._Z16sort_keys_kernelI22helper_blocked_stripediLj192ELj4ELj10EEvPKT0_PS1_,"axG",@progbits,_Z16sort_keys_kernelI22helper_blocked_stripediLj192ELj4ELj10EEvPKT0_PS1_,comdat
.Lfunc_end212:
	.size	_Z16sort_keys_kernelI22helper_blocked_stripediLj192ELj4ELj10EEvPKT0_PS1_, .Lfunc_end212-_Z16sort_keys_kernelI22helper_blocked_stripediLj192ELj4ELj10EEvPKT0_PS1_
                                        ; -- End function
	.section	.AMDGPU.csdata,"",@progbits
; Kernel info:
; codeLenInByte = 2984
; NumSgprs: 26
; NumVgprs: 43
; ScratchSize: 0
; MemoryBound: 0
; FloatMode: 240
; IeeeMode: 1
; LDSByteSize: 6176 bytes/workgroup (compile time only)
; SGPRBlocks: 3
; VGPRBlocks: 5
; NumSGPRsForWavesPerEU: 26
; NumVGPRsForWavesPerEU: 43
; Occupancy: 15
; WaveLimiterHint : 1
; COMPUTE_PGM_RSRC2:SCRATCH_EN: 0
; COMPUTE_PGM_RSRC2:USER_SGPR: 15
; COMPUTE_PGM_RSRC2:TRAP_HANDLER: 0
; COMPUTE_PGM_RSRC2:TGID_X_EN: 1
; COMPUTE_PGM_RSRC2:TGID_Y_EN: 0
; COMPUTE_PGM_RSRC2:TGID_Z_EN: 0
; COMPUTE_PGM_RSRC2:TIDIG_COMP_CNT: 2
	.section	.text._Z17sort_pairs_kernelI22helper_blocked_stripediLj192ELj4ELj10EEvPKT0_PS1_,"axG",@progbits,_Z17sort_pairs_kernelI22helper_blocked_stripediLj192ELj4ELj10EEvPKT0_PS1_,comdat
	.protected	_Z17sort_pairs_kernelI22helper_blocked_stripediLj192ELj4ELj10EEvPKT0_PS1_ ; -- Begin function _Z17sort_pairs_kernelI22helper_blocked_stripediLj192ELj4ELj10EEvPKT0_PS1_
	.globl	_Z17sort_pairs_kernelI22helper_blocked_stripediLj192ELj4ELj10EEvPKT0_PS1_
	.p2align	8
	.type	_Z17sort_pairs_kernelI22helper_blocked_stripediLj192ELj4ELj10EEvPKT0_PS1_,@function
_Z17sort_pairs_kernelI22helper_blocked_stripediLj192ELj4ELj10EEvPKT0_PS1_: ; @_Z17sort_pairs_kernelI22helper_blocked_stripediLj192ELj4ELj10EEvPKT0_PS1_
; %bb.0:
	s_load_b128 s[16:19], s[0:1], 0x0
	s_mov_b32 s23, 0
	s_mul_i32 s22, s15, 0x300
	s_load_b32 s15, s[0:1], 0x1c
	s_lshl_b64 s[20:21], s[22:23], 2
	s_mov_b32 s22, s23
	s_delay_alu instid0(SALU_CYCLE_1)
	v_dual_mov_b32 v8, s22 :: v_dual_and_b32 v5, 0x3ff, v0
	v_mbcnt_lo_u32_b32 v10, -1, 0
	v_bfe_u32 v7, v0, 10, 10
	v_bfe_u32 v0, v0, 20, 10
	v_mov_b32_e32 v9, s23
	v_lshlrev_b32_e32 v19, 5, v5
	v_add_nc_u32_e32 v13, -1, v10
	v_and_b32_e32 v6, 3, v10
	v_and_b32_e32 v11, 15, v10
	;; [unrolled: 1-line block ×4, first 2 shown]
	v_cmp_gt_i32_e32 vcc_lo, 0, v13
	v_lshlrev_b32_e32 v14, 2, v5
	s_waitcnt lgkmcnt(0)
	s_add_u32 s0, s16, s20
	s_addc_u32 s1, s17, s21
	s_mov_b32 s16, s23
	s_mov_b32 s17, s23
	v_lshlrev_b32_e32 v1, 4, v5
	s_lshr_b32 s22, s15, 16
	v_cmp_eq_u32_e64 s2, 2, v6
	v_cmp_eq_u32_e64 s3, 1, v6
	;; [unrolled: 1-line block ×3, first 2 shown]
	global_load_b128 v[1:4], v1, s[0:1]
	v_cmp_eq_u32_e64 s1, 3, v6
	v_cmp_lt_u32_e64 s5, 1, v11
	v_cmp_lt_u32_e64 s6, 3, v11
	v_cmp_lt_u32_e64 s7, 7, v11
	v_dual_cndmask_b32 v11, v13, v10 :: v_dual_and_b32 v6, 0xe0, v5
	v_mad_u32_u24 v0, v0, s22, v7
	v_and_b32_e32 v12, 16, v10
	s_and_b32 s15, s15, 0xffff
	v_cmp_eq_u32_e64 s0, 0, v10
	v_min_u32_e32 v13, 0xa0, v6
	v_mad_u64_u32 v[6:7], null, v0, s15, v[5:6]
	v_and_or_b32 v0, 0x380, v14, v10
	v_dual_mov_b32 v10, s16 :: v_dual_lshlrev_b32 v23, 2, v11
	v_mov_b32_e32 v11, s17
	v_cmp_eq_u32_e64 s8, 0, v12
	v_lshrrev_b32_e32 v12, 3, v5
	v_cmp_eq_u32_e64 s12, 0, v21
	v_cmp_lt_u32_e64 s13, 1, v21
	v_cmp_lt_u32_e64 s14, 3, v21
	v_or_b32_e32 v7, 31, v13
	v_and_b32_e32 v21, 28, v12
	v_or_b32_e32 v16, 32, v15
	v_or_b32_e32 v17, 64, v15
	;; [unrolled: 1-line block ×3, first 2 shown]
	v_cmp_gt_u32_e64 s9, 6, v5
	v_cmp_lt_u32_e64 s10, 31, v5
	v_cmp_eq_u32_e64 s11, 0, v5
	v_mul_i32_i24_e32 v20, 0xffffffe4, v5
	v_or_b32_e32 v22, 24, v19
	v_add_nc_u32_e32 v24, -4, v21
	v_lshlrev_b32_e32 v25, 2, v0
	v_cmp_eq_u32_e64 s15, v7, v5
	v_lshrrev_b32_e32 v26, 5, v6
	s_waitcnt vmcnt(0)
	v_add_nc_u32_e32 v12, 1, v1
	v_add_nc_u32_e32 v13, 1, v2
	;; [unrolled: 1-line block ×4, first 2 shown]
	s_branch .LBB213_2
.LBB213_1:                              ;   in Loop: Header=BB213_2 Depth=1
	v_lshlrev_b32_e32 v0, 2, v37
	v_lshlrev_b32_e32 v5, 2, v35
	;; [unrolled: 1-line block ×3, first 2 shown]
	s_barrier
	buffer_gl0_inv
	v_lshlrev_b32_e32 v7, 2, v33
	ds_store_b32 v0, v12
	ds_store_b32 v5, v32
	;; [unrolled: 1-line block ×3, first 2 shown]
	v_add_nc_u32_e32 v31, v19, v20
	s_add_i32 s23, s23, 1
	ds_store_b32 v7, v30
	s_waitcnt lgkmcnt(0)
	s_barrier
	buffer_gl0_inv
	ds_load_2addr_stride64_b32 v[1:2], v31 offset1:3
	ds_load_2addr_stride64_b32 v[3:4], v31 offset0:6 offset1:9
	s_waitcnt lgkmcnt(0)
	s_barrier
	buffer_gl0_inv
	ds_store_b32 v0, v29
	ds_store_b32 v5, v28
	;; [unrolled: 1-line block ×4, first 2 shown]
	s_waitcnt lgkmcnt(0)
	s_barrier
	buffer_gl0_inv
	ds_load_2addr_stride64_b32 v[12:13], v31 offset1:3
	ds_load_2addr_stride64_b32 v[5:6], v31 offset0:6 offset1:9
	s_cmp_eq_u32 s23, 10
	v_xor_b32_e32 v1, 0x80000000, v1
	v_xor_b32_e32 v2, 0x80000000, v2
	;; [unrolled: 1-line block ×4, first 2 shown]
	s_cbranch_scc1 .LBB213_20
.LBB213_2:                              ; =>This Loop Header: Depth=1
                                        ;     Child Loop BB213_4 Depth 2
	v_xor_b32_e32 v0, 0x80000000, v1
	v_xor_b32_e32 v1, 0x80000000, v2
	;; [unrolled: 1-line block ×4, first 2 shown]
	s_waitcnt lgkmcnt(1)
	ds_bpermute_b32 v34, v15, v12
	ds_bpermute_b32 v3, v15, v0
	;; [unrolled: 1-line block ×20, first 2 shown]
	s_waitcnt lgkmcnt(20)
	ds_bpermute_b32 v43, v17, v6
	ds_bpermute_b32 v44, v18, v6
	s_waitcnt lgkmcnt(19)
	v_cndmask_b32_e64 v3, v3, v7, s3
	s_mov_b32 s17, 0
	s_waitcnt lgkmcnt(17)
	v_cndmask_b32_e64 v7, v27, v28, s3
	ds_bpermute_b32 v28, v18, v0
	s_waitcnt lgkmcnt(16)
	v_cndmask_b32_e64 v27, v29, v30, s3
	ds_bpermute_b32 v29, v18, v1
	s_waitcnt lgkmcnt(15)
	v_cndmask_b32_e64 v0, v3, v31, s2
	v_cndmask_b32_e64 v1, v7, v32, s2
	ds_bpermute_b32 v7, v18, v13
	s_waitcnt lgkmcnt(15)
	v_cndmask_b32_e64 v3, v27, v33, s2
	ds_bpermute_b32 v13, v18, v2
	ds_bpermute_b32 v27, v15, v5
	;; [unrolled: 1-line block ×7, first 2 shown]
	s_waitcnt lgkmcnt(15)
	v_cndmask_b32_e64 v2, v3, v42, s1
	v_cndmask_b32_e64 v6, v34, v35, s3
	s_waitcnt lgkmcnt(14)
	v_cndmask_b32_e64 v0, v0, v40, s1
	s_waitcnt lgkmcnt(13)
	;; [unrolled: 2-line block ×3, first 2 shown]
	s_barrier
	v_cndmask_b32_e64 v3, v28, v29, s3
	v_cndmask_b32_e64 v28, v36, v37, s3
	;; [unrolled: 1-line block ×4, first 2 shown]
	s_delay_alu instid0(VALU_DEP_4)
	v_cndmask_b32_e64 v3, v3, v13, s2
	v_cndmask_b32_e64 v6, v6, v27, s2
	v_cndmask_b32_e64 v12, v28, v30, s2
	v_cndmask_b32_e64 v13, v29, v31, s2
	v_cndmask_b32_e64 v7, v7, v5, s2
	v_cndmask_b32_e64 v3, v3, v4, s1
	v_cndmask_b32_e64 v4, v6, v32, s1
	v_cndmask_b32_e64 v5, v12, v33, s1
	v_cndmask_b32_e64 v6, v13, v43, s1
	v_cndmask_b32_e64 v7, v7, v44, s1
	s_branch .LBB213_4
.LBB213_3:                              ;   in Loop: Header=BB213_4 Depth=2
	v_lshlrev_b32_e32 v4, 2, v37
	v_lshlrev_b32_e32 v5, 2, v35
	;; [unrolled: 1-line block ×4, first 2 shown]
	s_barrier
	buffer_gl0_inv
	ds_store_b32 v4, v12
	ds_store_b32 v5, v32
	;; [unrolled: 1-line block ×4, first 2 shown]
	s_waitcnt lgkmcnt(0)
	s_barrier
	buffer_gl0_inv
	ds_load_2addr_b32 v[0:1], v25 offset1:32
	ds_load_2addr_b32 v[2:3], v25 offset0:64 offset1:96
	s_waitcnt lgkmcnt(0)
	s_barrier
	buffer_gl0_inv
	ds_store_b32 v4, v29
	ds_store_b32 v5, v28
	;; [unrolled: 1-line block ×4, first 2 shown]
	s_waitcnt lgkmcnt(0)
	s_barrier
	buffer_gl0_inv
	ds_load_2addr_b32 v[4:5], v25 offset1:32
	ds_load_2addr_b32 v[6:7], v25 offset0:64 offset1:96
	s_add_i32 s17, s17, 8
	s_waitcnt lgkmcnt(0)
	s_barrier
	s_cbranch_execz .LBB213_1
.LBB213_4:                              ;   Parent Loop BB213_2 Depth=1
                                        ; =>  This Inner Loop Header: Depth=2
	v_mov_b32_e32 v12, v0
	buffer_gl0_inv
	ds_store_2addr_b64 v19, v[8:9], v[10:11] offset0:3 offset1:4
	ds_store_2addr_b64 v22, v[8:9], v[10:11] offset0:2 offset1:3
	s_waitcnt lgkmcnt(0)
	s_barrier
	v_lshrrev_b32_e32 v13, s17, v12
	buffer_gl0_inv
	; wave barrier
	v_lshlrev_b32_e32 v29, 29, v13
	v_bfe_u32 v0, v12, s17, 1
	v_lshlrev_b32_e32 v28, 30, v13
	v_lshlrev_b32_e32 v30, 28, v13
	v_lshlrev_b32_e32 v31, 27, v13
	v_lshlrev_b32_e32 v32, 26, v13
	v_add_co_u32 v0, s16, v0, -1
	s_delay_alu instid0(VALU_DEP_1) | instskip(SKIP_3) | instid1(VALU_DEP_4)
	v_cndmask_b32_e64 v27, 0, 1, s16
	v_cmp_gt_i32_e64 s16, 0, v28
	v_lshlrev_b32_e32 v33, 25, v13
	v_lshlrev_b32_e32 v13, 24, v13
	v_cmp_ne_u32_e32 vcc_lo, 0, v27
	v_not_b32_e32 v27, v28
	v_not_b32_e32 v28, v29
	v_xor_b32_e32 v0, vcc_lo, v0
	s_delay_alu instid0(VALU_DEP_3)
	v_ashrrev_i32_e32 v27, 31, v27
	v_cmp_gt_i32_e32 vcc_lo, 0, v29
	v_not_b32_e32 v29, v30
	v_ashrrev_i32_e32 v28, 31, v28
	v_and_b32_e32 v0, exec_lo, v0
	v_xor_b32_e32 v27, s16, v27
	v_cmp_gt_i32_e64 s16, 0, v30
	v_not_b32_e32 v30, v31
	v_ashrrev_i32_e32 v29, 31, v29
	v_xor_b32_e32 v28, vcc_lo, v28
	v_and_b32_e32 v0, v0, v27
	v_cmp_gt_i32_e32 vcc_lo, 0, v31
	v_not_b32_e32 v27, v32
	v_ashrrev_i32_e32 v30, 31, v30
	v_xor_b32_e32 v29, s16, v29
	v_and_b32_e32 v0, v0, v28
	v_cmp_gt_i32_e64 s16, 0, v32
	v_ashrrev_i32_e32 v27, 31, v27
	v_xor_b32_e32 v30, vcc_lo, v30
	v_mov_b32_e32 v32, v1
	v_not_b32_e32 v28, v33
	v_and_b32_e32 v0, v0, v29
	v_cmp_gt_i32_e32 vcc_lo, 0, v33
	v_xor_b32_e32 v27, s16, v27
	v_bfe_u32 v1, v12, s17, 8
	v_ashrrev_i32_e32 v28, 31, v28
	v_and_b32_e32 v0, v0, v30
	v_dual_mov_b32 v30, v3 :: v_dual_mov_b32 v31, v2
	s_delay_alu instid0(VALU_DEP_4) | instskip(NEXT) | instid1(VALU_DEP_4)
	v_mad_u32_u24 v1, v1, 6, v26
	v_xor_b32_e32 v28, vcc_lo, v28
	s_delay_alu instid0(VALU_DEP_4) | instskip(NEXT) | instid1(VALU_DEP_3)
	v_dual_mov_b32 v27, v6 :: v_dual_and_b32 v0, v0, v27
	v_lshl_add_u32 v34, v1, 2, 24
	s_delay_alu instid0(VALU_DEP_2) | instskip(SKIP_3) | instid1(VALU_DEP_2)
	v_and_b32_e32 v0, v0, v28
	v_mov_b32_e32 v28, v5
	v_not_b32_e32 v29, v13
	v_cmp_gt_i32_e64 s16, 0, v13
	v_ashrrev_i32_e32 v13, 31, v29
	v_mov_b32_e32 v29, v4
	s_delay_alu instid0(VALU_DEP_2) | instskip(NEXT) | instid1(VALU_DEP_1)
	v_xor_b32_e32 v3, s16, v13
	v_dual_mov_b32 v13, v7 :: v_dual_and_b32 v0, v0, v3
	s_delay_alu instid0(VALU_DEP_1) | instskip(SKIP_1) | instid1(VALU_DEP_2)
	v_mbcnt_lo_u32_b32 v33, v0, 0
	v_cmp_ne_u32_e64 s16, 0, v0
	v_cmp_eq_u32_e32 vcc_lo, 0, v33
	s_delay_alu instid0(VALU_DEP_2) | instskip(NEXT) | instid1(SALU_CYCLE_1)
	s_and_b32 s22, s16, vcc_lo
	s_and_saveexec_b32 s16, s22
	s_cbranch_execz .LBB213_6
; %bb.5:                                ;   in Loop: Header=BB213_4 Depth=2
	v_bcnt_u32_b32 v0, v0, 0
	ds_store_b32 v34, v0
.LBB213_6:                              ;   in Loop: Header=BB213_4 Depth=2
	s_or_b32 exec_lo, exec_lo, s16
	v_bfe_u32 v0, v32, s17, 1
	v_lshrrev_b32_e32 v1, s17, v32
	; wave barrier
	s_delay_alu instid0(VALU_DEP_2) | instskip(NEXT) | instid1(VALU_DEP_1)
	v_add_co_u32 v0, s16, v0, -1
	v_cndmask_b32_e64 v2, 0, 1, s16
	s_delay_alu instid0(VALU_DEP_3)
	v_lshlrev_b32_e32 v3, 30, v1
	v_lshlrev_b32_e32 v4, 29, v1
	;; [unrolled: 1-line block ×4, first 2 shown]
	v_cmp_ne_u32_e32 vcc_lo, 0, v2
	v_not_b32_e32 v2, v3
	v_cmp_gt_i32_e64 s16, 0, v3
	v_not_b32_e32 v3, v4
	v_lshlrev_b32_e32 v7, 26, v1
	v_xor_b32_e32 v0, vcc_lo, v0
	v_ashrrev_i32_e32 v2, 31, v2
	v_cmp_gt_i32_e32 vcc_lo, 0, v4
	v_not_b32_e32 v4, v5
	v_ashrrev_i32_e32 v3, 31, v3
	v_and_b32_e32 v0, exec_lo, v0
	v_xor_b32_e32 v2, s16, v2
	v_cmp_gt_i32_e64 s16, 0, v5
	v_not_b32_e32 v5, v6
	v_ashrrev_i32_e32 v4, 31, v4
	v_xor_b32_e32 v3, vcc_lo, v3
	v_and_b32_e32 v0, v0, v2
	v_cmp_gt_i32_e32 vcc_lo, 0, v6
	v_not_b32_e32 v2, v7
	v_ashrrev_i32_e32 v5, 31, v5
	v_xor_b32_e32 v4, s16, v4
	v_and_b32_e32 v0, v0, v3
	v_lshlrev_b32_e32 v3, 25, v1
	v_cmp_gt_i32_e64 s16, 0, v7
	v_ashrrev_i32_e32 v2, 31, v2
	v_xor_b32_e32 v5, vcc_lo, v5
	v_and_b32_e32 v0, v0, v4
	v_not_b32_e32 v6, v3
	v_lshlrev_b32_e32 v1, 24, v1
	v_bfe_u32 v4, v32, s17, 8
	v_xor_b32_e32 v2, s16, v2
	v_and_b32_e32 v0, v0, v5
	v_cmp_gt_i32_e32 vcc_lo, 0, v3
	v_ashrrev_i32_e32 v3, 31, v6
	v_not_b32_e32 v5, v1
	v_mul_u32_u24_e32 v4, 6, v4
	v_and_b32_e32 v0, v0, v2
	s_delay_alu instid0(VALU_DEP_4) | instskip(SKIP_3) | instid1(VALU_DEP_4)
	v_xor_b32_e32 v2, vcc_lo, v3
	v_cmp_gt_i32_e32 vcc_lo, 0, v1
	v_ashrrev_i32_e32 v1, 31, v5
	v_add_lshl_u32 v3, v4, v26, 2
	v_and_b32_e32 v0, v0, v2
	s_delay_alu instid0(VALU_DEP_3) | instskip(SKIP_3) | instid1(VALU_DEP_1)
	v_xor_b32_e32 v1, vcc_lo, v1
	ds_load_b32 v35, v3 offset:24
	v_add_nc_u32_e32 v37, 24, v3
	; wave barrier
	v_and_b32_e32 v0, v0, v1
	v_mbcnt_lo_u32_b32 v36, v0, 0
	v_cmp_ne_u32_e64 s16, 0, v0
	s_delay_alu instid0(VALU_DEP_2) | instskip(NEXT) | instid1(VALU_DEP_2)
	v_cmp_eq_u32_e32 vcc_lo, 0, v36
	s_and_b32 s22, s16, vcc_lo
	s_delay_alu instid0(SALU_CYCLE_1)
	s_and_saveexec_b32 s16, s22
	s_cbranch_execz .LBB213_8
; %bb.7:                                ;   in Loop: Header=BB213_4 Depth=2
	s_waitcnt lgkmcnt(0)
	v_bcnt_u32_b32 v0, v0, v35
	ds_store_b32 v37, v0
.LBB213_8:                              ;   in Loop: Header=BB213_4 Depth=2
	s_or_b32 exec_lo, exec_lo, s16
	v_bfe_u32 v0, v31, s17, 1
	v_lshrrev_b32_e32 v1, s17, v31
	; wave barrier
	s_delay_alu instid0(VALU_DEP_2) | instskip(NEXT) | instid1(VALU_DEP_1)
	v_add_co_u32 v0, s16, v0, -1
	v_cndmask_b32_e64 v2, 0, 1, s16
	s_delay_alu instid0(VALU_DEP_3)
	v_lshlrev_b32_e32 v3, 30, v1
	v_lshlrev_b32_e32 v4, 29, v1
	;; [unrolled: 1-line block ×4, first 2 shown]
	v_cmp_ne_u32_e32 vcc_lo, 0, v2
	v_not_b32_e32 v2, v3
	v_cmp_gt_i32_e64 s16, 0, v3
	v_not_b32_e32 v3, v4
	v_lshlrev_b32_e32 v7, 26, v1
	v_xor_b32_e32 v0, vcc_lo, v0
	v_ashrrev_i32_e32 v2, 31, v2
	v_cmp_gt_i32_e32 vcc_lo, 0, v4
	v_not_b32_e32 v4, v5
	v_ashrrev_i32_e32 v3, 31, v3
	v_and_b32_e32 v0, exec_lo, v0
	v_xor_b32_e32 v2, s16, v2
	v_cmp_gt_i32_e64 s16, 0, v5
	v_not_b32_e32 v5, v6
	v_ashrrev_i32_e32 v4, 31, v4
	v_xor_b32_e32 v3, vcc_lo, v3
	v_and_b32_e32 v0, v0, v2
	v_cmp_gt_i32_e32 vcc_lo, 0, v6
	v_not_b32_e32 v2, v7
	v_ashrrev_i32_e32 v5, 31, v5
	v_xor_b32_e32 v4, s16, v4
	v_and_b32_e32 v0, v0, v3
	v_lshlrev_b32_e32 v3, 25, v1
	v_cmp_gt_i32_e64 s16, 0, v7
	v_ashrrev_i32_e32 v2, 31, v2
	v_xor_b32_e32 v5, vcc_lo, v5
	v_and_b32_e32 v0, v0, v4
	v_not_b32_e32 v6, v3
	v_lshlrev_b32_e32 v1, 24, v1
	v_bfe_u32 v4, v31, s17, 8
	v_xor_b32_e32 v2, s16, v2
	v_and_b32_e32 v0, v0, v5
	v_cmp_gt_i32_e32 vcc_lo, 0, v3
	v_ashrrev_i32_e32 v3, 31, v6
	v_not_b32_e32 v5, v1
	v_mul_u32_u24_e32 v4, 6, v4
	v_and_b32_e32 v0, v0, v2
	s_delay_alu instid0(VALU_DEP_4) | instskip(SKIP_3) | instid1(VALU_DEP_4)
	v_xor_b32_e32 v2, vcc_lo, v3
	v_cmp_gt_i32_e32 vcc_lo, 0, v1
	v_ashrrev_i32_e32 v1, 31, v5
	v_add_lshl_u32 v3, v4, v26, 2
	v_and_b32_e32 v0, v0, v2
	s_delay_alu instid0(VALU_DEP_3) | instskip(SKIP_3) | instid1(VALU_DEP_1)
	v_xor_b32_e32 v1, vcc_lo, v1
	ds_load_b32 v38, v3 offset:24
	v_add_nc_u32_e32 v40, 24, v3
	; wave barrier
	v_and_b32_e32 v0, v0, v1
	v_mbcnt_lo_u32_b32 v39, v0, 0
	v_cmp_ne_u32_e64 s16, 0, v0
	s_delay_alu instid0(VALU_DEP_2) | instskip(NEXT) | instid1(VALU_DEP_2)
	v_cmp_eq_u32_e32 vcc_lo, 0, v39
	s_and_b32 s22, s16, vcc_lo
	s_delay_alu instid0(SALU_CYCLE_1)
	s_and_saveexec_b32 s16, s22
	s_cbranch_execz .LBB213_10
; %bb.9:                                ;   in Loop: Header=BB213_4 Depth=2
	s_waitcnt lgkmcnt(0)
	v_bcnt_u32_b32 v0, v0, v38
	ds_store_b32 v40, v0
.LBB213_10:                             ;   in Loop: Header=BB213_4 Depth=2
	s_or_b32 exec_lo, exec_lo, s16
	v_bfe_u32 v0, v30, s17, 1
	v_lshrrev_b32_e32 v1, s17, v30
	; wave barrier
	s_delay_alu instid0(VALU_DEP_2) | instskip(NEXT) | instid1(VALU_DEP_1)
	v_add_co_u32 v0, s16, v0, -1
	v_cndmask_b32_e64 v2, 0, 1, s16
	s_delay_alu instid0(VALU_DEP_3)
	v_lshlrev_b32_e32 v3, 30, v1
	v_lshlrev_b32_e32 v4, 29, v1
	;; [unrolled: 1-line block ×4, first 2 shown]
	v_cmp_ne_u32_e32 vcc_lo, 0, v2
	v_not_b32_e32 v2, v3
	v_cmp_gt_i32_e64 s16, 0, v3
	v_not_b32_e32 v3, v4
	v_lshlrev_b32_e32 v7, 26, v1
	v_xor_b32_e32 v0, vcc_lo, v0
	v_ashrrev_i32_e32 v2, 31, v2
	v_cmp_gt_i32_e32 vcc_lo, 0, v4
	v_not_b32_e32 v4, v5
	v_ashrrev_i32_e32 v3, 31, v3
	v_and_b32_e32 v0, exec_lo, v0
	v_xor_b32_e32 v2, s16, v2
	v_cmp_gt_i32_e64 s16, 0, v5
	v_not_b32_e32 v5, v6
	v_ashrrev_i32_e32 v4, 31, v4
	v_xor_b32_e32 v3, vcc_lo, v3
	v_and_b32_e32 v0, v0, v2
	v_cmp_gt_i32_e32 vcc_lo, 0, v6
	v_not_b32_e32 v2, v7
	v_ashrrev_i32_e32 v5, 31, v5
	v_xor_b32_e32 v4, s16, v4
	v_and_b32_e32 v0, v0, v3
	v_lshlrev_b32_e32 v3, 25, v1
	v_cmp_gt_i32_e64 s16, 0, v7
	v_ashrrev_i32_e32 v2, 31, v2
	v_xor_b32_e32 v5, vcc_lo, v5
	v_and_b32_e32 v0, v0, v4
	v_not_b32_e32 v6, v3
	v_lshlrev_b32_e32 v1, 24, v1
	v_bfe_u32 v4, v30, s17, 8
	v_xor_b32_e32 v2, s16, v2
	v_and_b32_e32 v0, v0, v5
	v_cmp_gt_i32_e32 vcc_lo, 0, v3
	v_ashrrev_i32_e32 v3, 31, v6
	v_not_b32_e32 v5, v1
	v_mul_u32_u24_e32 v4, 6, v4
	v_and_b32_e32 v0, v0, v2
	s_delay_alu instid0(VALU_DEP_4) | instskip(SKIP_3) | instid1(VALU_DEP_4)
	v_xor_b32_e32 v2, vcc_lo, v3
	v_cmp_gt_i32_e32 vcc_lo, 0, v1
	v_ashrrev_i32_e32 v1, 31, v5
	v_add_lshl_u32 v3, v4, v26, 2
	v_and_b32_e32 v0, v0, v2
	s_delay_alu instid0(VALU_DEP_3) | instskip(SKIP_3) | instid1(VALU_DEP_1)
	v_xor_b32_e32 v1, vcc_lo, v1
	ds_load_b32 v41, v3 offset:24
	v_add_nc_u32_e32 v43, 24, v3
	; wave barrier
	v_and_b32_e32 v0, v0, v1
	v_mbcnt_lo_u32_b32 v42, v0, 0
	v_cmp_ne_u32_e64 s16, 0, v0
	s_delay_alu instid0(VALU_DEP_2) | instskip(NEXT) | instid1(VALU_DEP_2)
	v_cmp_eq_u32_e32 vcc_lo, 0, v42
	s_and_b32 s22, s16, vcc_lo
	s_delay_alu instid0(SALU_CYCLE_1)
	s_and_saveexec_b32 s16, s22
	s_cbranch_execz .LBB213_12
; %bb.11:                               ;   in Loop: Header=BB213_4 Depth=2
	s_waitcnt lgkmcnt(0)
	v_bcnt_u32_b32 v0, v0, v41
	ds_store_b32 v43, v0
.LBB213_12:                             ;   in Loop: Header=BB213_4 Depth=2
	s_or_b32 exec_lo, exec_lo, s16
	; wave barrier
	s_waitcnt lgkmcnt(0)
	s_barrier
	buffer_gl0_inv
	ds_load_2addr_b64 v[4:7], v19 offset0:3 offset1:4
	ds_load_2addr_b64 v[0:3], v22 offset0:2 offset1:3
	s_waitcnt lgkmcnt(1)
	v_add_nc_u32_e32 v44, v5, v4
	s_delay_alu instid0(VALU_DEP_1) | instskip(SKIP_1) | instid1(VALU_DEP_1)
	v_add3_u32 v44, v44, v6, v7
	s_waitcnt lgkmcnt(0)
	v_add3_u32 v44, v44, v0, v1
	s_delay_alu instid0(VALU_DEP_1) | instskip(NEXT) | instid1(VALU_DEP_1)
	v_add3_u32 v3, v44, v2, v3
	v_mov_b32_dpp v44, v3 row_shr:1 row_mask:0xf bank_mask:0xf
	s_delay_alu instid0(VALU_DEP_1) | instskip(NEXT) | instid1(VALU_DEP_1)
	v_cndmask_b32_e64 v44, v44, 0, s4
	v_add_nc_u32_e32 v3, v44, v3
	s_delay_alu instid0(VALU_DEP_1) | instskip(NEXT) | instid1(VALU_DEP_1)
	v_mov_b32_dpp v44, v3 row_shr:2 row_mask:0xf bank_mask:0xf
	v_cndmask_b32_e64 v44, 0, v44, s5
	s_delay_alu instid0(VALU_DEP_1) | instskip(NEXT) | instid1(VALU_DEP_1)
	v_add_nc_u32_e32 v3, v3, v44
	v_mov_b32_dpp v44, v3 row_shr:4 row_mask:0xf bank_mask:0xf
	s_delay_alu instid0(VALU_DEP_1) | instskip(NEXT) | instid1(VALU_DEP_1)
	v_cndmask_b32_e64 v44, 0, v44, s6
	v_add_nc_u32_e32 v3, v3, v44
	s_delay_alu instid0(VALU_DEP_1) | instskip(NEXT) | instid1(VALU_DEP_1)
	v_mov_b32_dpp v44, v3 row_shr:8 row_mask:0xf bank_mask:0xf
	v_cndmask_b32_e64 v44, 0, v44, s7
	s_delay_alu instid0(VALU_DEP_1) | instskip(SKIP_3) | instid1(VALU_DEP_1)
	v_add_nc_u32_e32 v3, v3, v44
	ds_swizzle_b32 v44, v3 offset:swizzle(BROADCAST,32,15)
	s_waitcnt lgkmcnt(0)
	v_cndmask_b32_e64 v44, v44, 0, s8
	v_add_nc_u32_e32 v3, v3, v44
	s_and_saveexec_b32 s16, s15
	s_cbranch_execz .LBB213_14
; %bb.13:                               ;   in Loop: Header=BB213_4 Depth=2
	ds_store_b32 v21, v3
.LBB213_14:                             ;   in Loop: Header=BB213_4 Depth=2
	s_or_b32 exec_lo, exec_lo, s16
	s_waitcnt lgkmcnt(0)
	s_barrier
	buffer_gl0_inv
	s_and_saveexec_b32 s16, s9
	s_cbranch_execz .LBB213_16
; %bb.15:                               ;   in Loop: Header=BB213_4 Depth=2
	v_add_nc_u32_e32 v44, v19, v20
	ds_load_b32 v45, v44
	s_waitcnt lgkmcnt(0)
	v_mov_b32_dpp v46, v45 row_shr:1 row_mask:0xf bank_mask:0xf
	s_delay_alu instid0(VALU_DEP_1) | instskip(NEXT) | instid1(VALU_DEP_1)
	v_cndmask_b32_e64 v46, v46, 0, s12
	v_add_nc_u32_e32 v45, v46, v45
	s_delay_alu instid0(VALU_DEP_1) | instskip(NEXT) | instid1(VALU_DEP_1)
	v_mov_b32_dpp v46, v45 row_shr:2 row_mask:0xf bank_mask:0xf
	v_cndmask_b32_e64 v46, 0, v46, s13
	s_delay_alu instid0(VALU_DEP_1) | instskip(NEXT) | instid1(VALU_DEP_1)
	v_add_nc_u32_e32 v45, v45, v46
	v_mov_b32_dpp v46, v45 row_shr:4 row_mask:0xf bank_mask:0xf
	s_delay_alu instid0(VALU_DEP_1) | instskip(NEXT) | instid1(VALU_DEP_1)
	v_cndmask_b32_e64 v46, 0, v46, s14
	v_add_nc_u32_e32 v45, v45, v46
	ds_store_b32 v44, v45
.LBB213_16:                             ;   in Loop: Header=BB213_4 Depth=2
	s_or_b32 exec_lo, exec_lo, s16
	v_mov_b32_e32 v44, 0
	s_waitcnt lgkmcnt(0)
	s_barrier
	buffer_gl0_inv
	s_and_saveexec_b32 s16, s10
	s_cbranch_execz .LBB213_18
; %bb.17:                               ;   in Loop: Header=BB213_4 Depth=2
	ds_load_b32 v44, v24
.LBB213_18:                             ;   in Loop: Header=BB213_4 Depth=2
	s_or_b32 exec_lo, exec_lo, s16
	s_waitcnt lgkmcnt(0)
	v_add_nc_u32_e32 v3, v44, v3
	s_cmp_gt_u32 s17, 23
	ds_bpermute_b32 v3, v23, v3
	s_waitcnt lgkmcnt(0)
	v_cndmask_b32_e64 v3, v3, v44, s0
	s_delay_alu instid0(VALU_DEP_1) | instskip(NEXT) | instid1(VALU_DEP_1)
	v_cndmask_b32_e64 v3, v3, 0, s11
	v_add_nc_u32_e32 v4, v3, v4
	s_delay_alu instid0(VALU_DEP_1) | instskip(NEXT) | instid1(VALU_DEP_1)
	v_add_nc_u32_e32 v5, v4, v5
	v_add_nc_u32_e32 v6, v5, v6
	s_delay_alu instid0(VALU_DEP_1) | instskip(NEXT) | instid1(VALU_DEP_1)
	v_add_nc_u32_e32 v44, v6, v7
	;; [unrolled: 3-line block ×3, first 2 shown]
	v_add_nc_u32_e32 v1, v0, v2
	ds_store_2addr_b64 v19, v[3:4], v[5:6] offset0:3 offset1:4
	ds_store_2addr_b64 v22, v[44:45], v[0:1] offset0:2 offset1:3
	s_waitcnt lgkmcnt(0)
	s_barrier
	buffer_gl0_inv
	ds_load_b32 v0, v34
	ds_load_b32 v1, v37
	;; [unrolled: 1-line block ×4, first 2 shown]
	s_waitcnt lgkmcnt(3)
	v_add_nc_u32_e32 v37, v0, v33
	s_waitcnt lgkmcnt(2)
	v_add3_u32 v35, v36, v35, v1
	s_waitcnt lgkmcnt(1)
	v_add3_u32 v34, v39, v38, v2
	;; [unrolled: 2-line block ×3, first 2 shown]
	s_cbranch_scc0 .LBB213_3
; %bb.19:                               ;   in Loop: Header=BB213_2 Depth=1
                                        ; implicit-def: $vgpr3
                                        ; implicit-def: $vgpr1
                                        ; implicit-def: $vgpr7
                                        ; implicit-def: $vgpr5
                                        ; implicit-def: $sgpr17
	s_branch .LBB213_1
.LBB213_20:
	s_waitcnt lgkmcnt(1)
	v_add_nc_u32_e32 v0, v1, v12
	v_add_nc_u32_e32 v1, v2, v13
	s_waitcnt lgkmcnt(0)
	v_add_nc_u32_e32 v2, v3, v5
	s_add_u32 s0, s18, s20
	v_add_nc_u32_e32 v3, v4, v6
	s_addc_u32 s1, s19, s21
	s_clause 0x3
	global_store_b32 v14, v0, s[0:1]
	global_store_b32 v14, v1, s[0:1] offset:768
	global_store_b32 v14, v2, s[0:1] offset:1536
	;; [unrolled: 1-line block ×3, first 2 shown]
	s_nop 0
	s_sendmsg sendmsg(MSG_DEALLOC_VGPRS)
	s_endpgm
	.section	.rodata,"a",@progbits
	.p2align	6, 0x0
	.amdhsa_kernel _Z17sort_pairs_kernelI22helper_blocked_stripediLj192ELj4ELj10EEvPKT0_PS1_
		.amdhsa_group_segment_fixed_size 6176
		.amdhsa_private_segment_fixed_size 0
		.amdhsa_kernarg_size 272
		.amdhsa_user_sgpr_count 15
		.amdhsa_user_sgpr_dispatch_ptr 0
		.amdhsa_user_sgpr_queue_ptr 0
		.amdhsa_user_sgpr_kernarg_segment_ptr 1
		.amdhsa_user_sgpr_dispatch_id 0
		.amdhsa_user_sgpr_private_segment_size 0
		.amdhsa_wavefront_size32 1
		.amdhsa_uses_dynamic_stack 0
		.amdhsa_enable_private_segment 0
		.amdhsa_system_sgpr_workgroup_id_x 1
		.amdhsa_system_sgpr_workgroup_id_y 0
		.amdhsa_system_sgpr_workgroup_id_z 0
		.amdhsa_system_sgpr_workgroup_info 0
		.amdhsa_system_vgpr_workitem_id 2
		.amdhsa_next_free_vgpr 47
		.amdhsa_next_free_sgpr 24
		.amdhsa_reserve_vcc 1
		.amdhsa_float_round_mode_32 0
		.amdhsa_float_round_mode_16_64 0
		.amdhsa_float_denorm_mode_32 3
		.amdhsa_float_denorm_mode_16_64 3
		.amdhsa_dx10_clamp 1
		.amdhsa_ieee_mode 1
		.amdhsa_fp16_overflow 0
		.amdhsa_workgroup_processor_mode 1
		.amdhsa_memory_ordered 1
		.amdhsa_forward_progress 0
		.amdhsa_shared_vgpr_count 0
		.amdhsa_exception_fp_ieee_invalid_op 0
		.amdhsa_exception_fp_denorm_src 0
		.amdhsa_exception_fp_ieee_div_zero 0
		.amdhsa_exception_fp_ieee_overflow 0
		.amdhsa_exception_fp_ieee_underflow 0
		.amdhsa_exception_fp_ieee_inexact 0
		.amdhsa_exception_int_div_zero 0
	.end_amdhsa_kernel
	.section	.text._Z17sort_pairs_kernelI22helper_blocked_stripediLj192ELj4ELj10EEvPKT0_PS1_,"axG",@progbits,_Z17sort_pairs_kernelI22helper_blocked_stripediLj192ELj4ELj10EEvPKT0_PS1_,comdat
.Lfunc_end213:
	.size	_Z17sort_pairs_kernelI22helper_blocked_stripediLj192ELj4ELj10EEvPKT0_PS1_, .Lfunc_end213-_Z17sort_pairs_kernelI22helper_blocked_stripediLj192ELj4ELj10EEvPKT0_PS1_
                                        ; -- End function
	.section	.AMDGPU.csdata,"",@progbits
; Kernel info:
; codeLenInByte = 3444
; NumSgprs: 26
; NumVgprs: 47
; ScratchSize: 0
; MemoryBound: 0
; FloatMode: 240
; IeeeMode: 1
; LDSByteSize: 6176 bytes/workgroup (compile time only)
; SGPRBlocks: 3
; VGPRBlocks: 5
; NumSGPRsForWavesPerEU: 26
; NumVGPRsForWavesPerEU: 47
; Occupancy: 15
; WaveLimiterHint : 1
; COMPUTE_PGM_RSRC2:SCRATCH_EN: 0
; COMPUTE_PGM_RSRC2:USER_SGPR: 15
; COMPUTE_PGM_RSRC2:TRAP_HANDLER: 0
; COMPUTE_PGM_RSRC2:TGID_X_EN: 1
; COMPUTE_PGM_RSRC2:TGID_Y_EN: 0
; COMPUTE_PGM_RSRC2:TGID_Z_EN: 0
; COMPUTE_PGM_RSRC2:TIDIG_COMP_CNT: 2
	.section	.text._Z16sort_keys_kernelI22helper_blocked_stripediLj192ELj8ELj10EEvPKT0_PS1_,"axG",@progbits,_Z16sort_keys_kernelI22helper_blocked_stripediLj192ELj8ELj10EEvPKT0_PS1_,comdat
	.protected	_Z16sort_keys_kernelI22helper_blocked_stripediLj192ELj8ELj10EEvPKT0_PS1_ ; -- Begin function _Z16sort_keys_kernelI22helper_blocked_stripediLj192ELj8ELj10EEvPKT0_PS1_
	.globl	_Z16sort_keys_kernelI22helper_blocked_stripediLj192ELj8ELj10EEvPKT0_PS1_
	.p2align	8
	.type	_Z16sort_keys_kernelI22helper_blocked_stripediLj192ELj8ELj10EEvPKT0_PS1_,@function
_Z16sort_keys_kernelI22helper_blocked_stripediLj192ELj8ELj10EEvPKT0_PS1_: ; @_Z16sort_keys_kernelI22helper_blocked_stripediLj192ELj8ELj10EEvPKT0_PS1_
; %bb.0:
	s_clause 0x1
	s_load_b128 s[16:19], s[0:1], 0x0
	s_load_b32 s2, s[0:1], 0x1c
	s_mov_b32 s21, 0
	s_mul_i32 s20, s15, 0x600
	v_bfe_u32 v10, v0, 10, 10
	s_lshl_b64 s[14:15], s[20:21], 2
	s_mov_b32 s20, s21
	v_and_b32_e32 v9, 0x3ff, v0
	v_bfe_u32 v0, v0, 20, 10
	v_mbcnt_lo_u32_b32 v12, -1, 0
	s_delay_alu instid0(VALU_DEP_3) | instskip(SKIP_2) | instid1(VALU_DEP_4)
	v_lshlrev_b32_e32 v14, 5, v9
	v_and_b32_e32 v13, 0xe0, v9
	v_lshlrev_b32_e32 v15, 3, v9
	v_cmp_eq_u32_e64 s8, 0, v12
	s_delay_alu instid0(VALU_DEP_3)
	v_or_b32_e32 v16, v12, v13
	s_waitcnt lgkmcnt(0)
	s_add_u32 s0, s16, s14
	s_addc_u32 s1, s17, s15
	s_mov_b32 s16, s21
	s_clause 0x1
	global_load_b128 v[5:8], v14, s[0:1]
	global_load_b128 v[1:4], v14, s[0:1] offset:16
	s_lshr_b32 s0, s2, 16
	s_mov_b32 s17, s21
	v_mad_u32_u24 v0, v0, s0, v10
	s_and_b32 s0, s2, 0xffff
	s_delay_alu instid0(VALU_DEP_1) | instid1(SALU_CYCLE_1)
	v_mad_u64_u32 v[10:11], null, v0, s0, v[9:10]
	v_and_or_b32 v0, 0x700, v15, v12
	v_lshlrev_b32_e32 v15, 5, v16
	v_and_b32_e32 v11, 15, v12
	s_delay_alu instid0(VALU_DEP_3) | instskip(SKIP_4) | instid1(VALU_DEP_4)
	v_lshlrev_b32_e32 v16, 2, v0
	v_min_u32_e32 v0, 0xa0, v13
	v_add_nc_u32_e32 v13, -1, v12
	v_lshrrev_b32_e32 v18, 5, v10
	v_and_b32_e32 v10, 16, v12
	v_or_b32_e32 v0, 31, v0
	s_delay_alu instid0(VALU_DEP_4) | instskip(NEXT) | instid1(VALU_DEP_3)
	v_cmp_gt_i32_e32 vcc_lo, 0, v13
	v_cmp_eq_u32_e64 s4, 0, v10
	v_cndmask_b32_e32 v10, v13, v12, vcc_lo
	s_delay_alu instid0(VALU_DEP_1)
	v_lshlrev_b32_e32 v19, 2, v10
	v_and_b32_e32 v10, 7, v12
	v_dual_mov_b32 v12, s16 :: v_dual_mov_b32 v13, s17
	v_cmp_eq_u32_e64 s0, 0, v11
	v_cmp_lt_u32_e64 s1, 1, v11
	v_cmp_lt_u32_e64 s2, 3, v11
	;; [unrolled: 1-line block ×3, first 2 shown]
	v_cmp_eq_u32_e64 s10, 0, v10
	v_cmp_lt_u32_e64 s11, 1, v10
	v_cmp_lt_u32_e64 s12, 3, v10
	v_mov_b32_e32 v10, s20
	v_cmp_eq_u32_e64 s5, v0, v9
	v_lshrrev_b32_e32 v0, 3, v9
	v_cmp_gt_u32_e64 s6, 6, v9
	v_cmp_lt_u32_e64 s7, 31, v9
	v_cmp_eq_u32_e64 s9, 0, v9
	v_mul_i32_i24_e32 v21, 0xffffffe4, v9
	v_dual_mov_b32 v11, s21 :: v_dual_and_b32 v20, 28, v0
	v_or_b32_e32 v17, 24, v14
	s_delay_alu instid0(VALU_DEP_2)
	v_add_nc_u32_e32 v22, -4, v20
	s_branch .LBB214_2
.LBB214_1:                              ;   in Loop: Header=BB214_2 Depth=1
	v_lshlrev_b32_e32 v0, 2, v40
	v_lshlrev_b32_e32 v1, 2, v37
	s_barrier
	v_lshlrev_b32_e32 v2, 2, v35
	buffer_gl0_inv
	ds_store_b32 v0, v8
	ds_store_b32 v1, v29
	v_lshlrev_b32_e32 v0, 2, v34
	v_lshlrev_b32_e32 v1, 2, v33
	ds_store_b32 v2, v28
	v_add_nc_u32_e32 v4, v14, v21
	v_lshlrev_b32_e32 v2, 2, v32
	ds_store_b32 v0, v27
	v_lshlrev_b32_e32 v0, 2, v30
	v_lshlrev_b32_e32 v3, 2, v31
	ds_store_b32 v1, v26
	ds_store_b32 v2, v25
	;; [unrolled: 1-line block ×4, first 2 shown]
	s_waitcnt lgkmcnt(0)
	s_barrier
	buffer_gl0_inv
	ds_load_2addr_stride64_b32 v[0:1], v4 offset1:3
	ds_load_2addr_stride64_b32 v[2:3], v4 offset0:6 offset1:9
	ds_load_2addr_stride64_b32 v[23:24], v4 offset0:12 offset1:15
	;; [unrolled: 1-line block ×3, first 2 shown]
	s_add_i32 s21, s21, 1
	s_delay_alu instid0(SALU_CYCLE_1)
	s_cmp_eq_u32 s21, 10
	s_waitcnt lgkmcnt(3)
	v_xor_b32_e32 v5, 0x80000000, v0
	v_xor_b32_e32 v6, 0x80000000, v1
	s_waitcnt lgkmcnt(2)
	v_xor_b32_e32 v7, 0x80000000, v2
	v_xor_b32_e32 v8, 0x80000000, v3
	;; [unrolled: 3-line block ×4, first 2 shown]
	s_cbranch_scc1 .LBB214_28
.LBB214_2:                              ; =>This Loop Header: Depth=1
                                        ;     Child Loop BB214_4 Depth 2
	s_waitcnt vmcnt(1)
	v_xor_b32_e32 v5, 0x80000000, v5
	v_xor_b32_e32 v6, 0x80000000, v6
	;; [unrolled: 1-line block ×4, first 2 shown]
	s_waitcnt vmcnt(0)
	v_xor_b32_e32 v0, 0x80000000, v1
	v_xor_b32_e32 v1, 0x80000000, v2
	;; [unrolled: 1-line block ×4, first 2 shown]
	ds_store_2addr_b64 v15, v[5:6], v[7:8] offset1:1
	ds_store_2addr_b64 v15, v[0:1], v[2:3] offset0:2 offset1:3
	; wave barrier
	ds_load_2addr_b32 v[0:1], v16 offset1:32
	ds_load_2addr_b32 v[2:3], v16 offset0:64 offset1:96
	ds_load_2addr_b32 v[4:5], v16 offset0:128 offset1:160
	;; [unrolled: 1-line block ×3, first 2 shown]
	s_mov_b32 s16, 0
	s_waitcnt lgkmcnt(0)
	s_barrier
	buffer_gl0_inv
	; wave barrier
	s_barrier
	s_branch .LBB214_4
.LBB214_3:                              ;   in Loop: Header=BB214_4 Depth=2
	v_lshlrev_b32_e32 v0, 2, v40
	v_lshlrev_b32_e32 v1, 2, v37
	;; [unrolled: 1-line block ×3, first 2 shown]
	s_barrier
	buffer_gl0_inv
	ds_store_b32 v0, v8
	ds_store_b32 v1, v29
	;; [unrolled: 1-line block ×3, first 2 shown]
	v_lshlrev_b32_e32 v0, 2, v34
	v_lshlrev_b32_e32 v1, 2, v33
	;; [unrolled: 1-line block ×5, first 2 shown]
	ds_store_b32 v0, v27
	ds_store_b32 v1, v26
	ds_store_b32 v2, v25
	ds_store_b32 v3, v24
	ds_store_b32 v4, v23
	s_waitcnt lgkmcnt(0)
	s_barrier
	buffer_gl0_inv
	ds_load_2addr_b32 v[0:1], v16 offset1:32
	ds_load_2addr_b32 v[2:3], v16 offset0:64 offset1:96
	ds_load_2addr_b32 v[4:5], v16 offset0:128 offset1:160
	;; [unrolled: 1-line block ×3, first 2 shown]
	s_add_i32 s16, s16, 8
	s_waitcnt lgkmcnt(0)
	s_barrier
	s_cbranch_execz .LBB214_1
.LBB214_4:                              ;   Parent Loop BB214_2 Depth=1
                                        ; =>  This Inner Loop Header: Depth=2
	v_mov_b32_e32 v8, v0
	buffer_gl0_inv
	ds_store_2addr_b64 v14, v[10:11], v[12:13] offset0:3 offset1:4
	ds_store_2addr_b64 v17, v[10:11], v[12:13] offset0:2 offset1:3
	s_waitcnt lgkmcnt(0)
	s_barrier
	v_lshrrev_b32_e32 v23, s16, v8
	buffer_gl0_inv
	; wave barrier
	v_lshlrev_b32_e32 v25, 30, v23
	v_bfe_u32 v0, v8, s16, 1
	v_lshlrev_b32_e32 v26, 29, v23
	v_lshlrev_b32_e32 v27, 28, v23
	;; [unrolled: 1-line block ×4, first 2 shown]
	v_add_co_u32 v0, s13, v0, -1
	s_delay_alu instid0(VALU_DEP_1) | instskip(SKIP_3) | instid1(VALU_DEP_4)
	v_cndmask_b32_e64 v24, 0, 1, s13
	v_cmp_gt_i32_e64 s13, 0, v25
	v_lshlrev_b32_e32 v30, 25, v23
	v_lshlrev_b32_e32 v23, 24, v23
	v_cmp_ne_u32_e32 vcc_lo, 0, v24
	v_not_b32_e32 v24, v25
	v_not_b32_e32 v25, v26
	v_xor_b32_e32 v0, vcc_lo, v0
	s_delay_alu instid0(VALU_DEP_3)
	v_ashrrev_i32_e32 v24, 31, v24
	v_cmp_gt_i32_e32 vcc_lo, 0, v26
	v_not_b32_e32 v26, v27
	v_ashrrev_i32_e32 v25, 31, v25
	v_and_b32_e32 v0, exec_lo, v0
	v_xor_b32_e32 v24, s13, v24
	v_cmp_gt_i32_e64 s13, 0, v27
	v_not_b32_e32 v27, v28
	v_ashrrev_i32_e32 v26, 31, v26
	v_xor_b32_e32 v25, vcc_lo, v25
	v_and_b32_e32 v0, v0, v24
	v_cmp_gt_i32_e32 vcc_lo, 0, v28
	v_ashrrev_i32_e32 v27, 31, v27
	v_xor_b32_e32 v26, s13, v26
	v_not_b32_e32 v24, v29
	v_and_b32_e32 v0, v0, v25
	v_cmp_gt_i32_e64 s13, 0, v29
	v_mov_b32_e32 v29, v1
	v_xor_b32_e32 v27, vcc_lo, v27
	v_ashrrev_i32_e32 v24, 31, v24
	v_and_b32_e32 v0, v0, v26
	v_mov_b32_e32 v28, v2
	v_not_b32_e32 v26, v23
	v_bfe_u32 v1, v8, s16, 8
	v_xor_b32_e32 v24, s13, v24
	v_dual_mov_b32 v27, v3 :: v_dual_and_b32 v0, v0, v27
	v_not_b32_e32 v25, v30
	v_cmp_gt_i32_e32 vcc_lo, 0, v30
	v_cmp_gt_i32_e64 s13, 0, v23
	v_ashrrev_i32_e32 v26, 31, v26
	v_and_b32_e32 v0, v0, v24
	v_ashrrev_i32_e32 v25, 31, v25
	v_mov_b32_e32 v23, v7
	v_mad_u32_u24 v1, v1, 6, v18
	v_xor_b32_e32 v7, s13, v26
	v_mov_b32_e32 v24, v6
	v_xor_b32_e32 v25, vcc_lo, v25
	v_mov_b32_e32 v26, v4
	v_lshl_add_u32 v31, v1, 2, 24
	s_delay_alu instid0(VALU_DEP_3) | instskip(NEXT) | instid1(VALU_DEP_1)
	v_dual_mov_b32 v25, v5 :: v_dual_and_b32 v0, v0, v25
	v_and_b32_e32 v0, v0, v7
	s_delay_alu instid0(VALU_DEP_1) | instskip(SKIP_1) | instid1(VALU_DEP_2)
	v_mbcnt_lo_u32_b32 v30, v0, 0
	v_cmp_ne_u32_e64 s13, 0, v0
	v_cmp_eq_u32_e32 vcc_lo, 0, v30
	s_delay_alu instid0(VALU_DEP_2) | instskip(NEXT) | instid1(SALU_CYCLE_1)
	s_and_b32 s17, s13, vcc_lo
	s_and_saveexec_b32 s13, s17
	s_cbranch_execz .LBB214_6
; %bb.5:                                ;   in Loop: Header=BB214_4 Depth=2
	v_bcnt_u32_b32 v0, v0, 0
	ds_store_b32 v31, v0
.LBB214_6:                              ;   in Loop: Header=BB214_4 Depth=2
	s_or_b32 exec_lo, exec_lo, s13
	v_bfe_u32 v0, v29, s16, 1
	v_lshrrev_b32_e32 v1, s16, v29
	; wave barrier
	s_delay_alu instid0(VALU_DEP_2) | instskip(NEXT) | instid1(VALU_DEP_1)
	v_add_co_u32 v0, s13, v0, -1
	v_cndmask_b32_e64 v2, 0, 1, s13
	s_delay_alu instid0(VALU_DEP_3)
	v_lshlrev_b32_e32 v3, 30, v1
	v_lshlrev_b32_e32 v4, 29, v1
	;; [unrolled: 1-line block ×4, first 2 shown]
	v_cmp_ne_u32_e32 vcc_lo, 0, v2
	v_not_b32_e32 v2, v3
	v_cmp_gt_i32_e64 s13, 0, v3
	v_not_b32_e32 v3, v4
	v_lshlrev_b32_e32 v7, 26, v1
	v_xor_b32_e32 v0, vcc_lo, v0
	v_ashrrev_i32_e32 v2, 31, v2
	v_cmp_gt_i32_e32 vcc_lo, 0, v4
	v_not_b32_e32 v4, v5
	v_ashrrev_i32_e32 v3, 31, v3
	v_and_b32_e32 v0, exec_lo, v0
	v_xor_b32_e32 v2, s13, v2
	v_cmp_gt_i32_e64 s13, 0, v5
	v_not_b32_e32 v5, v6
	v_ashrrev_i32_e32 v4, 31, v4
	v_xor_b32_e32 v3, vcc_lo, v3
	v_and_b32_e32 v0, v0, v2
	v_cmp_gt_i32_e32 vcc_lo, 0, v6
	v_not_b32_e32 v2, v7
	v_ashrrev_i32_e32 v5, 31, v5
	v_xor_b32_e32 v4, s13, v4
	v_and_b32_e32 v0, v0, v3
	v_lshlrev_b32_e32 v3, 25, v1
	v_cmp_gt_i32_e64 s13, 0, v7
	v_ashrrev_i32_e32 v2, 31, v2
	v_xor_b32_e32 v5, vcc_lo, v5
	v_and_b32_e32 v0, v0, v4
	v_not_b32_e32 v6, v3
	v_lshlrev_b32_e32 v1, 24, v1
	v_bfe_u32 v4, v29, s16, 8
	v_xor_b32_e32 v2, s13, v2
	v_and_b32_e32 v0, v0, v5
	v_cmp_gt_i32_e32 vcc_lo, 0, v3
	v_ashrrev_i32_e32 v3, 31, v6
	v_not_b32_e32 v5, v1
	v_mul_u32_u24_e32 v4, 6, v4
	v_and_b32_e32 v0, v0, v2
	s_delay_alu instid0(VALU_DEP_4) | instskip(SKIP_3) | instid1(VALU_DEP_4)
	v_xor_b32_e32 v2, vcc_lo, v3
	v_cmp_gt_i32_e32 vcc_lo, 0, v1
	v_ashrrev_i32_e32 v1, 31, v5
	v_add_lshl_u32 v3, v4, v18, 2
	v_and_b32_e32 v0, v0, v2
	s_delay_alu instid0(VALU_DEP_3) | instskip(SKIP_3) | instid1(VALU_DEP_1)
	v_xor_b32_e32 v1, vcc_lo, v1
	ds_load_b32 v32, v3 offset:24
	v_add_nc_u32_e32 v34, 24, v3
	; wave barrier
	v_and_b32_e32 v0, v0, v1
	v_mbcnt_lo_u32_b32 v33, v0, 0
	v_cmp_ne_u32_e64 s13, 0, v0
	s_delay_alu instid0(VALU_DEP_2) | instskip(NEXT) | instid1(VALU_DEP_2)
	v_cmp_eq_u32_e32 vcc_lo, 0, v33
	s_and_b32 s17, s13, vcc_lo
	s_delay_alu instid0(SALU_CYCLE_1)
	s_and_saveexec_b32 s13, s17
	s_cbranch_execz .LBB214_8
; %bb.7:                                ;   in Loop: Header=BB214_4 Depth=2
	s_waitcnt lgkmcnt(0)
	v_bcnt_u32_b32 v0, v0, v32
	ds_store_b32 v34, v0
.LBB214_8:                              ;   in Loop: Header=BB214_4 Depth=2
	s_or_b32 exec_lo, exec_lo, s13
	v_bfe_u32 v0, v28, s16, 1
	v_lshrrev_b32_e32 v1, s16, v28
	; wave barrier
	s_delay_alu instid0(VALU_DEP_2) | instskip(NEXT) | instid1(VALU_DEP_1)
	v_add_co_u32 v0, s13, v0, -1
	v_cndmask_b32_e64 v2, 0, 1, s13
	s_delay_alu instid0(VALU_DEP_3)
	v_lshlrev_b32_e32 v3, 30, v1
	v_lshlrev_b32_e32 v4, 29, v1
	;; [unrolled: 1-line block ×4, first 2 shown]
	v_cmp_ne_u32_e32 vcc_lo, 0, v2
	v_not_b32_e32 v2, v3
	v_cmp_gt_i32_e64 s13, 0, v3
	v_not_b32_e32 v3, v4
	v_lshlrev_b32_e32 v7, 26, v1
	v_xor_b32_e32 v0, vcc_lo, v0
	v_ashrrev_i32_e32 v2, 31, v2
	v_cmp_gt_i32_e32 vcc_lo, 0, v4
	v_not_b32_e32 v4, v5
	v_ashrrev_i32_e32 v3, 31, v3
	v_and_b32_e32 v0, exec_lo, v0
	v_xor_b32_e32 v2, s13, v2
	v_cmp_gt_i32_e64 s13, 0, v5
	v_not_b32_e32 v5, v6
	v_ashrrev_i32_e32 v4, 31, v4
	v_xor_b32_e32 v3, vcc_lo, v3
	v_and_b32_e32 v0, v0, v2
	v_cmp_gt_i32_e32 vcc_lo, 0, v6
	v_not_b32_e32 v2, v7
	v_ashrrev_i32_e32 v5, 31, v5
	v_xor_b32_e32 v4, s13, v4
	v_and_b32_e32 v0, v0, v3
	v_lshlrev_b32_e32 v3, 25, v1
	v_cmp_gt_i32_e64 s13, 0, v7
	v_ashrrev_i32_e32 v2, 31, v2
	v_xor_b32_e32 v5, vcc_lo, v5
	v_and_b32_e32 v0, v0, v4
	v_not_b32_e32 v6, v3
	v_lshlrev_b32_e32 v1, 24, v1
	v_bfe_u32 v4, v28, s16, 8
	v_xor_b32_e32 v2, s13, v2
	v_and_b32_e32 v0, v0, v5
	v_cmp_gt_i32_e32 vcc_lo, 0, v3
	v_ashrrev_i32_e32 v3, 31, v6
	v_not_b32_e32 v5, v1
	v_mul_u32_u24_e32 v4, 6, v4
	v_and_b32_e32 v0, v0, v2
	s_delay_alu instid0(VALU_DEP_4) | instskip(SKIP_3) | instid1(VALU_DEP_4)
	v_xor_b32_e32 v2, vcc_lo, v3
	v_cmp_gt_i32_e32 vcc_lo, 0, v1
	v_ashrrev_i32_e32 v1, 31, v5
	v_add_lshl_u32 v3, v4, v18, 2
	v_and_b32_e32 v0, v0, v2
	s_delay_alu instid0(VALU_DEP_3) | instskip(SKIP_3) | instid1(VALU_DEP_1)
	v_xor_b32_e32 v1, vcc_lo, v1
	ds_load_b32 v35, v3 offset:24
	v_add_nc_u32_e32 v37, 24, v3
	; wave barrier
	v_and_b32_e32 v0, v0, v1
	v_mbcnt_lo_u32_b32 v36, v0, 0
	v_cmp_ne_u32_e64 s13, 0, v0
	s_delay_alu instid0(VALU_DEP_2) | instskip(NEXT) | instid1(VALU_DEP_2)
	v_cmp_eq_u32_e32 vcc_lo, 0, v36
	s_and_b32 s17, s13, vcc_lo
	s_delay_alu instid0(SALU_CYCLE_1)
	s_and_saveexec_b32 s13, s17
	s_cbranch_execz .LBB214_10
; %bb.9:                                ;   in Loop: Header=BB214_4 Depth=2
	s_waitcnt lgkmcnt(0)
	v_bcnt_u32_b32 v0, v0, v35
	ds_store_b32 v37, v0
.LBB214_10:                             ;   in Loop: Header=BB214_4 Depth=2
	s_or_b32 exec_lo, exec_lo, s13
	v_bfe_u32 v0, v27, s16, 1
	v_lshrrev_b32_e32 v1, s16, v27
	; wave barrier
	s_delay_alu instid0(VALU_DEP_2) | instskip(NEXT) | instid1(VALU_DEP_1)
	v_add_co_u32 v0, s13, v0, -1
	v_cndmask_b32_e64 v2, 0, 1, s13
	s_delay_alu instid0(VALU_DEP_3)
	v_lshlrev_b32_e32 v3, 30, v1
	v_lshlrev_b32_e32 v4, 29, v1
	;; [unrolled: 1-line block ×4, first 2 shown]
	v_cmp_ne_u32_e32 vcc_lo, 0, v2
	v_not_b32_e32 v2, v3
	v_cmp_gt_i32_e64 s13, 0, v3
	v_not_b32_e32 v3, v4
	v_lshlrev_b32_e32 v7, 26, v1
	v_xor_b32_e32 v0, vcc_lo, v0
	v_ashrrev_i32_e32 v2, 31, v2
	v_cmp_gt_i32_e32 vcc_lo, 0, v4
	v_not_b32_e32 v4, v5
	v_ashrrev_i32_e32 v3, 31, v3
	v_and_b32_e32 v0, exec_lo, v0
	v_xor_b32_e32 v2, s13, v2
	v_cmp_gt_i32_e64 s13, 0, v5
	v_not_b32_e32 v5, v6
	v_ashrrev_i32_e32 v4, 31, v4
	v_xor_b32_e32 v3, vcc_lo, v3
	v_and_b32_e32 v0, v0, v2
	v_cmp_gt_i32_e32 vcc_lo, 0, v6
	v_not_b32_e32 v2, v7
	v_ashrrev_i32_e32 v5, 31, v5
	v_xor_b32_e32 v4, s13, v4
	v_and_b32_e32 v0, v0, v3
	v_lshlrev_b32_e32 v3, 25, v1
	v_cmp_gt_i32_e64 s13, 0, v7
	v_ashrrev_i32_e32 v2, 31, v2
	v_xor_b32_e32 v5, vcc_lo, v5
	v_and_b32_e32 v0, v0, v4
	v_not_b32_e32 v6, v3
	v_lshlrev_b32_e32 v1, 24, v1
	v_bfe_u32 v4, v27, s16, 8
	v_xor_b32_e32 v2, s13, v2
	v_and_b32_e32 v0, v0, v5
	v_cmp_gt_i32_e32 vcc_lo, 0, v3
	v_ashrrev_i32_e32 v3, 31, v6
	v_not_b32_e32 v5, v1
	v_mul_u32_u24_e32 v4, 6, v4
	v_and_b32_e32 v0, v0, v2
	s_delay_alu instid0(VALU_DEP_4) | instskip(SKIP_3) | instid1(VALU_DEP_4)
	v_xor_b32_e32 v2, vcc_lo, v3
	v_cmp_gt_i32_e32 vcc_lo, 0, v1
	v_ashrrev_i32_e32 v1, 31, v5
	v_add_lshl_u32 v3, v4, v18, 2
	v_and_b32_e32 v0, v0, v2
	s_delay_alu instid0(VALU_DEP_3) | instskip(SKIP_3) | instid1(VALU_DEP_1)
	v_xor_b32_e32 v1, vcc_lo, v1
	ds_load_b32 v38, v3 offset:24
	v_add_nc_u32_e32 v40, 24, v3
	; wave barrier
	v_and_b32_e32 v0, v0, v1
	v_mbcnt_lo_u32_b32 v39, v0, 0
	v_cmp_ne_u32_e64 s13, 0, v0
	s_delay_alu instid0(VALU_DEP_2) | instskip(NEXT) | instid1(VALU_DEP_2)
	v_cmp_eq_u32_e32 vcc_lo, 0, v39
	s_and_b32 s17, s13, vcc_lo
	s_delay_alu instid0(SALU_CYCLE_1)
	s_and_saveexec_b32 s13, s17
	s_cbranch_execz .LBB214_12
; %bb.11:                               ;   in Loop: Header=BB214_4 Depth=2
	s_waitcnt lgkmcnt(0)
	v_bcnt_u32_b32 v0, v0, v38
	ds_store_b32 v40, v0
.LBB214_12:                             ;   in Loop: Header=BB214_4 Depth=2
	s_or_b32 exec_lo, exec_lo, s13
	v_bfe_u32 v0, v26, s16, 1
	v_lshrrev_b32_e32 v1, s16, v26
	; wave barrier
	s_delay_alu instid0(VALU_DEP_2) | instskip(NEXT) | instid1(VALU_DEP_1)
	v_add_co_u32 v0, s13, v0, -1
	v_cndmask_b32_e64 v2, 0, 1, s13
	s_delay_alu instid0(VALU_DEP_3)
	v_lshlrev_b32_e32 v3, 30, v1
	v_lshlrev_b32_e32 v4, 29, v1
	;; [unrolled: 1-line block ×4, first 2 shown]
	v_cmp_ne_u32_e32 vcc_lo, 0, v2
	v_not_b32_e32 v2, v3
	v_cmp_gt_i32_e64 s13, 0, v3
	v_not_b32_e32 v3, v4
	v_lshlrev_b32_e32 v7, 26, v1
	v_xor_b32_e32 v0, vcc_lo, v0
	v_ashrrev_i32_e32 v2, 31, v2
	v_cmp_gt_i32_e32 vcc_lo, 0, v4
	v_not_b32_e32 v4, v5
	v_ashrrev_i32_e32 v3, 31, v3
	v_and_b32_e32 v0, exec_lo, v0
	v_xor_b32_e32 v2, s13, v2
	v_cmp_gt_i32_e64 s13, 0, v5
	v_not_b32_e32 v5, v6
	v_ashrrev_i32_e32 v4, 31, v4
	v_xor_b32_e32 v3, vcc_lo, v3
	v_and_b32_e32 v0, v0, v2
	v_cmp_gt_i32_e32 vcc_lo, 0, v6
	v_not_b32_e32 v2, v7
	v_ashrrev_i32_e32 v5, 31, v5
	v_xor_b32_e32 v4, s13, v4
	v_and_b32_e32 v0, v0, v3
	v_lshlrev_b32_e32 v3, 25, v1
	v_cmp_gt_i32_e64 s13, 0, v7
	v_ashrrev_i32_e32 v2, 31, v2
	v_xor_b32_e32 v5, vcc_lo, v5
	v_and_b32_e32 v0, v0, v4
	v_not_b32_e32 v6, v3
	v_lshlrev_b32_e32 v1, 24, v1
	v_bfe_u32 v4, v26, s16, 8
	v_xor_b32_e32 v2, s13, v2
	v_and_b32_e32 v0, v0, v5
	v_cmp_gt_i32_e32 vcc_lo, 0, v3
	v_ashrrev_i32_e32 v3, 31, v6
	v_not_b32_e32 v5, v1
	v_mul_u32_u24_e32 v4, 6, v4
	v_and_b32_e32 v0, v0, v2
	s_delay_alu instid0(VALU_DEP_4) | instskip(SKIP_3) | instid1(VALU_DEP_4)
	v_xor_b32_e32 v2, vcc_lo, v3
	v_cmp_gt_i32_e32 vcc_lo, 0, v1
	v_ashrrev_i32_e32 v1, 31, v5
	v_add_lshl_u32 v3, v4, v18, 2
	v_and_b32_e32 v0, v0, v2
	s_delay_alu instid0(VALU_DEP_3) | instskip(SKIP_3) | instid1(VALU_DEP_1)
	v_xor_b32_e32 v1, vcc_lo, v1
	ds_load_b32 v41, v3 offset:24
	v_add_nc_u32_e32 v43, 24, v3
	; wave barrier
	v_and_b32_e32 v0, v0, v1
	v_mbcnt_lo_u32_b32 v42, v0, 0
	v_cmp_ne_u32_e64 s13, 0, v0
	s_delay_alu instid0(VALU_DEP_2) | instskip(NEXT) | instid1(VALU_DEP_2)
	v_cmp_eq_u32_e32 vcc_lo, 0, v42
	s_and_b32 s17, s13, vcc_lo
	s_delay_alu instid0(SALU_CYCLE_1)
	s_and_saveexec_b32 s13, s17
	s_cbranch_execz .LBB214_14
; %bb.13:                               ;   in Loop: Header=BB214_4 Depth=2
	s_waitcnt lgkmcnt(0)
	v_bcnt_u32_b32 v0, v0, v41
	ds_store_b32 v43, v0
.LBB214_14:                             ;   in Loop: Header=BB214_4 Depth=2
	s_or_b32 exec_lo, exec_lo, s13
	v_bfe_u32 v0, v25, s16, 1
	v_lshrrev_b32_e32 v1, s16, v25
	; wave barrier
	s_delay_alu instid0(VALU_DEP_2) | instskip(NEXT) | instid1(VALU_DEP_1)
	v_add_co_u32 v0, s13, v0, -1
	v_cndmask_b32_e64 v2, 0, 1, s13
	s_delay_alu instid0(VALU_DEP_3)
	v_lshlrev_b32_e32 v3, 30, v1
	v_lshlrev_b32_e32 v4, 29, v1
	;; [unrolled: 1-line block ×4, first 2 shown]
	v_cmp_ne_u32_e32 vcc_lo, 0, v2
	v_not_b32_e32 v2, v3
	v_cmp_gt_i32_e64 s13, 0, v3
	v_not_b32_e32 v3, v4
	v_lshlrev_b32_e32 v7, 26, v1
	v_xor_b32_e32 v0, vcc_lo, v0
	v_ashrrev_i32_e32 v2, 31, v2
	v_cmp_gt_i32_e32 vcc_lo, 0, v4
	v_not_b32_e32 v4, v5
	v_ashrrev_i32_e32 v3, 31, v3
	v_and_b32_e32 v0, exec_lo, v0
	v_xor_b32_e32 v2, s13, v2
	v_cmp_gt_i32_e64 s13, 0, v5
	v_not_b32_e32 v5, v6
	v_ashrrev_i32_e32 v4, 31, v4
	v_xor_b32_e32 v3, vcc_lo, v3
	v_and_b32_e32 v0, v0, v2
	v_cmp_gt_i32_e32 vcc_lo, 0, v6
	v_not_b32_e32 v2, v7
	v_ashrrev_i32_e32 v5, 31, v5
	v_xor_b32_e32 v4, s13, v4
	v_and_b32_e32 v0, v0, v3
	v_lshlrev_b32_e32 v3, 25, v1
	v_cmp_gt_i32_e64 s13, 0, v7
	v_ashrrev_i32_e32 v2, 31, v2
	v_xor_b32_e32 v5, vcc_lo, v5
	v_and_b32_e32 v0, v0, v4
	v_not_b32_e32 v6, v3
	v_lshlrev_b32_e32 v1, 24, v1
	v_bfe_u32 v4, v25, s16, 8
	v_xor_b32_e32 v2, s13, v2
	v_and_b32_e32 v0, v0, v5
	v_cmp_gt_i32_e32 vcc_lo, 0, v3
	v_ashrrev_i32_e32 v3, 31, v6
	v_not_b32_e32 v5, v1
	v_mul_u32_u24_e32 v4, 6, v4
	v_and_b32_e32 v0, v0, v2
	s_delay_alu instid0(VALU_DEP_4) | instskip(SKIP_3) | instid1(VALU_DEP_4)
	v_xor_b32_e32 v2, vcc_lo, v3
	v_cmp_gt_i32_e32 vcc_lo, 0, v1
	v_ashrrev_i32_e32 v1, 31, v5
	v_add_lshl_u32 v3, v4, v18, 2
	v_and_b32_e32 v0, v0, v2
	s_delay_alu instid0(VALU_DEP_3) | instskip(SKIP_3) | instid1(VALU_DEP_1)
	v_xor_b32_e32 v1, vcc_lo, v1
	ds_load_b32 v44, v3 offset:24
	v_add_nc_u32_e32 v46, 24, v3
	; wave barrier
	v_and_b32_e32 v0, v0, v1
	v_mbcnt_lo_u32_b32 v45, v0, 0
	v_cmp_ne_u32_e64 s13, 0, v0
	s_delay_alu instid0(VALU_DEP_2) | instskip(NEXT) | instid1(VALU_DEP_2)
	v_cmp_eq_u32_e32 vcc_lo, 0, v45
	s_and_b32 s17, s13, vcc_lo
	s_delay_alu instid0(SALU_CYCLE_1)
	s_and_saveexec_b32 s13, s17
	s_cbranch_execz .LBB214_16
; %bb.15:                               ;   in Loop: Header=BB214_4 Depth=2
	s_waitcnt lgkmcnt(0)
	v_bcnt_u32_b32 v0, v0, v44
	ds_store_b32 v46, v0
.LBB214_16:                             ;   in Loop: Header=BB214_4 Depth=2
	s_or_b32 exec_lo, exec_lo, s13
	v_bfe_u32 v0, v24, s16, 1
	v_lshrrev_b32_e32 v1, s16, v24
	; wave barrier
	s_delay_alu instid0(VALU_DEP_2) | instskip(NEXT) | instid1(VALU_DEP_1)
	v_add_co_u32 v0, s13, v0, -1
	v_cndmask_b32_e64 v2, 0, 1, s13
	s_delay_alu instid0(VALU_DEP_3)
	v_lshlrev_b32_e32 v3, 30, v1
	v_lshlrev_b32_e32 v4, 29, v1
	;; [unrolled: 1-line block ×4, first 2 shown]
	v_cmp_ne_u32_e32 vcc_lo, 0, v2
	v_not_b32_e32 v2, v3
	v_cmp_gt_i32_e64 s13, 0, v3
	v_not_b32_e32 v3, v4
	v_lshlrev_b32_e32 v7, 26, v1
	v_xor_b32_e32 v0, vcc_lo, v0
	v_ashrrev_i32_e32 v2, 31, v2
	v_cmp_gt_i32_e32 vcc_lo, 0, v4
	v_not_b32_e32 v4, v5
	v_ashrrev_i32_e32 v3, 31, v3
	v_and_b32_e32 v0, exec_lo, v0
	v_xor_b32_e32 v2, s13, v2
	v_cmp_gt_i32_e64 s13, 0, v5
	v_not_b32_e32 v5, v6
	v_ashrrev_i32_e32 v4, 31, v4
	v_xor_b32_e32 v3, vcc_lo, v3
	v_and_b32_e32 v0, v0, v2
	v_cmp_gt_i32_e32 vcc_lo, 0, v6
	v_not_b32_e32 v2, v7
	v_ashrrev_i32_e32 v5, 31, v5
	v_xor_b32_e32 v4, s13, v4
	v_and_b32_e32 v0, v0, v3
	v_lshlrev_b32_e32 v3, 25, v1
	v_cmp_gt_i32_e64 s13, 0, v7
	v_ashrrev_i32_e32 v2, 31, v2
	v_xor_b32_e32 v5, vcc_lo, v5
	v_and_b32_e32 v0, v0, v4
	v_not_b32_e32 v6, v3
	v_lshlrev_b32_e32 v1, 24, v1
	v_bfe_u32 v4, v24, s16, 8
	v_xor_b32_e32 v2, s13, v2
	v_and_b32_e32 v0, v0, v5
	v_cmp_gt_i32_e32 vcc_lo, 0, v3
	v_ashrrev_i32_e32 v3, 31, v6
	v_not_b32_e32 v5, v1
	v_mul_u32_u24_e32 v4, 6, v4
	v_and_b32_e32 v0, v0, v2
	s_delay_alu instid0(VALU_DEP_4) | instskip(SKIP_3) | instid1(VALU_DEP_4)
	v_xor_b32_e32 v2, vcc_lo, v3
	v_cmp_gt_i32_e32 vcc_lo, 0, v1
	v_ashrrev_i32_e32 v1, 31, v5
	v_add_lshl_u32 v3, v4, v18, 2
	v_and_b32_e32 v0, v0, v2
	s_delay_alu instid0(VALU_DEP_3) | instskip(SKIP_3) | instid1(VALU_DEP_1)
	v_xor_b32_e32 v1, vcc_lo, v1
	ds_load_b32 v47, v3 offset:24
	v_add_nc_u32_e32 v49, 24, v3
	; wave barrier
	v_and_b32_e32 v0, v0, v1
	v_mbcnt_lo_u32_b32 v48, v0, 0
	v_cmp_ne_u32_e64 s13, 0, v0
	s_delay_alu instid0(VALU_DEP_2) | instskip(NEXT) | instid1(VALU_DEP_2)
	v_cmp_eq_u32_e32 vcc_lo, 0, v48
	s_and_b32 s17, s13, vcc_lo
	s_delay_alu instid0(SALU_CYCLE_1)
	s_and_saveexec_b32 s13, s17
	s_cbranch_execz .LBB214_18
; %bb.17:                               ;   in Loop: Header=BB214_4 Depth=2
	s_waitcnt lgkmcnt(0)
	v_bcnt_u32_b32 v0, v0, v47
	ds_store_b32 v49, v0
.LBB214_18:                             ;   in Loop: Header=BB214_4 Depth=2
	s_or_b32 exec_lo, exec_lo, s13
	v_bfe_u32 v0, v23, s16, 1
	v_lshrrev_b32_e32 v1, s16, v23
	; wave barrier
	s_delay_alu instid0(VALU_DEP_2) | instskip(NEXT) | instid1(VALU_DEP_1)
	v_add_co_u32 v0, s13, v0, -1
	v_cndmask_b32_e64 v2, 0, 1, s13
	s_delay_alu instid0(VALU_DEP_3)
	v_lshlrev_b32_e32 v3, 30, v1
	v_lshlrev_b32_e32 v4, 29, v1
	;; [unrolled: 1-line block ×4, first 2 shown]
	v_cmp_ne_u32_e32 vcc_lo, 0, v2
	v_not_b32_e32 v2, v3
	v_cmp_gt_i32_e64 s13, 0, v3
	v_not_b32_e32 v3, v4
	v_lshlrev_b32_e32 v7, 26, v1
	v_xor_b32_e32 v0, vcc_lo, v0
	v_ashrrev_i32_e32 v2, 31, v2
	v_cmp_gt_i32_e32 vcc_lo, 0, v4
	v_not_b32_e32 v4, v5
	v_ashrrev_i32_e32 v3, 31, v3
	v_and_b32_e32 v0, exec_lo, v0
	v_xor_b32_e32 v2, s13, v2
	v_cmp_gt_i32_e64 s13, 0, v5
	v_not_b32_e32 v5, v6
	v_ashrrev_i32_e32 v4, 31, v4
	v_xor_b32_e32 v3, vcc_lo, v3
	v_and_b32_e32 v0, v0, v2
	v_cmp_gt_i32_e32 vcc_lo, 0, v6
	v_not_b32_e32 v2, v7
	v_ashrrev_i32_e32 v5, 31, v5
	v_xor_b32_e32 v4, s13, v4
	v_and_b32_e32 v0, v0, v3
	v_lshlrev_b32_e32 v3, 25, v1
	v_cmp_gt_i32_e64 s13, 0, v7
	v_ashrrev_i32_e32 v2, 31, v2
	v_xor_b32_e32 v5, vcc_lo, v5
	v_and_b32_e32 v0, v0, v4
	v_not_b32_e32 v6, v3
	v_lshlrev_b32_e32 v1, 24, v1
	v_bfe_u32 v4, v23, s16, 8
	v_xor_b32_e32 v2, s13, v2
	v_and_b32_e32 v0, v0, v5
	v_cmp_gt_i32_e32 vcc_lo, 0, v3
	v_ashrrev_i32_e32 v3, 31, v6
	v_not_b32_e32 v5, v1
	v_mul_u32_u24_e32 v4, 6, v4
	v_and_b32_e32 v0, v0, v2
	s_delay_alu instid0(VALU_DEP_4) | instskip(SKIP_3) | instid1(VALU_DEP_4)
	v_xor_b32_e32 v2, vcc_lo, v3
	v_cmp_gt_i32_e32 vcc_lo, 0, v1
	v_ashrrev_i32_e32 v1, 31, v5
	v_add_lshl_u32 v3, v4, v18, 2
	v_and_b32_e32 v0, v0, v2
	s_delay_alu instid0(VALU_DEP_3) | instskip(SKIP_3) | instid1(VALU_DEP_1)
	v_xor_b32_e32 v1, vcc_lo, v1
	ds_load_b32 v50, v3 offset:24
	v_add_nc_u32_e32 v52, 24, v3
	; wave barrier
	v_and_b32_e32 v0, v0, v1
	v_mbcnt_lo_u32_b32 v51, v0, 0
	v_cmp_ne_u32_e64 s13, 0, v0
	s_delay_alu instid0(VALU_DEP_2) | instskip(NEXT) | instid1(VALU_DEP_2)
	v_cmp_eq_u32_e32 vcc_lo, 0, v51
	s_and_b32 s17, s13, vcc_lo
	s_delay_alu instid0(SALU_CYCLE_1)
	s_and_saveexec_b32 s13, s17
	s_cbranch_execz .LBB214_20
; %bb.19:                               ;   in Loop: Header=BB214_4 Depth=2
	s_waitcnt lgkmcnt(0)
	v_bcnt_u32_b32 v0, v0, v50
	ds_store_b32 v52, v0
.LBB214_20:                             ;   in Loop: Header=BB214_4 Depth=2
	s_or_b32 exec_lo, exec_lo, s13
	; wave barrier
	s_waitcnt lgkmcnt(0)
	s_barrier
	buffer_gl0_inv
	ds_load_2addr_b64 v[4:7], v14 offset0:3 offset1:4
	ds_load_2addr_b64 v[0:3], v17 offset0:2 offset1:3
	s_waitcnt lgkmcnt(1)
	v_add_nc_u32_e32 v53, v5, v4
	s_delay_alu instid0(VALU_DEP_1) | instskip(SKIP_1) | instid1(VALU_DEP_1)
	v_add3_u32 v53, v53, v6, v7
	s_waitcnt lgkmcnt(0)
	v_add3_u32 v53, v53, v0, v1
	s_delay_alu instid0(VALU_DEP_1) | instskip(NEXT) | instid1(VALU_DEP_1)
	v_add3_u32 v3, v53, v2, v3
	v_mov_b32_dpp v53, v3 row_shr:1 row_mask:0xf bank_mask:0xf
	s_delay_alu instid0(VALU_DEP_1) | instskip(NEXT) | instid1(VALU_DEP_1)
	v_cndmask_b32_e64 v53, v53, 0, s0
	v_add_nc_u32_e32 v3, v53, v3
	s_delay_alu instid0(VALU_DEP_1) | instskip(NEXT) | instid1(VALU_DEP_1)
	v_mov_b32_dpp v53, v3 row_shr:2 row_mask:0xf bank_mask:0xf
	v_cndmask_b32_e64 v53, 0, v53, s1
	s_delay_alu instid0(VALU_DEP_1) | instskip(NEXT) | instid1(VALU_DEP_1)
	v_add_nc_u32_e32 v3, v3, v53
	v_mov_b32_dpp v53, v3 row_shr:4 row_mask:0xf bank_mask:0xf
	s_delay_alu instid0(VALU_DEP_1) | instskip(NEXT) | instid1(VALU_DEP_1)
	v_cndmask_b32_e64 v53, 0, v53, s2
	v_add_nc_u32_e32 v3, v3, v53
	s_delay_alu instid0(VALU_DEP_1) | instskip(NEXT) | instid1(VALU_DEP_1)
	v_mov_b32_dpp v53, v3 row_shr:8 row_mask:0xf bank_mask:0xf
	v_cndmask_b32_e64 v53, 0, v53, s3
	s_delay_alu instid0(VALU_DEP_1) | instskip(SKIP_3) | instid1(VALU_DEP_1)
	v_add_nc_u32_e32 v3, v3, v53
	ds_swizzle_b32 v53, v3 offset:swizzle(BROADCAST,32,15)
	s_waitcnt lgkmcnt(0)
	v_cndmask_b32_e64 v53, v53, 0, s4
	v_add_nc_u32_e32 v3, v3, v53
	s_and_saveexec_b32 s13, s5
	s_cbranch_execz .LBB214_22
; %bb.21:                               ;   in Loop: Header=BB214_4 Depth=2
	ds_store_b32 v20, v3
.LBB214_22:                             ;   in Loop: Header=BB214_4 Depth=2
	s_or_b32 exec_lo, exec_lo, s13
	s_waitcnt lgkmcnt(0)
	s_barrier
	buffer_gl0_inv
	s_and_saveexec_b32 s13, s6
	s_cbranch_execz .LBB214_24
; %bb.23:                               ;   in Loop: Header=BB214_4 Depth=2
	v_add_nc_u32_e32 v53, v14, v21
	ds_load_b32 v54, v53
	s_waitcnt lgkmcnt(0)
	v_mov_b32_dpp v55, v54 row_shr:1 row_mask:0xf bank_mask:0xf
	s_delay_alu instid0(VALU_DEP_1) | instskip(NEXT) | instid1(VALU_DEP_1)
	v_cndmask_b32_e64 v55, v55, 0, s10
	v_add_nc_u32_e32 v54, v55, v54
	s_delay_alu instid0(VALU_DEP_1) | instskip(NEXT) | instid1(VALU_DEP_1)
	v_mov_b32_dpp v55, v54 row_shr:2 row_mask:0xf bank_mask:0xf
	v_cndmask_b32_e64 v55, 0, v55, s11
	s_delay_alu instid0(VALU_DEP_1) | instskip(NEXT) | instid1(VALU_DEP_1)
	v_add_nc_u32_e32 v54, v54, v55
	v_mov_b32_dpp v55, v54 row_shr:4 row_mask:0xf bank_mask:0xf
	s_delay_alu instid0(VALU_DEP_1) | instskip(NEXT) | instid1(VALU_DEP_1)
	v_cndmask_b32_e64 v55, 0, v55, s12
	v_add_nc_u32_e32 v54, v54, v55
	ds_store_b32 v53, v54
.LBB214_24:                             ;   in Loop: Header=BB214_4 Depth=2
	s_or_b32 exec_lo, exec_lo, s13
	v_mov_b32_e32 v53, 0
	s_waitcnt lgkmcnt(0)
	s_barrier
	buffer_gl0_inv
	s_and_saveexec_b32 s13, s7
	s_cbranch_execz .LBB214_26
; %bb.25:                               ;   in Loop: Header=BB214_4 Depth=2
	ds_load_b32 v53, v22
.LBB214_26:                             ;   in Loop: Header=BB214_4 Depth=2
	s_or_b32 exec_lo, exec_lo, s13
	s_waitcnt lgkmcnt(0)
	v_add_nc_u32_e32 v3, v53, v3
	s_cmp_gt_u32 s16, 23
	ds_bpermute_b32 v3, v19, v3
	s_waitcnt lgkmcnt(0)
	v_cndmask_b32_e64 v3, v3, v53, s8
	s_delay_alu instid0(VALU_DEP_1) | instskip(NEXT) | instid1(VALU_DEP_1)
	v_cndmask_b32_e64 v3, v3, 0, s9
	v_add_nc_u32_e32 v4, v3, v4
	s_delay_alu instid0(VALU_DEP_1) | instskip(NEXT) | instid1(VALU_DEP_1)
	v_add_nc_u32_e32 v5, v4, v5
	v_add_nc_u32_e32 v6, v5, v6
	s_delay_alu instid0(VALU_DEP_1) | instskip(NEXT) | instid1(VALU_DEP_1)
	v_add_nc_u32_e32 v53, v6, v7
	;; [unrolled: 3-line block ×3, first 2 shown]
	v_add_nc_u32_e32 v1, v0, v2
	ds_store_2addr_b64 v14, v[3:4], v[5:6] offset0:3 offset1:4
	ds_store_2addr_b64 v17, v[53:54], v[0:1] offset0:2 offset1:3
	s_waitcnt lgkmcnt(0)
	s_barrier
	buffer_gl0_inv
	ds_load_b32 v0, v31
	ds_load_b32 v1, v34
	;; [unrolled: 1-line block ×8, first 2 shown]
	s_waitcnt lgkmcnt(7)
	v_add_nc_u32_e32 v40, v0, v30
	s_waitcnt lgkmcnt(6)
	v_add3_u32 v37, v33, v32, v1
	s_waitcnt lgkmcnt(5)
	v_add3_u32 v35, v36, v35, v2
	;; [unrolled: 2-line block ×7, first 2 shown]
	s_cbranch_scc0 .LBB214_3
; %bb.27:                               ;   in Loop: Header=BB214_2 Depth=1
                                        ; implicit-def: $vgpr7
                                        ; implicit-def: $vgpr5
                                        ; implicit-def: $vgpr3
                                        ; implicit-def: $vgpr1
                                        ; implicit-def: $sgpr16
	s_branch .LBB214_1
.LBB214_28:
	v_lshlrev_b32_e32 v0, 2, v9
	s_add_u32 s0, s18, s14
	s_addc_u32 s1, s19, s15
	s_delay_alu instid0(VALU_DEP_1) | instskip(NEXT) | instid1(VALU_DEP_1)
	v_add_co_u32 v9, s2, s0, v0
	v_add_co_ci_u32_e64 v10, null, s1, 0, s2
	s_delay_alu instid0(VALU_DEP_2) | instskip(NEXT) | instid1(VALU_DEP_2)
	v_add_co_u32 v9, vcc_lo, 0x1000, v9
	v_add_co_ci_u32_e32 v10, vcc_lo, 0, v10, vcc_lo
	s_clause 0x7
	global_store_b32 v0, v5, s[0:1]
	global_store_b32 v0, v6, s[0:1] offset:768
	global_store_b32 v0, v7, s[0:1] offset:1536
	;; [unrolled: 1-line block ×5, first 2 shown]
	global_store_b32 v[9:10], v3, off offset:512
	global_store_b32 v[9:10], v4, off offset:1280
	s_nop 0
	s_sendmsg sendmsg(MSG_DEALLOC_VGPRS)
	s_endpgm
	.section	.rodata,"a",@progbits
	.p2align	6, 0x0
	.amdhsa_kernel _Z16sort_keys_kernelI22helper_blocked_stripediLj192ELj8ELj10EEvPKT0_PS1_
		.amdhsa_group_segment_fixed_size 6176
		.amdhsa_private_segment_fixed_size 0
		.amdhsa_kernarg_size 272
		.amdhsa_user_sgpr_count 15
		.amdhsa_user_sgpr_dispatch_ptr 0
		.amdhsa_user_sgpr_queue_ptr 0
		.amdhsa_user_sgpr_kernarg_segment_ptr 1
		.amdhsa_user_sgpr_dispatch_id 0
		.amdhsa_user_sgpr_private_segment_size 0
		.amdhsa_wavefront_size32 1
		.amdhsa_uses_dynamic_stack 0
		.amdhsa_enable_private_segment 0
		.amdhsa_system_sgpr_workgroup_id_x 1
		.amdhsa_system_sgpr_workgroup_id_y 0
		.amdhsa_system_sgpr_workgroup_id_z 0
		.amdhsa_system_sgpr_workgroup_info 0
		.amdhsa_system_vgpr_workitem_id 2
		.amdhsa_next_free_vgpr 56
		.amdhsa_next_free_sgpr 22
		.amdhsa_reserve_vcc 1
		.amdhsa_float_round_mode_32 0
		.amdhsa_float_round_mode_16_64 0
		.amdhsa_float_denorm_mode_32 3
		.amdhsa_float_denorm_mode_16_64 3
		.amdhsa_dx10_clamp 1
		.amdhsa_ieee_mode 1
		.amdhsa_fp16_overflow 0
		.amdhsa_workgroup_processor_mode 1
		.amdhsa_memory_ordered 1
		.amdhsa_forward_progress 0
		.amdhsa_shared_vgpr_count 0
		.amdhsa_exception_fp_ieee_invalid_op 0
		.amdhsa_exception_fp_denorm_src 0
		.amdhsa_exception_fp_ieee_div_zero 0
		.amdhsa_exception_fp_ieee_overflow 0
		.amdhsa_exception_fp_ieee_underflow 0
		.amdhsa_exception_fp_ieee_inexact 0
		.amdhsa_exception_int_div_zero 0
	.end_amdhsa_kernel
	.section	.text._Z16sort_keys_kernelI22helper_blocked_stripediLj192ELj8ELj10EEvPKT0_PS1_,"axG",@progbits,_Z16sort_keys_kernelI22helper_blocked_stripediLj192ELj8ELj10EEvPKT0_PS1_,comdat
.Lfunc_end214:
	.size	_Z16sort_keys_kernelI22helper_blocked_stripediLj192ELj8ELj10EEvPKT0_PS1_, .Lfunc_end214-_Z16sort_keys_kernelI22helper_blocked_stripediLj192ELj8ELj10EEvPKT0_PS1_
                                        ; -- End function
	.section	.AMDGPU.csdata,"",@progbits
; Kernel info:
; codeLenInByte = 4496
; NumSgprs: 24
; NumVgprs: 56
; ScratchSize: 0
; MemoryBound: 0
; FloatMode: 240
; IeeeMode: 1
; LDSByteSize: 6176 bytes/workgroup (compile time only)
; SGPRBlocks: 2
; VGPRBlocks: 6
; NumSGPRsForWavesPerEU: 24
; NumVGPRsForWavesPerEU: 56
; Occupancy: 15
; WaveLimiterHint : 1
; COMPUTE_PGM_RSRC2:SCRATCH_EN: 0
; COMPUTE_PGM_RSRC2:USER_SGPR: 15
; COMPUTE_PGM_RSRC2:TRAP_HANDLER: 0
; COMPUTE_PGM_RSRC2:TGID_X_EN: 1
; COMPUTE_PGM_RSRC2:TGID_Y_EN: 0
; COMPUTE_PGM_RSRC2:TGID_Z_EN: 0
; COMPUTE_PGM_RSRC2:TIDIG_COMP_CNT: 2
	.section	.text._Z17sort_pairs_kernelI22helper_blocked_stripediLj192ELj8ELj10EEvPKT0_PS1_,"axG",@progbits,_Z17sort_pairs_kernelI22helper_blocked_stripediLj192ELj8ELj10EEvPKT0_PS1_,comdat
	.protected	_Z17sort_pairs_kernelI22helper_blocked_stripediLj192ELj8ELj10EEvPKT0_PS1_ ; -- Begin function _Z17sort_pairs_kernelI22helper_blocked_stripediLj192ELj8ELj10EEvPKT0_PS1_
	.globl	_Z17sort_pairs_kernelI22helper_blocked_stripediLj192ELj8ELj10EEvPKT0_PS1_
	.p2align	8
	.type	_Z17sort_pairs_kernelI22helper_blocked_stripediLj192ELj8ELj10EEvPKT0_PS1_,@function
_Z17sort_pairs_kernelI22helper_blocked_stripediLj192ELj8ELj10EEvPKT0_PS1_: ; @_Z17sort_pairs_kernelI22helper_blocked_stripediLj192ELj8ELj10EEvPKT0_PS1_
; %bb.0:
	s_clause 0x1
	s_load_b128 s[16:19], s[0:1], 0x0
	s_load_b32 s12, s[0:1], 0x1c
	s_mov_b32 s21, 0
	s_mul_i32 s20, s15, 0x600
	v_mbcnt_lo_u32_b32 v12, -1, 0
	s_lshl_b64 s[14:15], s[20:21], 2
	s_mov_b32 s20, s21
	s_delay_alu instid0(SALU_CYCLE_1) | instskip(SKIP_3) | instid1(VALU_DEP_4)
	v_dual_mov_b32 v10, s20 :: v_dual_and_b32 v9, 0x3ff, v0
	v_mov_b32_e32 v11, s21
	v_bfe_u32 v13, v0, 10, 10
	v_bfe_u32 v0, v0, 20, 10
	v_lshlrev_b32_e32 v26, 5, v9
	v_add_nc_u32_e32 v16, -1, v12
	v_and_b32_e32 v17, 7, v12
	v_lshlrev_b32_e32 v18, 3, v9
	v_cmp_gt_u32_e64 s6, 6, v9
	v_cmp_lt_u32_e64 s7, 31, v9
	v_cmp_gt_i32_e32 vcc_lo, 0, v16
	v_and_b32_e32 v19, 0xe0, v9
	s_waitcnt lgkmcnt(0)
	s_add_u32 s0, s16, s14
	s_addc_u32 s1, s17, s15
	s_lshr_b32 s13, s12, 16
	s_clause 0x1
	global_load_b128 v[5:8], v26, s[0:1]
	global_load_b128 v[1:4], v26, s[0:1] offset:16
	s_mov_b32 s16, s21
	s_mov_b32 s17, s21
	v_and_b32_e32 v14, 15, v12
	v_mad_u32_u24 v0, v0, s13, v13
	s_and_b32 s12, s12, 0xffff
	v_and_b32_e32 v15, 16, v12
	v_cmp_eq_u32_e64 s0, 0, v12
	v_cmp_eq_u32_e64 s1, 0, v14
	v_cmp_lt_u32_e64 s2, 1, v14
	v_cmp_lt_u32_e64 s3, 3, v14
	;; [unrolled: 1-line block ×3, first 2 shown]
	v_cndmask_b32_e32 v14, v16, v12, vcc_lo
	v_cmp_eq_u32_e64 s9, 0, v17
	v_cmp_lt_u32_e64 s10, 1, v17
	v_cmp_lt_u32_e64 s11, 3, v17
	v_or_b32_e32 v16, v12, v19
	v_and_or_b32 v17, 0x700, v18, v12
	v_mad_u64_u32 v[12:13], null, v0, s12, v[9:10]
	v_min_u32_e32 v18, 0xa0, v19
	v_cmp_eq_u32_e64 s8, 0, v9
	v_mul_i32_i24_e32 v27, 0xffffffe4, v9
	v_or_b32_e32 v28, 24, v26
	v_lshlrev_b32_e32 v30, 2, v14
	v_or_b32_e32 v0, 31, v18
	v_lshrrev_b32_e32 v34, 5, v12
	v_mov_b32_e32 v12, s16
	v_cmp_eq_u32_e64 s5, 0, v15
	v_lshrrev_b32_e32 v15, 3, v9
	v_lshlrev_b32_e32 v31, 5, v16
	v_lshlrev_b32_e32 v32, 2, v17
	v_cmp_eq_u32_e64 s12, v0, v9
	v_mov_b32_e32 v13, s17
	v_and_b32_e32 v29, 28, v15
	s_delay_alu instid0(VALU_DEP_1)
	v_add_nc_u32_e32 v33, -4, v29
	s_waitcnt vmcnt(1)
	v_add_nc_u32_e32 v22, 1, v5
	v_add_nc_u32_e32 v23, 1, v6
	;; [unrolled: 1-line block ×4, first 2 shown]
	s_waitcnt vmcnt(0)
	v_add_nc_u32_e32 v16, 1, v1
	v_add_nc_u32_e32 v17, 1, v2
	;; [unrolled: 1-line block ×4, first 2 shown]
	s_branch .LBB215_2
.LBB215_1:                              ;   in Loop: Header=BB215_2 Depth=1
	v_lshlrev_b32_e32 v4, 2, v58
	v_lshlrev_b32_e32 v6, 2, v54
	;; [unrolled: 1-line block ×4, first 2 shown]
	s_barrier
	buffer_gl0_inv
	ds_store_b32 v4, v23
	ds_store_b32 v5, v45
	ds_store_b32 v6, v44
	v_lshlrev_b32_e32 v14, 2, v49
	ds_store_b32 v7, v43
	v_lshlrev_b32_e32 v17, 2, v46
	v_add_nc_u32_e32 v43, v26, v27
	v_lshlrev_b32_e32 v15, 2, v48
	v_lshlrev_b32_e32 v16, 2, v47
	ds_store_b32 v14, v25
	ds_store_b32 v15, v24
	;; [unrolled: 1-line block ×4, first 2 shown]
	s_waitcnt lgkmcnt(0)
	s_barrier
	buffer_gl0_inv
	ds_load_2addr_stride64_b32 v[0:1], v43 offset1:3
	ds_load_2addr_stride64_b32 v[2:3], v43 offset0:6 offset1:9
	ds_load_2addr_stride64_b32 v[18:19], v43 offset0:12 offset1:15
	;; [unrolled: 1-line block ×3, first 2 shown]
	s_waitcnt lgkmcnt(0)
	s_barrier
	buffer_gl0_inv
	ds_store_b32 v4, v42
	ds_store_b32 v5, v41
	;; [unrolled: 1-line block ×8, first 2 shown]
	s_waitcnt lgkmcnt(0)
	s_barrier
	buffer_gl0_inv
	ds_load_2addr_stride64_b32 v[22:23], v43 offset1:3
	ds_load_2addr_stride64_b32 v[24:25], v43 offset0:6 offset1:9
	ds_load_2addr_stride64_b32 v[16:17], v43 offset0:12 offset1:15
	;; [unrolled: 1-line block ×3, first 2 shown]
	s_add_i32 s21, s21, 1
	s_delay_alu instid0(SALU_CYCLE_1)
	s_cmp_eq_u32 s21, 10
	v_xor_b32_e32 v5, 0x80000000, v0
	v_xor_b32_e32 v6, 0x80000000, v1
	;; [unrolled: 1-line block ×8, first 2 shown]
	s_cbranch_scc1 .LBB215_28
.LBB215_2:                              ; =>This Loop Header: Depth=1
                                        ;     Child Loop BB215_4 Depth 2
	v_xor_b32_e32 v5, 0x80000000, v5
	v_xor_b32_e32 v6, 0x80000000, v6
	;; [unrolled: 1-line block ×8, first 2 shown]
	ds_store_2addr_b64 v31, v[5:6], v[7:8] offset1:1
	ds_store_2addr_b64 v31, v[0:1], v[2:3] offset0:2 offset1:3
	; wave barrier
	ds_load_2addr_b32 v[0:1], v32 offset1:32
	ds_load_2addr_b32 v[2:3], v32 offset0:64 offset1:96
	ds_load_2addr_b32 v[18:19], v32 offset0:128 offset1:160
	;; [unrolled: 1-line block ×3, first 2 shown]
	; wave barrier
	s_waitcnt lgkmcnt(8)
	ds_store_2addr_b64 v31, v[22:23], v[24:25] offset1:1
	s_waitcnt lgkmcnt(7)
	ds_store_2addr_b64 v31, v[16:17], v[14:15] offset0:2 offset1:3
	; wave barrier
	ds_load_2addr_b32 v[4:5], v32 offset1:32
	ds_load_2addr_b32 v[6:7], v32 offset0:64 offset1:96
	ds_load_2addr_b32 v[14:15], v32 offset0:128 offset1:160
	;; [unrolled: 1-line block ×3, first 2 shown]
	s_mov_b32 s16, 0
	s_waitcnt lgkmcnt(0)
	s_barrier
	s_branch .LBB215_4
.LBB215_3:                              ;   in Loop: Header=BB215_4 Depth=2
	v_lshlrev_b32_e32 v4, 2, v58
	v_lshlrev_b32_e32 v7, 2, v51
	;; [unrolled: 1-line block ×8, first 2 shown]
	s_barrier
	buffer_gl0_inv
	ds_store_b32 v4, v23
	ds_store_b32 v5, v45
	;; [unrolled: 1-line block ×8, first 2 shown]
	s_waitcnt lgkmcnt(0)
	s_barrier
	buffer_gl0_inv
	ds_load_2addr_b32 v[0:1], v32 offset1:32
	ds_load_2addr_b32 v[2:3], v32 offset0:64 offset1:96
	ds_load_2addr_b32 v[18:19], v32 offset0:128 offset1:160
	;; [unrolled: 1-line block ×3, first 2 shown]
	s_waitcnt lgkmcnt(0)
	s_barrier
	buffer_gl0_inv
	ds_store_b32 v4, v42
	ds_store_b32 v5, v41
	;; [unrolled: 1-line block ×8, first 2 shown]
	s_waitcnt lgkmcnt(0)
	s_barrier
	buffer_gl0_inv
	ds_load_2addr_b32 v[4:5], v32 offset1:32
	ds_load_2addr_b32 v[6:7], v32 offset0:64 offset1:96
	ds_load_2addr_b32 v[14:15], v32 offset0:128 offset1:160
	;; [unrolled: 1-line block ×3, first 2 shown]
	s_add_i32 s16, s16, 8
	s_waitcnt lgkmcnt(0)
	s_barrier
	s_cbranch_execz .LBB215_1
.LBB215_4:                              ;   Parent Loop BB215_2 Depth=1
                                        ; =>  This Inner Loop Header: Depth=2
	v_dual_mov_b32 v23, v0 :: v_dual_mov_b32 v8, v21
	v_mov_b32_e32 v24, v19
	v_dual_mov_b32 v22, v20 :: v_dual_mov_b32 v25, v18
	s_delay_alu instid0(VALU_DEP_3)
	v_bfe_u32 v0, v23, s16, 1
	v_lshrrev_b32_e32 v19, s16, v23
	v_mov_b32_e32 v40, v6
	v_mov_b32_e32 v42, v4
	buffer_gl0_inv
	v_add_co_u32 v0, s13, v0, -1
	s_delay_alu instid0(VALU_DEP_1) | instskip(SKIP_3) | instid1(VALU_DEP_4)
	v_cndmask_b32_e64 v18, 0, 1, s13
	v_dual_mov_b32 v43, v3 :: v_dual_lshlrev_b32 v20, 30, v19
	v_lshlrev_b32_e32 v21, 29, v19
	v_dual_mov_b32 v44, v2 :: v_dual_lshlrev_b32 v35, 28, v19
	v_cmp_ne_u32_e32 vcc_lo, 0, v18
	s_delay_alu instid0(VALU_DEP_4)
	v_not_b32_e32 v18, v20
	v_cmp_gt_i32_e64 s13, 0, v20
	v_not_b32_e32 v20, v21
	v_dual_mov_b32 v45, v1 :: v_dual_lshlrev_b32 v36, 27, v19
	v_xor_b32_e32 v0, vcc_lo, v0
	v_ashrrev_i32_e32 v18, 31, v18
	v_cmp_gt_i32_e32 vcc_lo, 0, v21
	v_not_b32_e32 v21, v35
	v_ashrrev_i32_e32 v20, 31, v20
	v_and_b32_e32 v0, exec_lo, v0
	v_xor_b32_e32 v18, s13, v18
	v_lshlrev_b32_e32 v37, 26, v19
	v_cmp_gt_i32_e64 s13, 0, v35
	v_not_b32_e32 v35, v36
	v_ashrrev_i32_e32 v21, 31, v21
	v_xor_b32_e32 v20, vcc_lo, v20
	v_and_b32_e32 v0, v0, v18
	v_cmp_gt_i32_e32 vcc_lo, 0, v36
	v_ashrrev_i32_e32 v35, 31, v35
	v_xor_b32_e32 v21, s13, v21
	v_mov_b32_e32 v36, v16
	v_not_b32_e32 v18, v37
	v_cmp_gt_i32_e64 s13, 0, v37
	v_dual_mov_b32 v37, v15 :: v_dual_and_b32 v0, v0, v20
	v_dual_mov_b32 v39, v7 :: v_dual_lshlrev_b32 v20, 25, v19
	v_mov_b32_e32 v41, v5
	v_ashrrev_i32_e32 v18, 31, v18
	v_xor_b32_e32 v35, vcc_lo, v35
	v_and_b32_e32 v0, v0, v21
	v_not_b32_e32 v21, v20
	v_dual_mov_b32 v38, v14 :: v_dual_lshlrev_b32 v19, 24, v19
	v_cmp_gt_i32_e32 vcc_lo, 0, v20
	v_xor_b32_e32 v18, s13, v18
	v_and_b32_e32 v0, v0, v35
	v_ashrrev_i32_e32 v20, 31, v21
	v_not_b32_e32 v3, v19
	v_mov_b32_e32 v35, v17
	ds_store_2addr_b64 v26, v[10:11], v[12:13] offset0:3 offset1:4
	ds_store_2addr_b64 v28, v[10:11], v[12:13] offset0:2 offset1:3
	v_and_b32_e32 v0, v0, v18
	v_xor_b32_e32 v2, vcc_lo, v20
	v_cmp_gt_i32_e32 vcc_lo, 0, v19
	v_ashrrev_i32_e32 v3, 31, v3
	s_waitcnt lgkmcnt(0)
	s_barrier
	v_and_b32_e32 v0, v0, v2
	buffer_gl0_inv
	v_xor_b32_e32 v1, vcc_lo, v3
	; wave barrier
	s_delay_alu instid0(VALU_DEP_1) | instskip(SKIP_1) | instid1(VALU_DEP_2)
	v_and_b32_e32 v0, v0, v1
	v_bfe_u32 v1, v23, s16, 8
	v_mbcnt_lo_u32_b32 v14, v0, 0
	s_delay_alu instid0(VALU_DEP_2) | instskip(SKIP_1) | instid1(VALU_DEP_3)
	v_mad_u32_u24 v1, v1, 6, v34
	v_cmp_ne_u32_e64 s13, 0, v0
	v_cmp_eq_u32_e32 vcc_lo, 0, v14
	s_delay_alu instid0(VALU_DEP_3) | instskip(NEXT) | instid1(VALU_DEP_3)
	v_lshl_add_u32 v15, v1, 2, 24
	s_and_b32 s17, s13, vcc_lo
	s_delay_alu instid0(SALU_CYCLE_1)
	s_and_saveexec_b32 s13, s17
	s_cbranch_execz .LBB215_6
; %bb.5:                                ;   in Loop: Header=BB215_4 Depth=2
	v_bcnt_u32_b32 v0, v0, 0
	ds_store_b32 v15, v0
.LBB215_6:                              ;   in Loop: Header=BB215_4 Depth=2
	s_or_b32 exec_lo, exec_lo, s13
	v_bfe_u32 v0, v45, s16, 1
	v_lshrrev_b32_e32 v1, s16, v45
	; wave barrier
	s_delay_alu instid0(VALU_DEP_2) | instskip(NEXT) | instid1(VALU_DEP_1)
	v_add_co_u32 v0, s13, v0, -1
	v_cndmask_b32_e64 v2, 0, 1, s13
	s_delay_alu instid0(VALU_DEP_3)
	v_lshlrev_b32_e32 v3, 30, v1
	v_lshlrev_b32_e32 v4, 29, v1
	;; [unrolled: 1-line block ×4, first 2 shown]
	v_cmp_ne_u32_e32 vcc_lo, 0, v2
	v_not_b32_e32 v2, v3
	v_cmp_gt_i32_e64 s13, 0, v3
	v_not_b32_e32 v3, v4
	v_lshlrev_b32_e32 v7, 26, v1
	v_xor_b32_e32 v0, vcc_lo, v0
	v_ashrrev_i32_e32 v2, 31, v2
	v_cmp_gt_i32_e32 vcc_lo, 0, v4
	v_not_b32_e32 v4, v5
	v_ashrrev_i32_e32 v3, 31, v3
	v_and_b32_e32 v0, exec_lo, v0
	v_xor_b32_e32 v2, s13, v2
	v_cmp_gt_i32_e64 s13, 0, v5
	v_not_b32_e32 v5, v6
	v_ashrrev_i32_e32 v4, 31, v4
	v_xor_b32_e32 v3, vcc_lo, v3
	v_and_b32_e32 v0, v0, v2
	v_cmp_gt_i32_e32 vcc_lo, 0, v6
	v_not_b32_e32 v2, v7
	v_ashrrev_i32_e32 v5, 31, v5
	v_xor_b32_e32 v4, s13, v4
	v_and_b32_e32 v0, v0, v3
	v_lshlrev_b32_e32 v3, 25, v1
	v_cmp_gt_i32_e64 s13, 0, v7
	v_ashrrev_i32_e32 v2, 31, v2
	v_xor_b32_e32 v5, vcc_lo, v5
	v_and_b32_e32 v0, v0, v4
	v_not_b32_e32 v6, v3
	v_lshlrev_b32_e32 v1, 24, v1
	v_bfe_u32 v4, v45, s16, 8
	v_xor_b32_e32 v2, s13, v2
	v_and_b32_e32 v0, v0, v5
	v_cmp_gt_i32_e32 vcc_lo, 0, v3
	v_ashrrev_i32_e32 v3, 31, v6
	v_not_b32_e32 v5, v1
	v_mul_u32_u24_e32 v4, 6, v4
	v_and_b32_e32 v0, v0, v2
	s_delay_alu instid0(VALU_DEP_4) | instskip(SKIP_3) | instid1(VALU_DEP_4)
	v_xor_b32_e32 v2, vcc_lo, v3
	v_cmp_gt_i32_e32 vcc_lo, 0, v1
	v_ashrrev_i32_e32 v1, 31, v5
	v_add_lshl_u32 v3, v4, v34, 2
	v_and_b32_e32 v0, v0, v2
	s_delay_alu instid0(VALU_DEP_3) | instskip(SKIP_3) | instid1(VALU_DEP_1)
	v_xor_b32_e32 v1, vcc_lo, v1
	ds_load_b32 v16, v3 offset:24
	v_add_nc_u32_e32 v18, 24, v3
	; wave barrier
	v_and_b32_e32 v0, v0, v1
	v_mbcnt_lo_u32_b32 v17, v0, 0
	v_cmp_ne_u32_e64 s13, 0, v0
	s_delay_alu instid0(VALU_DEP_2) | instskip(NEXT) | instid1(VALU_DEP_2)
	v_cmp_eq_u32_e32 vcc_lo, 0, v17
	s_and_b32 s17, s13, vcc_lo
	s_delay_alu instid0(SALU_CYCLE_1)
	s_and_saveexec_b32 s13, s17
	s_cbranch_execz .LBB215_8
; %bb.7:                                ;   in Loop: Header=BB215_4 Depth=2
	s_waitcnt lgkmcnt(0)
	v_bcnt_u32_b32 v0, v0, v16
	ds_store_b32 v18, v0
.LBB215_8:                              ;   in Loop: Header=BB215_4 Depth=2
	s_or_b32 exec_lo, exec_lo, s13
	v_bfe_u32 v0, v44, s16, 1
	v_lshrrev_b32_e32 v1, s16, v44
	; wave barrier
	s_delay_alu instid0(VALU_DEP_2) | instskip(NEXT) | instid1(VALU_DEP_1)
	v_add_co_u32 v0, s13, v0, -1
	v_cndmask_b32_e64 v2, 0, 1, s13
	s_delay_alu instid0(VALU_DEP_3)
	v_lshlrev_b32_e32 v3, 30, v1
	v_lshlrev_b32_e32 v4, 29, v1
	;; [unrolled: 1-line block ×4, first 2 shown]
	v_cmp_ne_u32_e32 vcc_lo, 0, v2
	v_not_b32_e32 v2, v3
	v_cmp_gt_i32_e64 s13, 0, v3
	v_not_b32_e32 v3, v4
	v_lshlrev_b32_e32 v7, 26, v1
	v_xor_b32_e32 v0, vcc_lo, v0
	v_ashrrev_i32_e32 v2, 31, v2
	v_cmp_gt_i32_e32 vcc_lo, 0, v4
	v_not_b32_e32 v4, v5
	v_ashrrev_i32_e32 v3, 31, v3
	v_and_b32_e32 v0, exec_lo, v0
	v_xor_b32_e32 v2, s13, v2
	v_cmp_gt_i32_e64 s13, 0, v5
	v_not_b32_e32 v5, v6
	v_ashrrev_i32_e32 v4, 31, v4
	v_xor_b32_e32 v3, vcc_lo, v3
	v_and_b32_e32 v0, v0, v2
	v_cmp_gt_i32_e32 vcc_lo, 0, v6
	v_not_b32_e32 v2, v7
	v_ashrrev_i32_e32 v5, 31, v5
	v_xor_b32_e32 v4, s13, v4
	v_and_b32_e32 v0, v0, v3
	v_lshlrev_b32_e32 v3, 25, v1
	v_cmp_gt_i32_e64 s13, 0, v7
	v_ashrrev_i32_e32 v2, 31, v2
	v_xor_b32_e32 v5, vcc_lo, v5
	v_and_b32_e32 v0, v0, v4
	v_not_b32_e32 v6, v3
	v_lshlrev_b32_e32 v1, 24, v1
	v_bfe_u32 v4, v44, s16, 8
	v_xor_b32_e32 v2, s13, v2
	v_and_b32_e32 v0, v0, v5
	v_cmp_gt_i32_e32 vcc_lo, 0, v3
	v_ashrrev_i32_e32 v3, 31, v6
	v_not_b32_e32 v5, v1
	v_mul_u32_u24_e32 v4, 6, v4
	v_and_b32_e32 v0, v0, v2
	s_delay_alu instid0(VALU_DEP_4) | instskip(SKIP_3) | instid1(VALU_DEP_4)
	v_xor_b32_e32 v2, vcc_lo, v3
	v_cmp_gt_i32_e32 vcc_lo, 0, v1
	v_ashrrev_i32_e32 v1, 31, v5
	v_add_lshl_u32 v3, v4, v34, 2
	v_and_b32_e32 v0, v0, v2
	s_delay_alu instid0(VALU_DEP_3) | instskip(SKIP_3) | instid1(VALU_DEP_1)
	v_xor_b32_e32 v1, vcc_lo, v1
	ds_load_b32 v19, v3 offset:24
	v_add_nc_u32_e32 v21, 24, v3
	; wave barrier
	v_and_b32_e32 v0, v0, v1
	v_mbcnt_lo_u32_b32 v20, v0, 0
	v_cmp_ne_u32_e64 s13, 0, v0
	s_delay_alu instid0(VALU_DEP_2) | instskip(NEXT) | instid1(VALU_DEP_2)
	v_cmp_eq_u32_e32 vcc_lo, 0, v20
	s_and_b32 s17, s13, vcc_lo
	s_delay_alu instid0(SALU_CYCLE_1)
	s_and_saveexec_b32 s13, s17
	s_cbranch_execz .LBB215_10
; %bb.9:                                ;   in Loop: Header=BB215_4 Depth=2
	s_waitcnt lgkmcnt(0)
	v_bcnt_u32_b32 v0, v0, v19
	ds_store_b32 v21, v0
.LBB215_10:                             ;   in Loop: Header=BB215_4 Depth=2
	s_or_b32 exec_lo, exec_lo, s13
	v_bfe_u32 v0, v43, s16, 1
	v_lshrrev_b32_e32 v1, s16, v43
	; wave barrier
	s_delay_alu instid0(VALU_DEP_2) | instskip(NEXT) | instid1(VALU_DEP_1)
	v_add_co_u32 v0, s13, v0, -1
	v_cndmask_b32_e64 v2, 0, 1, s13
	s_delay_alu instid0(VALU_DEP_3)
	v_lshlrev_b32_e32 v3, 30, v1
	v_lshlrev_b32_e32 v4, 29, v1
	;; [unrolled: 1-line block ×4, first 2 shown]
	v_cmp_ne_u32_e32 vcc_lo, 0, v2
	v_not_b32_e32 v2, v3
	v_cmp_gt_i32_e64 s13, 0, v3
	v_not_b32_e32 v3, v4
	v_lshlrev_b32_e32 v7, 26, v1
	v_xor_b32_e32 v0, vcc_lo, v0
	v_ashrrev_i32_e32 v2, 31, v2
	v_cmp_gt_i32_e32 vcc_lo, 0, v4
	v_not_b32_e32 v4, v5
	v_ashrrev_i32_e32 v3, 31, v3
	v_and_b32_e32 v0, exec_lo, v0
	v_xor_b32_e32 v2, s13, v2
	v_cmp_gt_i32_e64 s13, 0, v5
	v_not_b32_e32 v5, v6
	v_ashrrev_i32_e32 v4, 31, v4
	v_xor_b32_e32 v3, vcc_lo, v3
	v_and_b32_e32 v0, v0, v2
	v_cmp_gt_i32_e32 vcc_lo, 0, v6
	v_not_b32_e32 v2, v7
	v_ashrrev_i32_e32 v5, 31, v5
	v_xor_b32_e32 v4, s13, v4
	v_and_b32_e32 v0, v0, v3
	v_lshlrev_b32_e32 v3, 25, v1
	v_cmp_gt_i32_e64 s13, 0, v7
	v_ashrrev_i32_e32 v2, 31, v2
	v_xor_b32_e32 v5, vcc_lo, v5
	v_and_b32_e32 v0, v0, v4
	v_not_b32_e32 v6, v3
	v_lshlrev_b32_e32 v1, 24, v1
	v_bfe_u32 v4, v43, s16, 8
	v_xor_b32_e32 v2, s13, v2
	v_and_b32_e32 v0, v0, v5
	v_cmp_gt_i32_e32 vcc_lo, 0, v3
	v_ashrrev_i32_e32 v3, 31, v6
	v_not_b32_e32 v5, v1
	v_mul_u32_u24_e32 v4, 6, v4
	v_and_b32_e32 v0, v0, v2
	s_delay_alu instid0(VALU_DEP_4) | instskip(SKIP_3) | instid1(VALU_DEP_4)
	v_xor_b32_e32 v2, vcc_lo, v3
	v_cmp_gt_i32_e32 vcc_lo, 0, v1
	v_ashrrev_i32_e32 v1, 31, v5
	v_add_lshl_u32 v3, v4, v34, 2
	v_and_b32_e32 v0, v0, v2
	s_delay_alu instid0(VALU_DEP_3) | instskip(SKIP_3) | instid1(VALU_DEP_1)
	v_xor_b32_e32 v1, vcc_lo, v1
	ds_load_b32 v46, v3 offset:24
	v_add_nc_u32_e32 v48, 24, v3
	; wave barrier
	v_and_b32_e32 v0, v0, v1
	v_mbcnt_lo_u32_b32 v47, v0, 0
	v_cmp_ne_u32_e64 s13, 0, v0
	s_delay_alu instid0(VALU_DEP_2) | instskip(NEXT) | instid1(VALU_DEP_2)
	v_cmp_eq_u32_e32 vcc_lo, 0, v47
	s_and_b32 s17, s13, vcc_lo
	s_delay_alu instid0(SALU_CYCLE_1)
	s_and_saveexec_b32 s13, s17
	s_cbranch_execz .LBB215_12
; %bb.11:                               ;   in Loop: Header=BB215_4 Depth=2
	s_waitcnt lgkmcnt(0)
	v_bcnt_u32_b32 v0, v0, v46
	ds_store_b32 v48, v0
.LBB215_12:                             ;   in Loop: Header=BB215_4 Depth=2
	s_or_b32 exec_lo, exec_lo, s13
	v_bfe_u32 v0, v25, s16, 1
	v_lshrrev_b32_e32 v1, s16, v25
	; wave barrier
	s_delay_alu instid0(VALU_DEP_2) | instskip(NEXT) | instid1(VALU_DEP_1)
	v_add_co_u32 v0, s13, v0, -1
	v_cndmask_b32_e64 v2, 0, 1, s13
	s_delay_alu instid0(VALU_DEP_3)
	v_lshlrev_b32_e32 v3, 30, v1
	v_lshlrev_b32_e32 v4, 29, v1
	;; [unrolled: 1-line block ×4, first 2 shown]
	v_cmp_ne_u32_e32 vcc_lo, 0, v2
	v_not_b32_e32 v2, v3
	v_cmp_gt_i32_e64 s13, 0, v3
	v_not_b32_e32 v3, v4
	v_lshlrev_b32_e32 v7, 26, v1
	v_xor_b32_e32 v0, vcc_lo, v0
	v_ashrrev_i32_e32 v2, 31, v2
	v_cmp_gt_i32_e32 vcc_lo, 0, v4
	v_not_b32_e32 v4, v5
	v_ashrrev_i32_e32 v3, 31, v3
	v_and_b32_e32 v0, exec_lo, v0
	v_xor_b32_e32 v2, s13, v2
	v_cmp_gt_i32_e64 s13, 0, v5
	v_not_b32_e32 v5, v6
	v_ashrrev_i32_e32 v4, 31, v4
	v_xor_b32_e32 v3, vcc_lo, v3
	v_and_b32_e32 v0, v0, v2
	v_cmp_gt_i32_e32 vcc_lo, 0, v6
	v_not_b32_e32 v2, v7
	v_ashrrev_i32_e32 v5, 31, v5
	v_xor_b32_e32 v4, s13, v4
	v_and_b32_e32 v0, v0, v3
	v_lshlrev_b32_e32 v3, 25, v1
	v_cmp_gt_i32_e64 s13, 0, v7
	v_ashrrev_i32_e32 v2, 31, v2
	v_xor_b32_e32 v5, vcc_lo, v5
	v_and_b32_e32 v0, v0, v4
	v_not_b32_e32 v6, v3
	v_lshlrev_b32_e32 v1, 24, v1
	v_bfe_u32 v4, v25, s16, 8
	v_xor_b32_e32 v2, s13, v2
	v_and_b32_e32 v0, v0, v5
	v_cmp_gt_i32_e32 vcc_lo, 0, v3
	v_ashrrev_i32_e32 v3, 31, v6
	v_not_b32_e32 v5, v1
	v_mul_u32_u24_e32 v4, 6, v4
	v_and_b32_e32 v0, v0, v2
	s_delay_alu instid0(VALU_DEP_4) | instskip(SKIP_3) | instid1(VALU_DEP_4)
	v_xor_b32_e32 v2, vcc_lo, v3
	v_cmp_gt_i32_e32 vcc_lo, 0, v1
	v_ashrrev_i32_e32 v1, 31, v5
	v_add_lshl_u32 v3, v4, v34, 2
	v_and_b32_e32 v0, v0, v2
	s_delay_alu instid0(VALU_DEP_3) | instskip(SKIP_3) | instid1(VALU_DEP_1)
	v_xor_b32_e32 v1, vcc_lo, v1
	ds_load_b32 v49, v3 offset:24
	v_add_nc_u32_e32 v51, 24, v3
	; wave barrier
	v_and_b32_e32 v0, v0, v1
	v_mbcnt_lo_u32_b32 v50, v0, 0
	v_cmp_ne_u32_e64 s13, 0, v0
	s_delay_alu instid0(VALU_DEP_2) | instskip(NEXT) | instid1(VALU_DEP_2)
	v_cmp_eq_u32_e32 vcc_lo, 0, v50
	s_and_b32 s17, s13, vcc_lo
	s_delay_alu instid0(SALU_CYCLE_1)
	s_and_saveexec_b32 s13, s17
	s_cbranch_execz .LBB215_14
; %bb.13:                               ;   in Loop: Header=BB215_4 Depth=2
	s_waitcnt lgkmcnt(0)
	v_bcnt_u32_b32 v0, v0, v49
	ds_store_b32 v51, v0
.LBB215_14:                             ;   in Loop: Header=BB215_4 Depth=2
	s_or_b32 exec_lo, exec_lo, s13
	v_bfe_u32 v0, v24, s16, 1
	v_lshrrev_b32_e32 v1, s16, v24
	; wave barrier
	s_delay_alu instid0(VALU_DEP_2) | instskip(NEXT) | instid1(VALU_DEP_1)
	v_add_co_u32 v0, s13, v0, -1
	v_cndmask_b32_e64 v2, 0, 1, s13
	s_delay_alu instid0(VALU_DEP_3)
	v_lshlrev_b32_e32 v3, 30, v1
	v_lshlrev_b32_e32 v4, 29, v1
	;; [unrolled: 1-line block ×4, first 2 shown]
	v_cmp_ne_u32_e32 vcc_lo, 0, v2
	v_not_b32_e32 v2, v3
	v_cmp_gt_i32_e64 s13, 0, v3
	v_not_b32_e32 v3, v4
	v_lshlrev_b32_e32 v7, 26, v1
	v_xor_b32_e32 v0, vcc_lo, v0
	v_ashrrev_i32_e32 v2, 31, v2
	v_cmp_gt_i32_e32 vcc_lo, 0, v4
	v_not_b32_e32 v4, v5
	v_ashrrev_i32_e32 v3, 31, v3
	v_and_b32_e32 v0, exec_lo, v0
	v_xor_b32_e32 v2, s13, v2
	v_cmp_gt_i32_e64 s13, 0, v5
	v_not_b32_e32 v5, v6
	v_ashrrev_i32_e32 v4, 31, v4
	v_xor_b32_e32 v3, vcc_lo, v3
	v_and_b32_e32 v0, v0, v2
	v_cmp_gt_i32_e32 vcc_lo, 0, v6
	v_not_b32_e32 v2, v7
	v_ashrrev_i32_e32 v5, 31, v5
	v_xor_b32_e32 v4, s13, v4
	v_and_b32_e32 v0, v0, v3
	v_lshlrev_b32_e32 v3, 25, v1
	v_cmp_gt_i32_e64 s13, 0, v7
	v_ashrrev_i32_e32 v2, 31, v2
	v_xor_b32_e32 v5, vcc_lo, v5
	v_and_b32_e32 v0, v0, v4
	v_not_b32_e32 v6, v3
	v_lshlrev_b32_e32 v1, 24, v1
	v_bfe_u32 v4, v24, s16, 8
	v_xor_b32_e32 v2, s13, v2
	v_and_b32_e32 v0, v0, v5
	v_cmp_gt_i32_e32 vcc_lo, 0, v3
	v_ashrrev_i32_e32 v3, 31, v6
	v_not_b32_e32 v5, v1
	v_mul_u32_u24_e32 v4, 6, v4
	v_and_b32_e32 v0, v0, v2
	s_delay_alu instid0(VALU_DEP_4) | instskip(SKIP_3) | instid1(VALU_DEP_4)
	v_xor_b32_e32 v2, vcc_lo, v3
	v_cmp_gt_i32_e32 vcc_lo, 0, v1
	v_ashrrev_i32_e32 v1, 31, v5
	v_add_lshl_u32 v3, v4, v34, 2
	v_and_b32_e32 v0, v0, v2
	s_delay_alu instid0(VALU_DEP_3) | instskip(SKIP_3) | instid1(VALU_DEP_1)
	v_xor_b32_e32 v1, vcc_lo, v1
	ds_load_b32 v52, v3 offset:24
	v_add_nc_u32_e32 v54, 24, v3
	; wave barrier
	v_and_b32_e32 v0, v0, v1
	v_mbcnt_lo_u32_b32 v53, v0, 0
	v_cmp_ne_u32_e64 s13, 0, v0
	s_delay_alu instid0(VALU_DEP_2) | instskip(NEXT) | instid1(VALU_DEP_2)
	v_cmp_eq_u32_e32 vcc_lo, 0, v53
	s_and_b32 s17, s13, vcc_lo
	s_delay_alu instid0(SALU_CYCLE_1)
	s_and_saveexec_b32 s13, s17
	s_cbranch_execz .LBB215_16
; %bb.15:                               ;   in Loop: Header=BB215_4 Depth=2
	s_waitcnt lgkmcnt(0)
	v_bcnt_u32_b32 v0, v0, v52
	ds_store_b32 v54, v0
.LBB215_16:                             ;   in Loop: Header=BB215_4 Depth=2
	s_or_b32 exec_lo, exec_lo, s13
	v_bfe_u32 v0, v22, s16, 1
	v_lshrrev_b32_e32 v1, s16, v22
	; wave barrier
	s_delay_alu instid0(VALU_DEP_2) | instskip(NEXT) | instid1(VALU_DEP_1)
	v_add_co_u32 v0, s13, v0, -1
	v_cndmask_b32_e64 v2, 0, 1, s13
	s_delay_alu instid0(VALU_DEP_3)
	v_lshlrev_b32_e32 v3, 30, v1
	v_lshlrev_b32_e32 v4, 29, v1
	;; [unrolled: 1-line block ×4, first 2 shown]
	v_cmp_ne_u32_e32 vcc_lo, 0, v2
	v_not_b32_e32 v2, v3
	v_cmp_gt_i32_e64 s13, 0, v3
	v_not_b32_e32 v3, v4
	v_lshlrev_b32_e32 v7, 26, v1
	v_xor_b32_e32 v0, vcc_lo, v0
	v_ashrrev_i32_e32 v2, 31, v2
	v_cmp_gt_i32_e32 vcc_lo, 0, v4
	v_not_b32_e32 v4, v5
	v_ashrrev_i32_e32 v3, 31, v3
	v_and_b32_e32 v0, exec_lo, v0
	v_xor_b32_e32 v2, s13, v2
	v_cmp_gt_i32_e64 s13, 0, v5
	v_not_b32_e32 v5, v6
	v_ashrrev_i32_e32 v4, 31, v4
	v_xor_b32_e32 v3, vcc_lo, v3
	v_and_b32_e32 v0, v0, v2
	v_cmp_gt_i32_e32 vcc_lo, 0, v6
	v_not_b32_e32 v2, v7
	v_ashrrev_i32_e32 v5, 31, v5
	v_xor_b32_e32 v4, s13, v4
	v_and_b32_e32 v0, v0, v3
	v_lshlrev_b32_e32 v3, 25, v1
	v_cmp_gt_i32_e64 s13, 0, v7
	v_ashrrev_i32_e32 v2, 31, v2
	v_xor_b32_e32 v5, vcc_lo, v5
	v_and_b32_e32 v0, v0, v4
	v_not_b32_e32 v6, v3
	v_lshlrev_b32_e32 v1, 24, v1
	v_bfe_u32 v4, v22, s16, 8
	v_xor_b32_e32 v2, s13, v2
	v_and_b32_e32 v0, v0, v5
	v_cmp_gt_i32_e32 vcc_lo, 0, v3
	v_ashrrev_i32_e32 v3, 31, v6
	v_not_b32_e32 v5, v1
	v_mul_u32_u24_e32 v4, 6, v4
	v_and_b32_e32 v0, v0, v2
	s_delay_alu instid0(VALU_DEP_4) | instskip(SKIP_3) | instid1(VALU_DEP_4)
	v_xor_b32_e32 v2, vcc_lo, v3
	v_cmp_gt_i32_e32 vcc_lo, 0, v1
	v_ashrrev_i32_e32 v1, 31, v5
	v_add_lshl_u32 v3, v4, v34, 2
	v_and_b32_e32 v0, v0, v2
	s_delay_alu instid0(VALU_DEP_3) | instskip(SKIP_3) | instid1(VALU_DEP_1)
	v_xor_b32_e32 v1, vcc_lo, v1
	ds_load_b32 v55, v3 offset:24
	v_add_nc_u32_e32 v57, 24, v3
	; wave barrier
	v_and_b32_e32 v0, v0, v1
	v_mbcnt_lo_u32_b32 v56, v0, 0
	v_cmp_ne_u32_e64 s13, 0, v0
	s_delay_alu instid0(VALU_DEP_2) | instskip(NEXT) | instid1(VALU_DEP_2)
	v_cmp_eq_u32_e32 vcc_lo, 0, v56
	s_and_b32 s17, s13, vcc_lo
	s_delay_alu instid0(SALU_CYCLE_1)
	s_and_saveexec_b32 s13, s17
	s_cbranch_execz .LBB215_18
; %bb.17:                               ;   in Loop: Header=BB215_4 Depth=2
	s_waitcnt lgkmcnt(0)
	v_bcnt_u32_b32 v0, v0, v55
	ds_store_b32 v57, v0
.LBB215_18:                             ;   in Loop: Header=BB215_4 Depth=2
	s_or_b32 exec_lo, exec_lo, s13
	v_bfe_u32 v0, v8, s16, 1
	v_lshrrev_b32_e32 v1, s16, v8
	; wave barrier
	s_delay_alu instid0(VALU_DEP_2) | instskip(NEXT) | instid1(VALU_DEP_1)
	v_add_co_u32 v0, s13, v0, -1
	v_cndmask_b32_e64 v2, 0, 1, s13
	s_delay_alu instid0(VALU_DEP_3)
	v_lshlrev_b32_e32 v3, 30, v1
	v_lshlrev_b32_e32 v4, 29, v1
	;; [unrolled: 1-line block ×4, first 2 shown]
	v_cmp_ne_u32_e32 vcc_lo, 0, v2
	v_not_b32_e32 v2, v3
	v_cmp_gt_i32_e64 s13, 0, v3
	v_not_b32_e32 v3, v4
	v_lshlrev_b32_e32 v7, 26, v1
	v_xor_b32_e32 v0, vcc_lo, v0
	v_ashrrev_i32_e32 v2, 31, v2
	v_cmp_gt_i32_e32 vcc_lo, 0, v4
	v_not_b32_e32 v4, v5
	v_ashrrev_i32_e32 v3, 31, v3
	v_and_b32_e32 v0, exec_lo, v0
	v_xor_b32_e32 v2, s13, v2
	v_cmp_gt_i32_e64 s13, 0, v5
	v_not_b32_e32 v5, v6
	v_ashrrev_i32_e32 v4, 31, v4
	v_xor_b32_e32 v3, vcc_lo, v3
	v_and_b32_e32 v0, v0, v2
	v_cmp_gt_i32_e32 vcc_lo, 0, v6
	v_not_b32_e32 v2, v7
	v_ashrrev_i32_e32 v5, 31, v5
	v_xor_b32_e32 v4, s13, v4
	v_and_b32_e32 v0, v0, v3
	v_lshlrev_b32_e32 v3, 25, v1
	v_cmp_gt_i32_e64 s13, 0, v7
	v_ashrrev_i32_e32 v2, 31, v2
	v_xor_b32_e32 v5, vcc_lo, v5
	v_and_b32_e32 v0, v0, v4
	v_not_b32_e32 v6, v3
	v_lshlrev_b32_e32 v1, 24, v1
	v_bfe_u32 v4, v8, s16, 8
	v_xor_b32_e32 v2, s13, v2
	v_and_b32_e32 v0, v0, v5
	v_cmp_gt_i32_e32 vcc_lo, 0, v3
	v_ashrrev_i32_e32 v3, 31, v6
	v_not_b32_e32 v5, v1
	v_mul_u32_u24_e32 v4, 6, v4
	v_and_b32_e32 v0, v0, v2
	s_delay_alu instid0(VALU_DEP_4) | instskip(SKIP_3) | instid1(VALU_DEP_4)
	v_xor_b32_e32 v2, vcc_lo, v3
	v_cmp_gt_i32_e32 vcc_lo, 0, v1
	v_ashrrev_i32_e32 v1, 31, v5
	v_add_lshl_u32 v3, v4, v34, 2
	v_and_b32_e32 v0, v0, v2
	s_delay_alu instid0(VALU_DEP_3) | instskip(SKIP_3) | instid1(VALU_DEP_1)
	v_xor_b32_e32 v1, vcc_lo, v1
	ds_load_b32 v59, v3 offset:24
	v_add_nc_u32_e32 v58, 24, v3
	; wave barrier
	v_and_b32_e32 v0, v0, v1
	v_mbcnt_lo_u32_b32 v60, v0, 0
	v_cmp_ne_u32_e64 s13, 0, v0
	s_delay_alu instid0(VALU_DEP_2) | instskip(NEXT) | instid1(VALU_DEP_2)
	v_cmp_eq_u32_e32 vcc_lo, 0, v60
	s_and_b32 s17, s13, vcc_lo
	s_delay_alu instid0(SALU_CYCLE_1)
	s_and_saveexec_b32 s13, s17
	s_cbranch_execz .LBB215_20
; %bb.19:                               ;   in Loop: Header=BB215_4 Depth=2
	s_waitcnt lgkmcnt(0)
	v_bcnt_u32_b32 v0, v0, v59
	ds_store_b32 v58, v0
.LBB215_20:                             ;   in Loop: Header=BB215_4 Depth=2
	s_or_b32 exec_lo, exec_lo, s13
	; wave barrier
	s_waitcnt lgkmcnt(0)
	s_barrier
	buffer_gl0_inv
	ds_load_2addr_b64 v[4:7], v26 offset0:3 offset1:4
	ds_load_2addr_b64 v[0:3], v28 offset0:2 offset1:3
	s_waitcnt lgkmcnt(1)
	v_add_nc_u32_e32 v61, v5, v4
	s_delay_alu instid0(VALU_DEP_1) | instskip(SKIP_1) | instid1(VALU_DEP_1)
	v_add3_u32 v61, v61, v6, v7
	s_waitcnt lgkmcnt(0)
	v_add3_u32 v61, v61, v0, v1
	s_delay_alu instid0(VALU_DEP_1) | instskip(NEXT) | instid1(VALU_DEP_1)
	v_add3_u32 v3, v61, v2, v3
	v_mov_b32_dpp v61, v3 row_shr:1 row_mask:0xf bank_mask:0xf
	s_delay_alu instid0(VALU_DEP_1) | instskip(NEXT) | instid1(VALU_DEP_1)
	v_cndmask_b32_e64 v61, v61, 0, s1
	v_add_nc_u32_e32 v3, v61, v3
	s_delay_alu instid0(VALU_DEP_1) | instskip(NEXT) | instid1(VALU_DEP_1)
	v_mov_b32_dpp v61, v3 row_shr:2 row_mask:0xf bank_mask:0xf
	v_cndmask_b32_e64 v61, 0, v61, s2
	s_delay_alu instid0(VALU_DEP_1) | instskip(NEXT) | instid1(VALU_DEP_1)
	v_add_nc_u32_e32 v3, v3, v61
	v_mov_b32_dpp v61, v3 row_shr:4 row_mask:0xf bank_mask:0xf
	s_delay_alu instid0(VALU_DEP_1) | instskip(NEXT) | instid1(VALU_DEP_1)
	v_cndmask_b32_e64 v61, 0, v61, s3
	v_add_nc_u32_e32 v3, v3, v61
	s_delay_alu instid0(VALU_DEP_1) | instskip(NEXT) | instid1(VALU_DEP_1)
	v_mov_b32_dpp v61, v3 row_shr:8 row_mask:0xf bank_mask:0xf
	v_cndmask_b32_e64 v61, 0, v61, s4
	s_delay_alu instid0(VALU_DEP_1) | instskip(SKIP_3) | instid1(VALU_DEP_1)
	v_add_nc_u32_e32 v3, v3, v61
	ds_swizzle_b32 v61, v3 offset:swizzle(BROADCAST,32,15)
	s_waitcnt lgkmcnt(0)
	v_cndmask_b32_e64 v61, v61, 0, s5
	v_add_nc_u32_e32 v3, v3, v61
	s_and_saveexec_b32 s13, s12
	s_cbranch_execz .LBB215_22
; %bb.21:                               ;   in Loop: Header=BB215_4 Depth=2
	ds_store_b32 v29, v3
.LBB215_22:                             ;   in Loop: Header=BB215_4 Depth=2
	s_or_b32 exec_lo, exec_lo, s13
	s_waitcnt lgkmcnt(0)
	s_barrier
	buffer_gl0_inv
	s_and_saveexec_b32 s13, s6
	s_cbranch_execz .LBB215_24
; %bb.23:                               ;   in Loop: Header=BB215_4 Depth=2
	v_add_nc_u32_e32 v61, v26, v27
	ds_load_b32 v62, v61
	s_waitcnt lgkmcnt(0)
	v_mov_b32_dpp v63, v62 row_shr:1 row_mask:0xf bank_mask:0xf
	s_delay_alu instid0(VALU_DEP_1) | instskip(NEXT) | instid1(VALU_DEP_1)
	v_cndmask_b32_e64 v63, v63, 0, s9
	v_add_nc_u32_e32 v62, v63, v62
	s_delay_alu instid0(VALU_DEP_1) | instskip(NEXT) | instid1(VALU_DEP_1)
	v_mov_b32_dpp v63, v62 row_shr:2 row_mask:0xf bank_mask:0xf
	v_cndmask_b32_e64 v63, 0, v63, s10
	s_delay_alu instid0(VALU_DEP_1) | instskip(NEXT) | instid1(VALU_DEP_1)
	v_add_nc_u32_e32 v62, v62, v63
	v_mov_b32_dpp v63, v62 row_shr:4 row_mask:0xf bank_mask:0xf
	s_delay_alu instid0(VALU_DEP_1) | instskip(NEXT) | instid1(VALU_DEP_1)
	v_cndmask_b32_e64 v63, 0, v63, s11
	v_add_nc_u32_e32 v62, v62, v63
	ds_store_b32 v61, v62
.LBB215_24:                             ;   in Loop: Header=BB215_4 Depth=2
	s_or_b32 exec_lo, exec_lo, s13
	v_mov_b32_e32 v61, 0
	s_waitcnt lgkmcnt(0)
	s_barrier
	buffer_gl0_inv
	s_and_saveexec_b32 s13, s7
	s_cbranch_execz .LBB215_26
; %bb.25:                               ;   in Loop: Header=BB215_4 Depth=2
	ds_load_b32 v61, v33
.LBB215_26:                             ;   in Loop: Header=BB215_4 Depth=2
	s_or_b32 exec_lo, exec_lo, s13
	s_waitcnt lgkmcnt(0)
	v_add_nc_u32_e32 v3, v61, v3
	s_cmp_gt_u32 s16, 23
	ds_bpermute_b32 v3, v30, v3
	s_waitcnt lgkmcnt(0)
	v_cndmask_b32_e64 v3, v3, v61, s0
	s_delay_alu instid0(VALU_DEP_1) | instskip(NEXT) | instid1(VALU_DEP_1)
	v_cndmask_b32_e64 v3, v3, 0, s8
	v_add_nc_u32_e32 v4, v3, v4
	s_delay_alu instid0(VALU_DEP_1) | instskip(NEXT) | instid1(VALU_DEP_1)
	v_add_nc_u32_e32 v5, v4, v5
	v_add_nc_u32_e32 v6, v5, v6
	s_delay_alu instid0(VALU_DEP_1) | instskip(NEXT) | instid1(VALU_DEP_1)
	v_add_nc_u32_e32 v61, v6, v7
	;; [unrolled: 3-line block ×3, first 2 shown]
	v_add_nc_u32_e32 v1, v0, v2
	ds_store_2addr_b64 v26, v[3:4], v[5:6] offset0:3 offset1:4
	ds_store_2addr_b64 v28, v[61:62], v[0:1] offset0:2 offset1:3
	s_waitcnt lgkmcnt(0)
	s_barrier
	buffer_gl0_inv
	ds_load_b32 v0, v15
	ds_load_b32 v1, v18
	;; [unrolled: 1-line block ×8, first 2 shown]
	s_waitcnt lgkmcnt(7)
	v_add_nc_u32_e32 v58, v0, v14
	s_waitcnt lgkmcnt(6)
	v_add3_u32 v57, v17, v16, v1
	s_waitcnt lgkmcnt(5)
	v_add3_u32 v54, v20, v19, v2
	;; [unrolled: 2-line block ×7, first 2 shown]
	s_cbranch_scc0 .LBB215_3
; %bb.27:                               ;   in Loop: Header=BB215_2 Depth=1
                                        ; implicit-def: $vgpr21
                                        ; implicit-def: $vgpr19
                                        ; implicit-def: $vgpr3
                                        ; implicit-def: $vgpr1
                                        ; implicit-def: $vgpr17
                                        ; implicit-def: $vgpr15
                                        ; implicit-def: $vgpr7
                                        ; implicit-def: $vgpr5
                                        ; implicit-def: $sgpr16
	s_branch .LBB215_1
.LBB215_28:
	v_lshlrev_b32_e32 v9, 2, v9
	s_add_u32 s0, s18, s14
	s_addc_u32 s1, s19, s15
	s_waitcnt lgkmcnt(3)
	v_add_nc_u32_e32 v5, v5, v22
	s_waitcnt lgkmcnt(1)
	v_add_nc_u32_e32 v10, v1, v16
	v_add_co_u32 v0, s2, s0, v9
	s_delay_alu instid0(VALU_DEP_1)
	v_add_co_ci_u32_e64 v1, null, s1, 0, s2
	v_add_nc_u32_e32 v6, v6, v23
	v_add_nc_u32_e32 v7, v7, v24
	;; [unrolled: 1-line block ×3, first 2 shown]
	v_add_co_u32 v0, vcc_lo, 0x1000, v0
	v_add_nc_u32_e32 v2, v2, v17
	s_waitcnt lgkmcnt(0)
	v_add_nc_u32_e32 v3, v3, v14
	v_add_nc_u32_e32 v4, v4, v15
	v_add_co_ci_u32_e32 v1, vcc_lo, 0, v1, vcc_lo
	s_clause 0x7
	global_store_b32 v9, v5, s[0:1]
	global_store_b32 v9, v6, s[0:1] offset:768
	global_store_b32 v9, v7, s[0:1] offset:1536
	;; [unrolled: 1-line block ×5, first 2 shown]
	global_store_b32 v[0:1], v3, off offset:512
	global_store_b32 v[0:1], v4, off offset:1280
	s_nop 0
	s_sendmsg sendmsg(MSG_DEALLOC_VGPRS)
	s_endpgm
	.section	.rodata,"a",@progbits
	.p2align	6, 0x0
	.amdhsa_kernel _Z17sort_pairs_kernelI22helper_blocked_stripediLj192ELj8ELj10EEvPKT0_PS1_
		.amdhsa_group_segment_fixed_size 6176
		.amdhsa_private_segment_fixed_size 0
		.amdhsa_kernarg_size 272
		.amdhsa_user_sgpr_count 15
		.amdhsa_user_sgpr_dispatch_ptr 0
		.amdhsa_user_sgpr_queue_ptr 0
		.amdhsa_user_sgpr_kernarg_segment_ptr 1
		.amdhsa_user_sgpr_dispatch_id 0
		.amdhsa_user_sgpr_private_segment_size 0
		.amdhsa_wavefront_size32 1
		.amdhsa_uses_dynamic_stack 0
		.amdhsa_enable_private_segment 0
		.amdhsa_system_sgpr_workgroup_id_x 1
		.amdhsa_system_sgpr_workgroup_id_y 0
		.amdhsa_system_sgpr_workgroup_id_z 0
		.amdhsa_system_sgpr_workgroup_info 0
		.amdhsa_system_vgpr_workitem_id 2
		.amdhsa_next_free_vgpr 64
		.amdhsa_next_free_sgpr 22
		.amdhsa_reserve_vcc 1
		.amdhsa_float_round_mode_32 0
		.amdhsa_float_round_mode_16_64 0
		.amdhsa_float_denorm_mode_32 3
		.amdhsa_float_denorm_mode_16_64 3
		.amdhsa_dx10_clamp 1
		.amdhsa_ieee_mode 1
		.amdhsa_fp16_overflow 0
		.amdhsa_workgroup_processor_mode 1
		.amdhsa_memory_ordered 1
		.amdhsa_forward_progress 0
		.amdhsa_shared_vgpr_count 0
		.amdhsa_exception_fp_ieee_invalid_op 0
		.amdhsa_exception_fp_denorm_src 0
		.amdhsa_exception_fp_ieee_div_zero 0
		.amdhsa_exception_fp_ieee_overflow 0
		.amdhsa_exception_fp_ieee_underflow 0
		.amdhsa_exception_fp_ieee_inexact 0
		.amdhsa_exception_int_div_zero 0
	.end_amdhsa_kernel
	.section	.text._Z17sort_pairs_kernelI22helper_blocked_stripediLj192ELj8ELj10EEvPKT0_PS1_,"axG",@progbits,_Z17sort_pairs_kernelI22helper_blocked_stripediLj192ELj8ELj10EEvPKT0_PS1_,comdat
.Lfunc_end215:
	.size	_Z17sort_pairs_kernelI22helper_blocked_stripediLj192ELj8ELj10EEvPKT0_PS1_, .Lfunc_end215-_Z17sort_pairs_kernelI22helper_blocked_stripediLj192ELj8ELj10EEvPKT0_PS1_
                                        ; -- End function
	.section	.AMDGPU.csdata,"",@progbits
; Kernel info:
; codeLenInByte = 4868
; NumSgprs: 24
; NumVgprs: 64
; ScratchSize: 0
; MemoryBound: 0
; FloatMode: 240
; IeeeMode: 1
; LDSByteSize: 6176 bytes/workgroup (compile time only)
; SGPRBlocks: 2
; VGPRBlocks: 7
; NumSGPRsForWavesPerEU: 24
; NumVGPRsForWavesPerEU: 64
; Occupancy: 15
; WaveLimiterHint : 1
; COMPUTE_PGM_RSRC2:SCRATCH_EN: 0
; COMPUTE_PGM_RSRC2:USER_SGPR: 15
; COMPUTE_PGM_RSRC2:TRAP_HANDLER: 0
; COMPUTE_PGM_RSRC2:TGID_X_EN: 1
; COMPUTE_PGM_RSRC2:TGID_Y_EN: 0
; COMPUTE_PGM_RSRC2:TGID_Z_EN: 0
; COMPUTE_PGM_RSRC2:TIDIG_COMP_CNT: 2
	.section	.text._Z16sort_keys_kernelI22helper_blocked_stripediLj256ELj1ELj10EEvPKT0_PS1_,"axG",@progbits,_Z16sort_keys_kernelI22helper_blocked_stripediLj256ELj1ELj10EEvPKT0_PS1_,comdat
	.protected	_Z16sort_keys_kernelI22helper_blocked_stripediLj256ELj1ELj10EEvPKT0_PS1_ ; -- Begin function _Z16sort_keys_kernelI22helper_blocked_stripediLj256ELj1ELj10EEvPKT0_PS1_
	.globl	_Z16sort_keys_kernelI22helper_blocked_stripediLj256ELj1ELj10EEvPKT0_PS1_
	.p2align	8
	.type	_Z16sort_keys_kernelI22helper_blocked_stripediLj256ELj1ELj10EEvPKT0_PS1_,@function
_Z16sort_keys_kernelI22helper_blocked_stripediLj256ELj1ELj10EEvPKT0_PS1_: ; @_Z16sort_keys_kernelI22helper_blocked_stripediLj256ELj1ELj10EEvPKT0_PS1_
; %bb.0:
	s_clause 0x1
	s_load_b128 s[16:19], s[0:1], 0x0
	s_load_b32 s11, s[0:1], 0x1c
	s_mov_b32 s23, 0
	s_lshl_b32 s22, s15, 8
	v_mbcnt_lo_u32_b32 v3, -1, 0
	s_lshl_b64 s[20:21], s[22:23], 2
	s_mov_b32 s22, s23
	s_mov_b32 s15, 10
	s_delay_alu instid0(VALU_DEP_1) | instskip(SKIP_3) | instid1(VALU_DEP_4)
	v_dual_mov_b32 v11, s22 :: v_dual_add_nc_u32 v6, -1, v3
	v_and_b32_e32 v4, 15, v3
	v_dual_mov_b32 v12, s23 :: v_dual_and_b32 v5, 16, v3
	v_and_b32_e32 v7, 7, v3
	v_cmp_gt_i32_e64 s7, 0, v6
	s_delay_alu instid0(VALU_DEP_4)
	v_cmp_lt_u32_e64 s2, 3, v4
	v_cmp_lt_u32_e64 s3, 7, v4
	v_cmp_eq_u32_e64 s4, 0, v5
	v_cmp_eq_u32_e64 s8, 0, v7
	v_cndmask_b32_e64 v5, v6, v3, s7
	s_waitcnt lgkmcnt(0)
	s_add_u32 s0, s16, s20
	s_addc_u32 s1, s17, s21
	s_mov_b32 s16, s23
	s_mov_b32 s17, s23
	v_dual_mov_b32 v9, s16 :: v_dual_and_b32 v8, 0x3ff, v0
	v_mov_b32_e32 v10, s17
	s_lshr_b32 s10, s11, 16
	s_and_b32 s11, s11, 0xffff
	s_delay_alu instid0(VALU_DEP_2)
	v_lshlrev_b32_e32 v1, 2, v8
	v_lshrrev_b32_e32 v6, 3, v8
	v_lshlrev_b32_e32 v13, 5, v8
	v_mul_i32_i24_e32 v20, 0xffffffe4, v8
	v_cmp_lt_u32_e64 s9, 1, v7
	global_load_b32 v2, v1, s[0:1]
	v_bfe_u32 v1, v0, 10, 10
	v_bfe_u32 v0, v0, 20, 10
	v_cmp_eq_u32_e64 s0, 0, v4
	v_cmp_lt_u32_e64 s1, 1, v4
	v_and_b32_e32 v4, 0xe0, v8
	v_cmp_eq_u32_e32 vcc_lo, 0, v3
	v_mad_u32_u24 v14, v0, s10, v1
	v_cmp_lt_u32_e64 s10, 3, v7
	v_cmp_gt_u32_e64 s5, 8, v8
	v_or_b32_e32 v7, 31, v4
	v_cmp_lt_u32_e64 s6, 31, v8
	v_mad_u64_u32 v[0:1], null, v14, s11, v[8:9]
	v_and_b32_e32 v14, 28, v6
	v_or_b32_e32 v1, v3, v4
	v_cmp_eq_u32_e64 s7, 0, v8
	v_add_nc_u32_e32 v15, 32, v13
	v_lshlrev_b32_e32 v16, 2, v5
	v_cmp_eq_u32_e64 s11, v7, v8
	v_add_nc_u32_e32 v17, -4, v14
	v_lshlrev_b32_e32 v18, 2, v1
	v_lshrrev_b32_e32 v19, 5, v0
	v_add_nc_u32_e32 v20, v13, v20
	s_waitcnt vmcnt(0)
	v_xor_b32_e32 v21, 0x80000000, v2
	s_branch .LBB216_2
.LBB216_1:                              ;   in Loop: Header=BB216_2 Depth=1
	s_or_b32 exec_lo, exec_lo, s12
	s_waitcnt lgkmcnt(0)
	v_add_nc_u32_e32 v3, v24, v3
	s_add_i32 s15, s15, -1
	s_delay_alu instid0(SALU_CYCLE_1) | instskip(SKIP_3) | instid1(VALU_DEP_1)
	s_cmp_eq_u32 s15, 0
	ds_bpermute_b32 v3, v16, v3
	s_waitcnt lgkmcnt(0)
	v_cndmask_b32_e32 v3, v3, v24, vcc_lo
	v_cndmask_b32_e64 v3, v3, 0, s7
	s_delay_alu instid0(VALU_DEP_1) | instskip(NEXT) | instid1(VALU_DEP_1)
	v_add_nc_u32_e32 v4, v3, v4
	v_add_nc_u32_e32 v5, v4, v5
	s_delay_alu instid0(VALU_DEP_1) | instskip(NEXT) | instid1(VALU_DEP_1)
	v_add_nc_u32_e32 v6, v5, v6
	v_add_nc_u32_e32 v24, v6, v7
	;; [unrolled: 3-line block ×3, first 2 shown]
	s_delay_alu instid0(VALU_DEP_1)
	v_add_nc_u32_e32 v1, v0, v2
	ds_store_2addr_b64 v13, v[3:4], v[5:6] offset0:4 offset1:5
	ds_store_2addr_b64 v15, v[24:25], v[0:1] offset0:2 offset1:3
	s_waitcnt lgkmcnt(0)
	s_barrier
	buffer_gl0_inv
	ds_load_b32 v0, v23
	v_lshlrev_b32_e32 v1, 2, v22
	s_waitcnt lgkmcnt(0)
	s_barrier
	buffer_gl0_inv
	v_lshl_add_u32 v0, v0, 2, v1
	ds_store_b32 v0, v21
	s_waitcnt lgkmcnt(0)
	s_barrier
	buffer_gl0_inv
	ds_load_b32 v21, v20
	s_cbranch_scc1 .LBB216_34
.LBB216_2:                              ; =>This Inner Loop Header: Depth=1
	s_waitcnt lgkmcnt(0)
	s_delay_alu instid0(VALU_DEP_1)
	v_and_b32_e32 v0, 1, v21
	v_lshlrev_b32_e32 v1, 30, v21
	v_lshlrev_b32_e32 v2, 29, v21
	;; [unrolled: 1-line block ×4, first 2 shown]
	v_add_co_u32 v0, s12, v0, -1
	s_delay_alu instid0(VALU_DEP_1)
	v_cndmask_b32_e64 v3, 0, 1, s12
	v_not_b32_e32 v7, v1
	v_cmp_gt_i32_e64 s13, 0, v1
	v_not_b32_e32 v1, v2
	v_lshlrev_b32_e32 v6, 26, v21
	v_cmp_ne_u32_e64 s12, 0, v3
	v_ashrrev_i32_e32 v7, 31, v7
	v_lshlrev_b32_e32 v3, 25, v21
	v_ashrrev_i32_e32 v1, 31, v1
	v_cmp_gt_i32_e64 s14, 0, v5
	v_xor_b32_e32 v0, s12, v0
	v_cmp_gt_i32_e64 s12, 0, v2
	v_not_b32_e32 v2, v4
	v_xor_b32_e32 v7, s13, v7
	v_cmp_gt_i32_e64 s13, 0, v4
	v_and_b32_e32 v0, exec_lo, v0
	v_xor_b32_e32 v1, s12, v1
	v_ashrrev_i32_e32 v2, 31, v2
	v_not_b32_e32 v4, v5
	v_not_b32_e32 v5, v6
	v_and_b32_e32 v0, v0, v7
	v_cmp_gt_i32_e64 s12, 0, v6
	v_xor_b32_e32 v2, s13, v2
	v_not_b32_e32 v6, v3
	ds_store_2addr_b64 v13, v[11:12], v[9:10] offset0:4 offset1:5
	ds_store_2addr_b64 v15, v[11:12], v[9:10] offset0:2 offset1:3
	v_and_b32_e32 v0, v0, v1
	v_ashrrev_i32_e32 v1, 31, v4
	v_ashrrev_i32_e32 v4, 31, v5
	v_lshlrev_b32_e32 v5, 24, v21
	s_waitcnt lgkmcnt(0)
	v_and_b32_e32 v0, v0, v2
	v_xor_b32_e32 v1, s14, v1
	v_xor_b32_e32 v2, s12, v4
	v_cmp_gt_i32_e64 s12, 0, v3
	v_not_b32_e32 v3, v5
	v_ashrrev_i32_e32 v4, 31, v6
	v_and_b32_e32 v0, v0, v1
	v_cmp_gt_i32_e64 s13, 0, v5
	s_barrier
	v_ashrrev_i32_e32 v1, 31, v3
	v_xor_b32_e32 v3, s12, v4
	v_and_b32_e32 v0, v0, v2
	buffer_gl0_inv
	v_xor_b32_e32 v1, s13, v1
	; wave barrier
	v_and_b32_e32 v0, v0, v3
	s_delay_alu instid0(VALU_DEP_1) | instskip(SKIP_1) | instid1(VALU_DEP_2)
	v_and_b32_e32 v0, v0, v1
	v_and_b32_e32 v1, 0xff, v21
	v_mbcnt_lo_u32_b32 v22, v0, 0
	s_delay_alu instid0(VALU_DEP_2) | instskip(SKIP_1) | instid1(VALU_DEP_3)
	v_lshl_add_u32 v1, v1, 3, v19
	v_cmp_ne_u32_e64 s13, 0, v0
	v_cmp_eq_u32_e64 s12, 0, v22
	s_delay_alu instid0(VALU_DEP_3) | instskip(NEXT) | instid1(VALU_DEP_2)
	v_lshl_add_u32 v23, v1, 2, 32
	s_and_b32 s13, s13, s12
	s_delay_alu instid0(SALU_CYCLE_1)
	s_and_saveexec_b32 s12, s13
	s_cbranch_execz .LBB216_4
; %bb.3:                                ;   in Loop: Header=BB216_2 Depth=1
	v_bcnt_u32_b32 v0, v0, 0
	ds_store_b32 v23, v0
.LBB216_4:                              ;   in Loop: Header=BB216_2 Depth=1
	s_or_b32 exec_lo, exec_lo, s12
	; wave barrier
	s_waitcnt lgkmcnt(0)
	s_barrier
	buffer_gl0_inv
	ds_load_2addr_b64 v[4:7], v13 offset0:4 offset1:5
	ds_load_2addr_b64 v[0:3], v15 offset0:2 offset1:3
	s_waitcnt lgkmcnt(1)
	v_add_nc_u32_e32 v24, v5, v4
	s_delay_alu instid0(VALU_DEP_1) | instskip(SKIP_1) | instid1(VALU_DEP_1)
	v_add3_u32 v24, v24, v6, v7
	s_waitcnt lgkmcnt(0)
	v_add3_u32 v24, v24, v0, v1
	s_delay_alu instid0(VALU_DEP_1) | instskip(NEXT) | instid1(VALU_DEP_1)
	v_add3_u32 v3, v24, v2, v3
	v_mov_b32_dpp v24, v3 row_shr:1 row_mask:0xf bank_mask:0xf
	s_delay_alu instid0(VALU_DEP_1) | instskip(NEXT) | instid1(VALU_DEP_1)
	v_cndmask_b32_e64 v24, v24, 0, s0
	v_add_nc_u32_e32 v3, v24, v3
	s_delay_alu instid0(VALU_DEP_1) | instskip(NEXT) | instid1(VALU_DEP_1)
	v_mov_b32_dpp v24, v3 row_shr:2 row_mask:0xf bank_mask:0xf
	v_cndmask_b32_e64 v24, 0, v24, s1
	s_delay_alu instid0(VALU_DEP_1) | instskip(NEXT) | instid1(VALU_DEP_1)
	v_add_nc_u32_e32 v3, v3, v24
	v_mov_b32_dpp v24, v3 row_shr:4 row_mask:0xf bank_mask:0xf
	s_delay_alu instid0(VALU_DEP_1) | instskip(NEXT) | instid1(VALU_DEP_1)
	v_cndmask_b32_e64 v24, 0, v24, s2
	v_add_nc_u32_e32 v3, v3, v24
	s_delay_alu instid0(VALU_DEP_1) | instskip(NEXT) | instid1(VALU_DEP_1)
	v_mov_b32_dpp v24, v3 row_shr:8 row_mask:0xf bank_mask:0xf
	v_cndmask_b32_e64 v24, 0, v24, s3
	s_delay_alu instid0(VALU_DEP_1) | instskip(SKIP_3) | instid1(VALU_DEP_1)
	v_add_nc_u32_e32 v3, v3, v24
	ds_swizzle_b32 v24, v3 offset:swizzle(BROADCAST,32,15)
	s_waitcnt lgkmcnt(0)
	v_cndmask_b32_e64 v24, v24, 0, s4
	v_add_nc_u32_e32 v3, v3, v24
	s_and_saveexec_b32 s12, s11
	s_cbranch_execz .LBB216_6
; %bb.5:                                ;   in Loop: Header=BB216_2 Depth=1
	ds_store_b32 v14, v3
.LBB216_6:                              ;   in Loop: Header=BB216_2 Depth=1
	s_or_b32 exec_lo, exec_lo, s12
	s_waitcnt lgkmcnt(0)
	s_barrier
	buffer_gl0_inv
	s_and_saveexec_b32 s12, s5
	s_cbranch_execz .LBB216_8
; %bb.7:                                ;   in Loop: Header=BB216_2 Depth=1
	ds_load_b32 v24, v20
	s_waitcnt lgkmcnt(0)
	v_mov_b32_dpp v25, v24 row_shr:1 row_mask:0xf bank_mask:0xf
	s_delay_alu instid0(VALU_DEP_1) | instskip(NEXT) | instid1(VALU_DEP_1)
	v_cndmask_b32_e64 v25, v25, 0, s8
	v_add_nc_u32_e32 v24, v25, v24
	s_delay_alu instid0(VALU_DEP_1) | instskip(NEXT) | instid1(VALU_DEP_1)
	v_mov_b32_dpp v25, v24 row_shr:2 row_mask:0xf bank_mask:0xf
	v_cndmask_b32_e64 v25, 0, v25, s9
	s_delay_alu instid0(VALU_DEP_1) | instskip(NEXT) | instid1(VALU_DEP_1)
	v_add_nc_u32_e32 v24, v24, v25
	v_mov_b32_dpp v25, v24 row_shr:4 row_mask:0xf bank_mask:0xf
	s_delay_alu instid0(VALU_DEP_1) | instskip(NEXT) | instid1(VALU_DEP_1)
	v_cndmask_b32_e64 v25, 0, v25, s10
	v_add_nc_u32_e32 v24, v24, v25
	ds_store_b32 v20, v24
.LBB216_8:                              ;   in Loop: Header=BB216_2 Depth=1
	s_or_b32 exec_lo, exec_lo, s12
	v_mov_b32_e32 v24, 0
	s_waitcnt lgkmcnt(0)
	s_barrier
	buffer_gl0_inv
	s_and_saveexec_b32 s12, s6
	s_cbranch_execz .LBB216_10
; %bb.9:                                ;   in Loop: Header=BB216_2 Depth=1
	ds_load_b32 v24, v17
.LBB216_10:                             ;   in Loop: Header=BB216_2 Depth=1
	s_or_b32 exec_lo, exec_lo, s12
	s_waitcnt lgkmcnt(0)
	v_add_nc_u32_e32 v3, v24, v3
	ds_bpermute_b32 v3, v16, v3
	s_waitcnt lgkmcnt(0)
	v_cndmask_b32_e32 v3, v3, v24, vcc_lo
	s_delay_alu instid0(VALU_DEP_1) | instskip(NEXT) | instid1(VALU_DEP_1)
	v_cndmask_b32_e64 v3, v3, 0, s7
	v_add_nc_u32_e32 v4, v3, v4
	s_delay_alu instid0(VALU_DEP_1) | instskip(NEXT) | instid1(VALU_DEP_1)
	v_add_nc_u32_e32 v5, v4, v5
	v_add_nc_u32_e32 v6, v5, v6
	s_delay_alu instid0(VALU_DEP_1) | instskip(NEXT) | instid1(VALU_DEP_1)
	v_add_nc_u32_e32 v24, v6, v7
	;; [unrolled: 3-line block ×3, first 2 shown]
	v_add_nc_u32_e32 v1, v0, v2
	ds_store_2addr_b64 v13, v[3:4], v[5:6] offset0:4 offset1:5
	ds_store_2addr_b64 v15, v[24:25], v[0:1] offset0:2 offset1:3
	s_waitcnt lgkmcnt(0)
	s_barrier
	buffer_gl0_inv
	ds_load_b32 v0, v23
	v_lshlrev_b32_e32 v1, 2, v22
	s_waitcnt lgkmcnt(0)
	s_barrier
	buffer_gl0_inv
	v_lshl_add_u32 v0, v0, 2, v1
	ds_store_b32 v0, v21
	s_waitcnt lgkmcnt(0)
	s_barrier
	buffer_gl0_inv
	ds_load_b32 v21, v18
	s_waitcnt lgkmcnt(0)
	s_barrier
	buffer_gl0_inv
	ds_store_2addr_b64 v13, v[11:12], v[9:10] offset0:4 offset1:5
	ds_store_2addr_b64 v15, v[11:12], v[9:10] offset0:2 offset1:3
	s_waitcnt lgkmcnt(0)
	s_barrier
	buffer_gl0_inv
	; wave barrier
	v_bfe_u32 v0, v21, 8, 1
	v_lshrrev_b32_e32 v1, 8, v21
	s_delay_alu instid0(VALU_DEP_2) | instskip(NEXT) | instid1(VALU_DEP_1)
	v_add_co_u32 v0, s12, v0, -1
	v_cndmask_b32_e64 v2, 0, 1, s12
	s_delay_alu instid0(VALU_DEP_3)
	v_lshlrev_b32_e32 v3, 30, v1
	v_lshlrev_b32_e32 v4, 29, v1
	;; [unrolled: 1-line block ×4, first 2 shown]
	v_cmp_ne_u32_e64 s12, 0, v2
	v_not_b32_e32 v2, v3
	v_cmp_gt_i32_e64 s13, 0, v3
	v_not_b32_e32 v3, v4
	v_lshlrev_b32_e32 v7, 26, v1
	v_xor_b32_e32 v0, s12, v0
	v_ashrrev_i32_e32 v2, 31, v2
	v_cmp_gt_i32_e64 s12, 0, v4
	v_not_b32_e32 v4, v5
	v_ashrrev_i32_e32 v3, 31, v3
	v_and_b32_e32 v0, exec_lo, v0
	v_xor_b32_e32 v2, s13, v2
	v_cmp_gt_i32_e64 s13, 0, v5
	v_not_b32_e32 v5, v6
	v_ashrrev_i32_e32 v4, 31, v4
	v_xor_b32_e32 v3, s12, v3
	v_and_b32_e32 v0, v0, v2
	v_lshlrev_b32_e32 v22, 25, v1
	v_cmp_gt_i32_e64 s12, 0, v6
	v_not_b32_e32 v2, v7
	v_ashrrev_i32_e32 v5, 31, v5
	v_xor_b32_e32 v4, s13, v4
	v_and_b32_e32 v0, v0, v3
	v_lshlrev_b32_e32 v1, 24, v1
	v_cmp_gt_i32_e64 s13, 0, v7
	v_not_b32_e32 v3, v22
	v_ashrrev_i32_e32 v2, 31, v2
	v_xor_b32_e32 v5, s12, v5
	v_and_b32_e32 v0, v0, v4
	v_cmp_gt_i32_e64 s12, 0, v22
	v_not_b32_e32 v4, v1
	v_ashrrev_i32_e32 v3, 31, v3
	v_xor_b32_e32 v2, s13, v2
	v_and_b32_e32 v0, v0, v5
	v_cmp_gt_i32_e64 s13, 0, v1
	v_ashrrev_i32_e32 v1, 31, v4
	v_xor_b32_e32 v3, s12, v3
	s_delay_alu instid0(VALU_DEP_4) | instskip(SKIP_1) | instid1(VALU_DEP_4)
	v_and_b32_e32 v0, v0, v2
	v_lshrrev_b32_e32 v2, 5, v21
	v_xor_b32_e32 v1, s13, v1
	s_delay_alu instid0(VALU_DEP_3) | instskip(NEXT) | instid1(VALU_DEP_1)
	v_and_b32_e32 v0, v0, v3
	v_and_b32_e32 v0, v0, v1
	s_delay_alu instid0(VALU_DEP_4) | instskip(NEXT) | instid1(VALU_DEP_2)
	v_and_b32_e32 v1, 0x7f8, v2
	v_mbcnt_lo_u32_b32 v22, v0, 0
	s_delay_alu instid0(VALU_DEP_2) | instskip(SKIP_1) | instid1(VALU_DEP_3)
	v_add_nc_u32_e32 v1, v1, v19
	v_cmp_ne_u32_e64 s13, 0, v0
	v_cmp_eq_u32_e64 s12, 0, v22
	s_delay_alu instid0(VALU_DEP_3) | instskip(NEXT) | instid1(VALU_DEP_2)
	v_lshl_add_u32 v23, v1, 2, 32
	s_and_b32 s13, s13, s12
	s_delay_alu instid0(SALU_CYCLE_1)
	s_and_saveexec_b32 s12, s13
	s_cbranch_execz .LBB216_12
; %bb.11:                               ;   in Loop: Header=BB216_2 Depth=1
	v_bcnt_u32_b32 v0, v0, 0
	ds_store_b32 v23, v0
.LBB216_12:                             ;   in Loop: Header=BB216_2 Depth=1
	s_or_b32 exec_lo, exec_lo, s12
	; wave barrier
	s_waitcnt lgkmcnt(0)
	s_barrier
	buffer_gl0_inv
	ds_load_2addr_b64 v[4:7], v13 offset0:4 offset1:5
	ds_load_2addr_b64 v[0:3], v15 offset0:2 offset1:3
	s_waitcnt lgkmcnt(1)
	v_add_nc_u32_e32 v24, v5, v4
	s_delay_alu instid0(VALU_DEP_1) | instskip(SKIP_1) | instid1(VALU_DEP_1)
	v_add3_u32 v24, v24, v6, v7
	s_waitcnt lgkmcnt(0)
	v_add3_u32 v24, v24, v0, v1
	s_delay_alu instid0(VALU_DEP_1) | instskip(NEXT) | instid1(VALU_DEP_1)
	v_add3_u32 v3, v24, v2, v3
	v_mov_b32_dpp v24, v3 row_shr:1 row_mask:0xf bank_mask:0xf
	s_delay_alu instid0(VALU_DEP_1) | instskip(NEXT) | instid1(VALU_DEP_1)
	v_cndmask_b32_e64 v24, v24, 0, s0
	v_add_nc_u32_e32 v3, v24, v3
	s_delay_alu instid0(VALU_DEP_1) | instskip(NEXT) | instid1(VALU_DEP_1)
	v_mov_b32_dpp v24, v3 row_shr:2 row_mask:0xf bank_mask:0xf
	v_cndmask_b32_e64 v24, 0, v24, s1
	s_delay_alu instid0(VALU_DEP_1) | instskip(NEXT) | instid1(VALU_DEP_1)
	v_add_nc_u32_e32 v3, v3, v24
	v_mov_b32_dpp v24, v3 row_shr:4 row_mask:0xf bank_mask:0xf
	s_delay_alu instid0(VALU_DEP_1) | instskip(NEXT) | instid1(VALU_DEP_1)
	v_cndmask_b32_e64 v24, 0, v24, s2
	v_add_nc_u32_e32 v3, v3, v24
	s_delay_alu instid0(VALU_DEP_1) | instskip(NEXT) | instid1(VALU_DEP_1)
	v_mov_b32_dpp v24, v3 row_shr:8 row_mask:0xf bank_mask:0xf
	v_cndmask_b32_e64 v24, 0, v24, s3
	s_delay_alu instid0(VALU_DEP_1) | instskip(SKIP_3) | instid1(VALU_DEP_1)
	v_add_nc_u32_e32 v3, v3, v24
	ds_swizzle_b32 v24, v3 offset:swizzle(BROADCAST,32,15)
	s_waitcnt lgkmcnt(0)
	v_cndmask_b32_e64 v24, v24, 0, s4
	v_add_nc_u32_e32 v3, v3, v24
	s_and_saveexec_b32 s12, s11
	s_cbranch_execz .LBB216_14
; %bb.13:                               ;   in Loop: Header=BB216_2 Depth=1
	ds_store_b32 v14, v3
.LBB216_14:                             ;   in Loop: Header=BB216_2 Depth=1
	s_or_b32 exec_lo, exec_lo, s12
	s_waitcnt lgkmcnt(0)
	s_barrier
	buffer_gl0_inv
	s_and_saveexec_b32 s12, s5
	s_cbranch_execz .LBB216_16
; %bb.15:                               ;   in Loop: Header=BB216_2 Depth=1
	ds_load_b32 v24, v20
	s_waitcnt lgkmcnt(0)
	v_mov_b32_dpp v25, v24 row_shr:1 row_mask:0xf bank_mask:0xf
	s_delay_alu instid0(VALU_DEP_1) | instskip(NEXT) | instid1(VALU_DEP_1)
	v_cndmask_b32_e64 v25, v25, 0, s8
	v_add_nc_u32_e32 v24, v25, v24
	s_delay_alu instid0(VALU_DEP_1) | instskip(NEXT) | instid1(VALU_DEP_1)
	v_mov_b32_dpp v25, v24 row_shr:2 row_mask:0xf bank_mask:0xf
	v_cndmask_b32_e64 v25, 0, v25, s9
	s_delay_alu instid0(VALU_DEP_1) | instskip(NEXT) | instid1(VALU_DEP_1)
	v_add_nc_u32_e32 v24, v24, v25
	v_mov_b32_dpp v25, v24 row_shr:4 row_mask:0xf bank_mask:0xf
	s_delay_alu instid0(VALU_DEP_1) | instskip(NEXT) | instid1(VALU_DEP_1)
	v_cndmask_b32_e64 v25, 0, v25, s10
	v_add_nc_u32_e32 v24, v24, v25
	ds_store_b32 v20, v24
.LBB216_16:                             ;   in Loop: Header=BB216_2 Depth=1
	s_or_b32 exec_lo, exec_lo, s12
	v_mov_b32_e32 v24, 0
	s_waitcnt lgkmcnt(0)
	s_barrier
	buffer_gl0_inv
	s_and_saveexec_b32 s12, s6
	s_cbranch_execz .LBB216_18
; %bb.17:                               ;   in Loop: Header=BB216_2 Depth=1
	ds_load_b32 v24, v17
.LBB216_18:                             ;   in Loop: Header=BB216_2 Depth=1
	s_or_b32 exec_lo, exec_lo, s12
	s_waitcnt lgkmcnt(0)
	v_add_nc_u32_e32 v3, v24, v3
	ds_bpermute_b32 v3, v16, v3
	s_waitcnt lgkmcnt(0)
	v_cndmask_b32_e32 v3, v3, v24, vcc_lo
	s_delay_alu instid0(VALU_DEP_1) | instskip(NEXT) | instid1(VALU_DEP_1)
	v_cndmask_b32_e64 v3, v3, 0, s7
	v_add_nc_u32_e32 v4, v3, v4
	s_delay_alu instid0(VALU_DEP_1) | instskip(NEXT) | instid1(VALU_DEP_1)
	v_add_nc_u32_e32 v5, v4, v5
	v_add_nc_u32_e32 v6, v5, v6
	s_delay_alu instid0(VALU_DEP_1) | instskip(NEXT) | instid1(VALU_DEP_1)
	v_add_nc_u32_e32 v24, v6, v7
	;; [unrolled: 3-line block ×3, first 2 shown]
	v_add_nc_u32_e32 v1, v0, v2
	ds_store_2addr_b64 v13, v[3:4], v[5:6] offset0:4 offset1:5
	ds_store_2addr_b64 v15, v[24:25], v[0:1] offset0:2 offset1:3
	s_waitcnt lgkmcnt(0)
	s_barrier
	buffer_gl0_inv
	ds_load_b32 v0, v23
	v_lshlrev_b32_e32 v1, 2, v22
	s_waitcnt lgkmcnt(0)
	s_barrier
	buffer_gl0_inv
	v_lshl_add_u32 v0, v0, 2, v1
	ds_store_b32 v0, v21
	s_waitcnt lgkmcnt(0)
	s_barrier
	buffer_gl0_inv
	ds_load_b32 v21, v18
	s_waitcnt lgkmcnt(0)
	s_barrier
	buffer_gl0_inv
	v_bfe_u32 v0, v21, 16, 1
	v_lshrrev_b32_e32 v1, 16, v21
	s_delay_alu instid0(VALU_DEP_2) | instskip(NEXT) | instid1(VALU_DEP_1)
	v_add_co_u32 v0, s12, v0, -1
	v_cndmask_b32_e64 v2, 0, 1, s12
	s_delay_alu instid0(VALU_DEP_3)
	v_lshlrev_b32_e32 v3, 30, v1
	v_lshlrev_b32_e32 v4, 29, v1
	;; [unrolled: 1-line block ×4, first 2 shown]
	v_cmp_ne_u32_e64 s12, 0, v2
	v_not_b32_e32 v2, v3
	v_cmp_gt_i32_e64 s13, 0, v3
	v_not_b32_e32 v3, v4
	v_lshlrev_b32_e32 v7, 26, v1
	v_xor_b32_e32 v0, s12, v0
	v_ashrrev_i32_e32 v2, 31, v2
	v_cmp_gt_i32_e64 s12, 0, v4
	v_not_b32_e32 v4, v5
	v_ashrrev_i32_e32 v3, 31, v3
	v_and_b32_e32 v0, exec_lo, v0
	v_xor_b32_e32 v2, s13, v2
	v_cmp_gt_i32_e64 s13, 0, v5
	v_not_b32_e32 v5, v6
	v_ashrrev_i32_e32 v4, 31, v4
	v_xor_b32_e32 v3, s12, v3
	v_and_b32_e32 v0, v0, v2
	v_lshlrev_b32_e32 v22, 25, v1
	v_cmp_gt_i32_e64 s12, 0, v6
	v_not_b32_e32 v2, v7
	v_ashrrev_i32_e32 v5, 31, v5
	v_xor_b32_e32 v4, s13, v4
	v_and_b32_e32 v0, v0, v3
	v_lshlrev_b32_e32 v1, 24, v1
	v_cmp_gt_i32_e64 s13, 0, v7
	v_not_b32_e32 v3, v22
	v_ashrrev_i32_e32 v2, 31, v2
	v_xor_b32_e32 v5, s12, v5
	v_and_b32_e32 v0, v0, v4
	v_cmp_gt_i32_e64 s12, 0, v22
	v_not_b32_e32 v4, v1
	v_ashrrev_i32_e32 v3, 31, v3
	v_xor_b32_e32 v2, s13, v2
	v_and_b32_e32 v0, v0, v5
	v_cmp_gt_i32_e64 s13, 0, v1
	v_ashrrev_i32_e32 v1, 31, v4
	v_xor_b32_e32 v3, s12, v3
	v_lshrrev_b32_e32 v6, 13, v21
	v_and_b32_e32 v0, v0, v2
	s_delay_alu instid0(VALU_DEP_4) | instskip(SKIP_1) | instid1(VALU_DEP_3)
	v_xor_b32_e32 v5, s13, v1
	v_dual_mov_b32 v1, s22 :: v_dual_mov_b32 v2, s23
	v_dual_mov_b32 v3, s16 :: v_dual_and_b32 v0, v0, v3
	v_mov_b32_e32 v4, s17
	ds_store_2addr_b64 v13, v[1:2], v[3:4] offset0:4 offset1:5
	ds_store_2addr_b64 v15, v[1:2], v[3:4] offset0:2 offset1:3
	v_and_b32_e32 v0, v0, v5
	v_and_b32_e32 v5, 0x7f8, v6
	s_waitcnt lgkmcnt(0)
	s_barrier
	buffer_gl0_inv
	v_mbcnt_lo_u32_b32 v22, v0, 0
	v_add_nc_u32_e32 v1, v5, v19
	v_cmp_ne_u32_e64 s13, 0, v0
	; wave barrier
	s_delay_alu instid0(VALU_DEP_3) | instskip(NEXT) | instid1(VALU_DEP_3)
	v_cmp_eq_u32_e64 s12, 0, v22
	v_lshl_add_u32 v23, v1, 2, 32
	s_delay_alu instid0(VALU_DEP_2) | instskip(NEXT) | instid1(SALU_CYCLE_1)
	s_and_b32 s13, s13, s12
	s_and_saveexec_b32 s12, s13
	s_cbranch_execz .LBB216_20
; %bb.19:                               ;   in Loop: Header=BB216_2 Depth=1
	v_bcnt_u32_b32 v0, v0, 0
	ds_store_b32 v23, v0
.LBB216_20:                             ;   in Loop: Header=BB216_2 Depth=1
	s_or_b32 exec_lo, exec_lo, s12
	; wave barrier
	s_waitcnt lgkmcnt(0)
	s_barrier
	buffer_gl0_inv
	ds_load_2addr_b64 v[4:7], v13 offset0:4 offset1:5
	ds_load_2addr_b64 v[0:3], v15 offset0:2 offset1:3
	s_waitcnt lgkmcnt(1)
	v_add_nc_u32_e32 v24, v5, v4
	s_delay_alu instid0(VALU_DEP_1) | instskip(SKIP_1) | instid1(VALU_DEP_1)
	v_add3_u32 v24, v24, v6, v7
	s_waitcnt lgkmcnt(0)
	v_add3_u32 v24, v24, v0, v1
	s_delay_alu instid0(VALU_DEP_1) | instskip(NEXT) | instid1(VALU_DEP_1)
	v_add3_u32 v3, v24, v2, v3
	v_mov_b32_dpp v24, v3 row_shr:1 row_mask:0xf bank_mask:0xf
	s_delay_alu instid0(VALU_DEP_1) | instskip(NEXT) | instid1(VALU_DEP_1)
	v_cndmask_b32_e64 v24, v24, 0, s0
	v_add_nc_u32_e32 v3, v24, v3
	s_delay_alu instid0(VALU_DEP_1) | instskip(NEXT) | instid1(VALU_DEP_1)
	v_mov_b32_dpp v24, v3 row_shr:2 row_mask:0xf bank_mask:0xf
	v_cndmask_b32_e64 v24, 0, v24, s1
	s_delay_alu instid0(VALU_DEP_1) | instskip(NEXT) | instid1(VALU_DEP_1)
	v_add_nc_u32_e32 v3, v3, v24
	v_mov_b32_dpp v24, v3 row_shr:4 row_mask:0xf bank_mask:0xf
	s_delay_alu instid0(VALU_DEP_1) | instskip(NEXT) | instid1(VALU_DEP_1)
	v_cndmask_b32_e64 v24, 0, v24, s2
	v_add_nc_u32_e32 v3, v3, v24
	s_delay_alu instid0(VALU_DEP_1) | instskip(NEXT) | instid1(VALU_DEP_1)
	v_mov_b32_dpp v24, v3 row_shr:8 row_mask:0xf bank_mask:0xf
	v_cndmask_b32_e64 v24, 0, v24, s3
	s_delay_alu instid0(VALU_DEP_1) | instskip(SKIP_3) | instid1(VALU_DEP_1)
	v_add_nc_u32_e32 v3, v3, v24
	ds_swizzle_b32 v24, v3 offset:swizzle(BROADCAST,32,15)
	s_waitcnt lgkmcnt(0)
	v_cndmask_b32_e64 v24, v24, 0, s4
	v_add_nc_u32_e32 v3, v3, v24
	s_and_saveexec_b32 s12, s11
	s_cbranch_execz .LBB216_22
; %bb.21:                               ;   in Loop: Header=BB216_2 Depth=1
	ds_store_b32 v14, v3
.LBB216_22:                             ;   in Loop: Header=BB216_2 Depth=1
	s_or_b32 exec_lo, exec_lo, s12
	s_waitcnt lgkmcnt(0)
	s_barrier
	buffer_gl0_inv
	s_and_saveexec_b32 s12, s5
	s_cbranch_execz .LBB216_24
; %bb.23:                               ;   in Loop: Header=BB216_2 Depth=1
	ds_load_b32 v24, v20
	s_waitcnt lgkmcnt(0)
	v_mov_b32_dpp v25, v24 row_shr:1 row_mask:0xf bank_mask:0xf
	s_delay_alu instid0(VALU_DEP_1) | instskip(NEXT) | instid1(VALU_DEP_1)
	v_cndmask_b32_e64 v25, v25, 0, s8
	v_add_nc_u32_e32 v24, v25, v24
	s_delay_alu instid0(VALU_DEP_1) | instskip(NEXT) | instid1(VALU_DEP_1)
	v_mov_b32_dpp v25, v24 row_shr:2 row_mask:0xf bank_mask:0xf
	v_cndmask_b32_e64 v25, 0, v25, s9
	s_delay_alu instid0(VALU_DEP_1) | instskip(NEXT) | instid1(VALU_DEP_1)
	v_add_nc_u32_e32 v24, v24, v25
	v_mov_b32_dpp v25, v24 row_shr:4 row_mask:0xf bank_mask:0xf
	s_delay_alu instid0(VALU_DEP_1) | instskip(NEXT) | instid1(VALU_DEP_1)
	v_cndmask_b32_e64 v25, 0, v25, s10
	v_add_nc_u32_e32 v24, v24, v25
	ds_store_b32 v20, v24
.LBB216_24:                             ;   in Loop: Header=BB216_2 Depth=1
	s_or_b32 exec_lo, exec_lo, s12
	v_mov_b32_e32 v24, 0
	s_waitcnt lgkmcnt(0)
	s_barrier
	buffer_gl0_inv
	s_and_saveexec_b32 s12, s6
	s_cbranch_execz .LBB216_26
; %bb.25:                               ;   in Loop: Header=BB216_2 Depth=1
	ds_load_b32 v24, v17
.LBB216_26:                             ;   in Loop: Header=BB216_2 Depth=1
	s_or_b32 exec_lo, exec_lo, s12
	s_waitcnt lgkmcnt(0)
	v_add_nc_u32_e32 v3, v24, v3
	ds_bpermute_b32 v3, v16, v3
	s_waitcnt lgkmcnt(0)
	v_cndmask_b32_e32 v3, v3, v24, vcc_lo
	s_delay_alu instid0(VALU_DEP_1) | instskip(NEXT) | instid1(VALU_DEP_1)
	v_cndmask_b32_e64 v3, v3, 0, s7
	v_add_nc_u32_e32 v4, v3, v4
	s_delay_alu instid0(VALU_DEP_1) | instskip(NEXT) | instid1(VALU_DEP_1)
	v_add_nc_u32_e32 v5, v4, v5
	v_add_nc_u32_e32 v6, v5, v6
	s_delay_alu instid0(VALU_DEP_1) | instskip(NEXT) | instid1(VALU_DEP_1)
	v_add_nc_u32_e32 v24, v6, v7
	;; [unrolled: 3-line block ×3, first 2 shown]
	v_add_nc_u32_e32 v1, v0, v2
	ds_store_2addr_b64 v13, v[3:4], v[5:6] offset0:4 offset1:5
	ds_store_2addr_b64 v15, v[24:25], v[0:1] offset0:2 offset1:3
	s_waitcnt lgkmcnt(0)
	s_barrier
	buffer_gl0_inv
	ds_load_b32 v0, v23
	v_lshlrev_b32_e32 v1, 2, v22
	s_waitcnt lgkmcnt(0)
	s_barrier
	buffer_gl0_inv
	v_lshl_add_u32 v0, v0, 2, v1
	ds_store_b32 v0, v21
	s_waitcnt lgkmcnt(0)
	s_barrier
	buffer_gl0_inv
	ds_load_b32 v21, v18
	s_waitcnt lgkmcnt(0)
	s_barrier
	buffer_gl0_inv
	v_bfe_u32 v0, v21, 24, 1
	v_lshrrev_b32_e32 v5, 24, v21
	s_delay_alu instid0(VALU_DEP_2) | instskip(NEXT) | instid1(VALU_DEP_1)
	v_add_co_u32 v0, s12, v0, -1
	v_cndmask_b32_e64 v1, 0, 1, s12
	s_delay_alu instid0(VALU_DEP_3)
	v_lshlrev_b32_e32 v2, 30, v5
	v_lshlrev_b32_e32 v3, 29, v5
	v_lshlrev_b32_e32 v4, 28, v5
	v_lshlrev_b32_e32 v6, 27, v5
	v_cmp_ne_u32_e64 s12, 0, v1
	v_not_b32_e32 v1, v2
	v_cmp_gt_i32_e64 s13, 0, v2
	v_not_b32_e32 v2, v3
	v_lshlrev_b32_e32 v7, 26, v5
	v_xor_b32_e32 v0, s12, v0
	v_ashrrev_i32_e32 v1, 31, v1
	v_cmp_gt_i32_e64 s12, 0, v3
	v_not_b32_e32 v3, v4
	v_ashrrev_i32_e32 v2, 31, v2
	v_and_b32_e32 v0, exec_lo, v0
	v_xor_b32_e32 v1, s13, v1
	v_cmp_gt_i32_e64 s13, 0, v4
	v_not_b32_e32 v4, v6
	v_ashrrev_i32_e32 v3, 31, v3
	v_xor_b32_e32 v2, s12, v2
	v_and_b32_e32 v0, v0, v1
	v_lshlrev_b32_e32 v22, 25, v5
	v_cmp_gt_i32_e64 s12, 0, v6
	v_not_b32_e32 v1, v7
	v_ashrrev_i32_e32 v4, 31, v4
	v_xor_b32_e32 v3, s13, v3
	v_and_b32_e32 v0, v0, v2
	v_cmp_gt_i32_e64 s13, 0, v7
	v_not_b32_e32 v2, v22
	v_ashrrev_i32_e32 v1, 31, v1
	v_xor_b32_e32 v4, s12, v4
	v_and_b32_e32 v0, v0, v3
	v_not_b32_e32 v3, v21
	v_cmp_gt_i32_e64 s12, 0, v22
	v_ashrrev_i32_e32 v2, 31, v2
	v_xor_b32_e32 v1, s13, v1
	v_and_b32_e32 v0, v0, v4
	v_cmp_gt_i32_e64 s13, 0, v21
	v_ashrrev_i32_e32 v3, 31, v3
	v_xor_b32_e32 v2, s12, v2
	s_delay_alu instid0(VALU_DEP_4) | instskip(NEXT) | instid1(VALU_DEP_3)
	v_and_b32_e32 v0, v0, v1
	v_xor_b32_e32 v3, s13, v3
	s_delay_alu instid0(VALU_DEP_2) | instskip(SKIP_1) | instid1(VALU_DEP_2)
	v_dual_mov_b32 v1, s22 :: v_dual_and_b32 v0, v0, v2
	v_mov_b32_e32 v2, s23
	v_dual_mov_b32 v3, s16 :: v_dual_and_b32 v0, v0, v3
	v_mov_b32_e32 v4, s17
	ds_store_2addr_b64 v13, v[1:2], v[3:4] offset0:4 offset1:5
	ds_store_2addr_b64 v15, v[1:2], v[3:4] offset0:2 offset1:3
	v_mbcnt_lo_u32_b32 v22, v0, 0
	v_lshl_add_u32 v1, v5, 3, v19
	v_cmp_ne_u32_e64 s13, 0, v0
	s_waitcnt lgkmcnt(0)
	s_barrier
	v_cmp_eq_u32_e64 s12, 0, v22
	v_lshl_add_u32 v23, v1, 2, 32
	buffer_gl0_inv
	; wave barrier
	s_and_b32 s13, s13, s12
	s_delay_alu instid0(SALU_CYCLE_1)
	s_and_saveexec_b32 s12, s13
	s_cbranch_execz .LBB216_28
; %bb.27:                               ;   in Loop: Header=BB216_2 Depth=1
	v_bcnt_u32_b32 v0, v0, 0
	ds_store_b32 v23, v0
.LBB216_28:                             ;   in Loop: Header=BB216_2 Depth=1
	s_or_b32 exec_lo, exec_lo, s12
	; wave barrier
	s_waitcnt lgkmcnt(0)
	s_barrier
	buffer_gl0_inv
	ds_load_2addr_b64 v[4:7], v13 offset0:4 offset1:5
	ds_load_2addr_b64 v[0:3], v15 offset0:2 offset1:3
	s_waitcnt lgkmcnt(1)
	v_add_nc_u32_e32 v24, v5, v4
	s_delay_alu instid0(VALU_DEP_1) | instskip(SKIP_1) | instid1(VALU_DEP_1)
	v_add3_u32 v24, v24, v6, v7
	s_waitcnt lgkmcnt(0)
	v_add3_u32 v24, v24, v0, v1
	s_delay_alu instid0(VALU_DEP_1) | instskip(NEXT) | instid1(VALU_DEP_1)
	v_add3_u32 v3, v24, v2, v3
	v_mov_b32_dpp v24, v3 row_shr:1 row_mask:0xf bank_mask:0xf
	s_delay_alu instid0(VALU_DEP_1) | instskip(NEXT) | instid1(VALU_DEP_1)
	v_cndmask_b32_e64 v24, v24, 0, s0
	v_add_nc_u32_e32 v3, v24, v3
	s_delay_alu instid0(VALU_DEP_1) | instskip(NEXT) | instid1(VALU_DEP_1)
	v_mov_b32_dpp v24, v3 row_shr:2 row_mask:0xf bank_mask:0xf
	v_cndmask_b32_e64 v24, 0, v24, s1
	s_delay_alu instid0(VALU_DEP_1) | instskip(NEXT) | instid1(VALU_DEP_1)
	v_add_nc_u32_e32 v3, v3, v24
	v_mov_b32_dpp v24, v3 row_shr:4 row_mask:0xf bank_mask:0xf
	s_delay_alu instid0(VALU_DEP_1) | instskip(NEXT) | instid1(VALU_DEP_1)
	v_cndmask_b32_e64 v24, 0, v24, s2
	v_add_nc_u32_e32 v3, v3, v24
	s_delay_alu instid0(VALU_DEP_1) | instskip(NEXT) | instid1(VALU_DEP_1)
	v_mov_b32_dpp v24, v3 row_shr:8 row_mask:0xf bank_mask:0xf
	v_cndmask_b32_e64 v24, 0, v24, s3
	s_delay_alu instid0(VALU_DEP_1) | instskip(SKIP_3) | instid1(VALU_DEP_1)
	v_add_nc_u32_e32 v3, v3, v24
	ds_swizzle_b32 v24, v3 offset:swizzle(BROADCAST,32,15)
	s_waitcnt lgkmcnt(0)
	v_cndmask_b32_e64 v24, v24, 0, s4
	v_add_nc_u32_e32 v3, v3, v24
	s_and_saveexec_b32 s12, s11
	s_cbranch_execz .LBB216_30
; %bb.29:                               ;   in Loop: Header=BB216_2 Depth=1
	ds_store_b32 v14, v3
.LBB216_30:                             ;   in Loop: Header=BB216_2 Depth=1
	s_or_b32 exec_lo, exec_lo, s12
	s_waitcnt lgkmcnt(0)
	s_barrier
	buffer_gl0_inv
	s_and_saveexec_b32 s12, s5
	s_cbranch_execz .LBB216_32
; %bb.31:                               ;   in Loop: Header=BB216_2 Depth=1
	ds_load_b32 v24, v20
	s_waitcnt lgkmcnt(0)
	v_mov_b32_dpp v25, v24 row_shr:1 row_mask:0xf bank_mask:0xf
	s_delay_alu instid0(VALU_DEP_1) | instskip(NEXT) | instid1(VALU_DEP_1)
	v_cndmask_b32_e64 v25, v25, 0, s8
	v_add_nc_u32_e32 v24, v25, v24
	s_delay_alu instid0(VALU_DEP_1) | instskip(NEXT) | instid1(VALU_DEP_1)
	v_mov_b32_dpp v25, v24 row_shr:2 row_mask:0xf bank_mask:0xf
	v_cndmask_b32_e64 v25, 0, v25, s9
	s_delay_alu instid0(VALU_DEP_1) | instskip(NEXT) | instid1(VALU_DEP_1)
	v_add_nc_u32_e32 v24, v24, v25
	v_mov_b32_dpp v25, v24 row_shr:4 row_mask:0xf bank_mask:0xf
	s_delay_alu instid0(VALU_DEP_1) | instskip(NEXT) | instid1(VALU_DEP_1)
	v_cndmask_b32_e64 v25, 0, v25, s10
	v_add_nc_u32_e32 v24, v24, v25
	ds_store_b32 v20, v24
.LBB216_32:                             ;   in Loop: Header=BB216_2 Depth=1
	s_or_b32 exec_lo, exec_lo, s12
	v_mov_b32_e32 v24, 0
	s_waitcnt lgkmcnt(0)
	s_barrier
	buffer_gl0_inv
	s_and_saveexec_b32 s12, s6
	s_cbranch_execz .LBB216_1
; %bb.33:                               ;   in Loop: Header=BB216_2 Depth=1
	ds_load_b32 v24, v17
	s_branch .LBB216_1
.LBB216_34:
	s_waitcnt lgkmcnt(0)
	v_xor_b32_e32 v0, 0x80000000, v21
	v_lshlrev_b32_e32 v1, 2, v8
	s_add_u32 s0, s18, s20
	s_addc_u32 s1, s19, s21
	global_store_b32 v1, v0, s[0:1]
	s_nop 0
	s_sendmsg sendmsg(MSG_DEALLOC_VGPRS)
	s_endpgm
	.section	.rodata,"a",@progbits
	.p2align	6, 0x0
	.amdhsa_kernel _Z16sort_keys_kernelI22helper_blocked_stripediLj256ELj1ELj10EEvPKT0_PS1_
		.amdhsa_group_segment_fixed_size 8224
		.amdhsa_private_segment_fixed_size 0
		.amdhsa_kernarg_size 272
		.amdhsa_user_sgpr_count 15
		.amdhsa_user_sgpr_dispatch_ptr 0
		.amdhsa_user_sgpr_queue_ptr 0
		.amdhsa_user_sgpr_kernarg_segment_ptr 1
		.amdhsa_user_sgpr_dispatch_id 0
		.amdhsa_user_sgpr_private_segment_size 0
		.amdhsa_wavefront_size32 1
		.amdhsa_uses_dynamic_stack 0
		.amdhsa_enable_private_segment 0
		.amdhsa_system_sgpr_workgroup_id_x 1
		.amdhsa_system_sgpr_workgroup_id_y 0
		.amdhsa_system_sgpr_workgroup_id_z 0
		.amdhsa_system_sgpr_workgroup_info 0
		.amdhsa_system_vgpr_workitem_id 2
		.amdhsa_next_free_vgpr 26
		.amdhsa_next_free_sgpr 24
		.amdhsa_reserve_vcc 1
		.amdhsa_float_round_mode_32 0
		.amdhsa_float_round_mode_16_64 0
		.amdhsa_float_denorm_mode_32 3
		.amdhsa_float_denorm_mode_16_64 3
		.amdhsa_dx10_clamp 1
		.amdhsa_ieee_mode 1
		.amdhsa_fp16_overflow 0
		.amdhsa_workgroup_processor_mode 1
		.amdhsa_memory_ordered 1
		.amdhsa_forward_progress 0
		.amdhsa_shared_vgpr_count 0
		.amdhsa_exception_fp_ieee_invalid_op 0
		.amdhsa_exception_fp_denorm_src 0
		.amdhsa_exception_fp_ieee_div_zero 0
		.amdhsa_exception_fp_ieee_overflow 0
		.amdhsa_exception_fp_ieee_underflow 0
		.amdhsa_exception_fp_ieee_inexact 0
		.amdhsa_exception_int_div_zero 0
	.end_amdhsa_kernel
	.section	.text._Z16sort_keys_kernelI22helper_blocked_stripediLj256ELj1ELj10EEvPKT0_PS1_,"axG",@progbits,_Z16sort_keys_kernelI22helper_blocked_stripediLj256ELj1ELj10EEvPKT0_PS1_,comdat
.Lfunc_end216:
	.size	_Z16sort_keys_kernelI22helper_blocked_stripediLj256ELj1ELj10EEvPKT0_PS1_, .Lfunc_end216-_Z16sort_keys_kernelI22helper_blocked_stripediLj256ELj1ELj10EEvPKT0_PS1_
                                        ; -- End function
	.section	.AMDGPU.csdata,"",@progbits
; Kernel info:
; codeLenInByte = 4256
; NumSgprs: 26
; NumVgprs: 26
; ScratchSize: 0
; MemoryBound: 0
; FloatMode: 240
; IeeeMode: 1
; LDSByteSize: 8224 bytes/workgroup (compile time only)
; SGPRBlocks: 3
; VGPRBlocks: 3
; NumSGPRsForWavesPerEU: 26
; NumVGPRsForWavesPerEU: 26
; Occupancy: 16
; WaveLimiterHint : 0
; COMPUTE_PGM_RSRC2:SCRATCH_EN: 0
; COMPUTE_PGM_RSRC2:USER_SGPR: 15
; COMPUTE_PGM_RSRC2:TRAP_HANDLER: 0
; COMPUTE_PGM_RSRC2:TGID_X_EN: 1
; COMPUTE_PGM_RSRC2:TGID_Y_EN: 0
; COMPUTE_PGM_RSRC2:TGID_Z_EN: 0
; COMPUTE_PGM_RSRC2:TIDIG_COMP_CNT: 2
	.section	.text._Z17sort_pairs_kernelI22helper_blocked_stripediLj256ELj1ELj10EEvPKT0_PS1_,"axG",@progbits,_Z17sort_pairs_kernelI22helper_blocked_stripediLj256ELj1ELj10EEvPKT0_PS1_,comdat
	.protected	_Z17sort_pairs_kernelI22helper_blocked_stripediLj256ELj1ELj10EEvPKT0_PS1_ ; -- Begin function _Z17sort_pairs_kernelI22helper_blocked_stripediLj256ELj1ELj10EEvPKT0_PS1_
	.globl	_Z17sort_pairs_kernelI22helper_blocked_stripediLj256ELj1ELj10EEvPKT0_PS1_
	.p2align	8
	.type	_Z17sort_pairs_kernelI22helper_blocked_stripediLj256ELj1ELj10EEvPKT0_PS1_,@function
_Z17sort_pairs_kernelI22helper_blocked_stripediLj256ELj1ELj10EEvPKT0_PS1_: ; @_Z17sort_pairs_kernelI22helper_blocked_stripediLj256ELj1ELj10EEvPKT0_PS1_
; %bb.0:
	s_clause 0x1
	s_load_b128 s[16:19], s[0:1], 0x0
	s_load_b32 s11, s[0:1], 0x1c
	s_mov_b32 s23, 0
	s_lshl_b32 s22, s15, 8
	v_mbcnt_lo_u32_b32 v3, -1, 0
	s_lshl_b64 s[20:21], s[22:23], 2
	s_mov_b32 s22, s23
	s_mov_b32 s15, 10
	s_delay_alu instid0(VALU_DEP_1) | instskip(SKIP_3) | instid1(VALU_DEP_4)
	v_dual_mov_b32 v11, s22 :: v_dual_add_nc_u32 v6, -1, v3
	v_and_b32_e32 v4, 15, v3
	v_dual_mov_b32 v12, s23 :: v_dual_and_b32 v5, 16, v3
	v_and_b32_e32 v7, 7, v3
	v_cmp_gt_i32_e64 s7, 0, v6
	s_delay_alu instid0(VALU_DEP_4)
	v_cmp_lt_u32_e64 s2, 3, v4
	v_cmp_lt_u32_e64 s3, 7, v4
	v_cmp_eq_u32_e64 s4, 0, v5
	v_cmp_eq_u32_e64 s8, 0, v7
	v_cndmask_b32_e64 v5, v6, v3, s7
	s_waitcnt lgkmcnt(0)
	s_add_u32 s0, s16, s20
	s_addc_u32 s1, s17, s21
	s_mov_b32 s16, s23
	s_mov_b32 s17, s23
	v_dual_mov_b32 v9, s16 :: v_dual_and_b32 v8, 0x3ff, v0
	v_mov_b32_e32 v10, s17
	s_lshr_b32 s10, s11, 16
	s_and_b32 s11, s11, 0xffff
	s_delay_alu instid0(VALU_DEP_2)
	v_lshlrev_b32_e32 v1, 2, v8
	v_lshrrev_b32_e32 v6, 3, v8
	v_lshlrev_b32_e32 v13, 5, v8
	v_mul_i32_i24_e32 v20, 0xffffffe4, v8
	v_cmp_lt_u32_e64 s9, 1, v7
	global_load_b32 v2, v1, s[0:1]
	v_bfe_u32 v1, v0, 10, 10
	v_bfe_u32 v0, v0, 20, 10
	v_cmp_eq_u32_e64 s0, 0, v4
	v_cmp_lt_u32_e64 s1, 1, v4
	v_and_b32_e32 v4, 0xe0, v8
	v_cmp_eq_u32_e32 vcc_lo, 0, v3
	v_mad_u32_u24 v14, v0, s10, v1
	v_cmp_lt_u32_e64 s10, 3, v7
	v_cmp_gt_u32_e64 s5, 8, v8
	v_or_b32_e32 v7, 31, v4
	v_cmp_lt_u32_e64 s6, 31, v8
	v_mad_u64_u32 v[0:1], null, v14, s11, v[8:9]
	v_and_b32_e32 v14, 28, v6
	v_or_b32_e32 v1, v3, v4
	v_cmp_eq_u32_e64 s7, 0, v8
	v_add_nc_u32_e32 v15, 32, v13
	v_lshlrev_b32_e32 v16, 2, v5
	v_cmp_eq_u32_e64 s11, v7, v8
	v_add_nc_u32_e32 v17, -4, v14
	v_lshlrev_b32_e32 v18, 2, v1
	v_lshrrev_b32_e32 v19, 5, v0
	v_add_nc_u32_e32 v20, v13, v20
	s_waitcnt vmcnt(0)
	v_add_nc_u32_e32 v21, 1, v2
	v_xor_b32_e32 v22, 0x80000000, v2
	s_branch .LBB217_2
.LBB217_1:                              ;   in Loop: Header=BB217_2 Depth=1
	s_or_b32 exec_lo, exec_lo, s12
	s_waitcnt lgkmcnt(0)
	v_add_nc_u32_e32 v3, v25, v3
	s_add_i32 s15, s15, -1
	s_delay_alu instid0(SALU_CYCLE_1) | instskip(SKIP_3) | instid1(VALU_DEP_1)
	s_cmp_lg_u32 s15, 0
	ds_bpermute_b32 v3, v16, v3
	s_waitcnt lgkmcnt(0)
	v_cndmask_b32_e32 v3, v3, v25, vcc_lo
	v_cndmask_b32_e64 v3, v3, 0, s7
	s_delay_alu instid0(VALU_DEP_1) | instskip(NEXT) | instid1(VALU_DEP_1)
	v_add_nc_u32_e32 v4, v3, v4
	v_add_nc_u32_e32 v5, v4, v5
	s_delay_alu instid0(VALU_DEP_1) | instskip(NEXT) | instid1(VALU_DEP_1)
	v_add_nc_u32_e32 v6, v5, v6
	v_add_nc_u32_e32 v25, v6, v7
	;; [unrolled: 3-line block ×3, first 2 shown]
	s_delay_alu instid0(VALU_DEP_1)
	v_add_nc_u32_e32 v1, v0, v2
	ds_store_2addr_b64 v13, v[3:4], v[5:6] offset0:4 offset1:5
	ds_store_2addr_b64 v15, v[25:26], v[0:1] offset0:2 offset1:3
	s_waitcnt lgkmcnt(0)
	s_barrier
	buffer_gl0_inv
	ds_load_b32 v0, v24
	v_lshlrev_b32_e32 v1, 2, v22
	s_waitcnt lgkmcnt(0)
	s_barrier
	buffer_gl0_inv
	v_lshl_add_u32 v0, v0, 2, v1
	ds_store_b32 v0, v21
	s_waitcnt lgkmcnt(0)
	s_barrier
	buffer_gl0_inv
	ds_load_b32 v22, v20
	s_waitcnt lgkmcnt(0)
	s_barrier
	buffer_gl0_inv
	ds_store_b32 v0, v23
	s_waitcnt lgkmcnt(0)
	s_barrier
	buffer_gl0_inv
	ds_load_b32 v21, v20
	s_cbranch_scc0 .LBB217_34
.LBB217_2:                              ; =>This Inner Loop Header: Depth=1
	s_delay_alu instid0(VALU_DEP_1)
	v_and_b32_e32 v0, 1, v22
	v_lshlrev_b32_e32 v1, 30, v22
	v_lshlrev_b32_e32 v2, 29, v22
	;; [unrolled: 1-line block ×4, first 2 shown]
	v_add_co_u32 v0, s12, v0, -1
	s_delay_alu instid0(VALU_DEP_1)
	v_cndmask_b32_e64 v3, 0, 1, s12
	v_not_b32_e32 v7, v1
	v_cmp_gt_i32_e64 s13, 0, v1
	v_not_b32_e32 v1, v2
	v_lshlrev_b32_e32 v6, 26, v22
	v_cmp_ne_u32_e64 s12, 0, v3
	v_ashrrev_i32_e32 v7, 31, v7
	v_lshlrev_b32_e32 v3, 25, v22
	v_ashrrev_i32_e32 v1, 31, v1
	v_cmp_gt_i32_e64 s14, 0, v5
	v_xor_b32_e32 v0, s12, v0
	v_cmp_gt_i32_e64 s12, 0, v2
	v_not_b32_e32 v2, v4
	v_xor_b32_e32 v7, s13, v7
	v_cmp_gt_i32_e64 s13, 0, v4
	v_and_b32_e32 v0, exec_lo, v0
	v_xor_b32_e32 v1, s12, v1
	v_ashrrev_i32_e32 v2, 31, v2
	v_not_b32_e32 v4, v5
	v_not_b32_e32 v5, v6
	v_and_b32_e32 v0, v0, v7
	v_cmp_gt_i32_e64 s12, 0, v6
	v_xor_b32_e32 v2, s13, v2
	v_not_b32_e32 v6, v3
	ds_store_2addr_b64 v13, v[11:12], v[9:10] offset0:4 offset1:5
	ds_store_2addr_b64 v15, v[11:12], v[9:10] offset0:2 offset1:3
	v_and_b32_e32 v0, v0, v1
	v_ashrrev_i32_e32 v1, 31, v4
	v_ashrrev_i32_e32 v4, 31, v5
	v_lshlrev_b32_e32 v5, 24, v22
	s_waitcnt lgkmcnt(0)
	v_and_b32_e32 v0, v0, v2
	v_xor_b32_e32 v1, s14, v1
	v_xor_b32_e32 v2, s12, v4
	v_cmp_gt_i32_e64 s12, 0, v3
	v_not_b32_e32 v3, v5
	v_ashrrev_i32_e32 v4, 31, v6
	v_and_b32_e32 v0, v0, v1
	v_cmp_gt_i32_e64 s13, 0, v5
	s_barrier
	v_ashrrev_i32_e32 v1, 31, v3
	v_xor_b32_e32 v3, s12, v4
	v_and_b32_e32 v0, v0, v2
	buffer_gl0_inv
	v_xor_b32_e32 v1, s13, v1
	; wave barrier
	v_and_b32_e32 v0, v0, v3
	s_delay_alu instid0(VALU_DEP_1) | instskip(SKIP_1) | instid1(VALU_DEP_2)
	v_and_b32_e32 v0, v0, v1
	v_and_b32_e32 v1, 0xff, v22
	v_mbcnt_lo_u32_b32 v23, v0, 0
	s_delay_alu instid0(VALU_DEP_2) | instskip(SKIP_1) | instid1(VALU_DEP_3)
	v_lshl_add_u32 v1, v1, 3, v19
	v_cmp_ne_u32_e64 s13, 0, v0
	v_cmp_eq_u32_e64 s12, 0, v23
	s_delay_alu instid0(VALU_DEP_3) | instskip(NEXT) | instid1(VALU_DEP_2)
	v_lshl_add_u32 v24, v1, 2, 32
	s_and_b32 s13, s13, s12
	s_delay_alu instid0(SALU_CYCLE_1)
	s_and_saveexec_b32 s12, s13
	s_cbranch_execz .LBB217_4
; %bb.3:                                ;   in Loop: Header=BB217_2 Depth=1
	v_bcnt_u32_b32 v0, v0, 0
	ds_store_b32 v24, v0
.LBB217_4:                              ;   in Loop: Header=BB217_2 Depth=1
	s_or_b32 exec_lo, exec_lo, s12
	; wave barrier
	s_waitcnt lgkmcnt(0)
	s_barrier
	buffer_gl0_inv
	ds_load_2addr_b64 v[4:7], v13 offset0:4 offset1:5
	ds_load_2addr_b64 v[0:3], v15 offset0:2 offset1:3
	s_waitcnt lgkmcnt(1)
	v_add_nc_u32_e32 v25, v5, v4
	s_delay_alu instid0(VALU_DEP_1) | instskip(SKIP_1) | instid1(VALU_DEP_1)
	v_add3_u32 v25, v25, v6, v7
	s_waitcnt lgkmcnt(0)
	v_add3_u32 v25, v25, v0, v1
	s_delay_alu instid0(VALU_DEP_1) | instskip(NEXT) | instid1(VALU_DEP_1)
	v_add3_u32 v3, v25, v2, v3
	v_mov_b32_dpp v25, v3 row_shr:1 row_mask:0xf bank_mask:0xf
	s_delay_alu instid0(VALU_DEP_1) | instskip(NEXT) | instid1(VALU_DEP_1)
	v_cndmask_b32_e64 v25, v25, 0, s0
	v_add_nc_u32_e32 v3, v25, v3
	s_delay_alu instid0(VALU_DEP_1) | instskip(NEXT) | instid1(VALU_DEP_1)
	v_mov_b32_dpp v25, v3 row_shr:2 row_mask:0xf bank_mask:0xf
	v_cndmask_b32_e64 v25, 0, v25, s1
	s_delay_alu instid0(VALU_DEP_1) | instskip(NEXT) | instid1(VALU_DEP_1)
	v_add_nc_u32_e32 v3, v3, v25
	v_mov_b32_dpp v25, v3 row_shr:4 row_mask:0xf bank_mask:0xf
	s_delay_alu instid0(VALU_DEP_1) | instskip(NEXT) | instid1(VALU_DEP_1)
	v_cndmask_b32_e64 v25, 0, v25, s2
	v_add_nc_u32_e32 v3, v3, v25
	s_delay_alu instid0(VALU_DEP_1) | instskip(NEXT) | instid1(VALU_DEP_1)
	v_mov_b32_dpp v25, v3 row_shr:8 row_mask:0xf bank_mask:0xf
	v_cndmask_b32_e64 v25, 0, v25, s3
	s_delay_alu instid0(VALU_DEP_1) | instskip(SKIP_3) | instid1(VALU_DEP_1)
	v_add_nc_u32_e32 v3, v3, v25
	ds_swizzle_b32 v25, v3 offset:swizzle(BROADCAST,32,15)
	s_waitcnt lgkmcnt(0)
	v_cndmask_b32_e64 v25, v25, 0, s4
	v_add_nc_u32_e32 v3, v3, v25
	s_and_saveexec_b32 s12, s11
	s_cbranch_execz .LBB217_6
; %bb.5:                                ;   in Loop: Header=BB217_2 Depth=1
	ds_store_b32 v14, v3
.LBB217_6:                              ;   in Loop: Header=BB217_2 Depth=1
	s_or_b32 exec_lo, exec_lo, s12
	s_waitcnt lgkmcnt(0)
	s_barrier
	buffer_gl0_inv
	s_and_saveexec_b32 s12, s5
	s_cbranch_execz .LBB217_8
; %bb.7:                                ;   in Loop: Header=BB217_2 Depth=1
	ds_load_b32 v25, v20
	s_waitcnt lgkmcnt(0)
	v_mov_b32_dpp v26, v25 row_shr:1 row_mask:0xf bank_mask:0xf
	s_delay_alu instid0(VALU_DEP_1) | instskip(NEXT) | instid1(VALU_DEP_1)
	v_cndmask_b32_e64 v26, v26, 0, s8
	v_add_nc_u32_e32 v25, v26, v25
	s_delay_alu instid0(VALU_DEP_1) | instskip(NEXT) | instid1(VALU_DEP_1)
	v_mov_b32_dpp v26, v25 row_shr:2 row_mask:0xf bank_mask:0xf
	v_cndmask_b32_e64 v26, 0, v26, s9
	s_delay_alu instid0(VALU_DEP_1) | instskip(NEXT) | instid1(VALU_DEP_1)
	v_add_nc_u32_e32 v25, v25, v26
	v_mov_b32_dpp v26, v25 row_shr:4 row_mask:0xf bank_mask:0xf
	s_delay_alu instid0(VALU_DEP_1) | instskip(NEXT) | instid1(VALU_DEP_1)
	v_cndmask_b32_e64 v26, 0, v26, s10
	v_add_nc_u32_e32 v25, v25, v26
	ds_store_b32 v20, v25
.LBB217_8:                              ;   in Loop: Header=BB217_2 Depth=1
	s_or_b32 exec_lo, exec_lo, s12
	v_mov_b32_e32 v25, 0
	s_waitcnt lgkmcnt(0)
	s_barrier
	buffer_gl0_inv
	s_and_saveexec_b32 s12, s6
	s_cbranch_execz .LBB217_10
; %bb.9:                                ;   in Loop: Header=BB217_2 Depth=1
	ds_load_b32 v25, v17
.LBB217_10:                             ;   in Loop: Header=BB217_2 Depth=1
	s_or_b32 exec_lo, exec_lo, s12
	s_waitcnt lgkmcnt(0)
	v_add_nc_u32_e32 v3, v25, v3
	ds_bpermute_b32 v3, v16, v3
	s_waitcnt lgkmcnt(0)
	v_cndmask_b32_e32 v3, v3, v25, vcc_lo
	s_delay_alu instid0(VALU_DEP_1) | instskip(NEXT) | instid1(VALU_DEP_1)
	v_cndmask_b32_e64 v3, v3, 0, s7
	v_add_nc_u32_e32 v4, v3, v4
	s_delay_alu instid0(VALU_DEP_1) | instskip(NEXT) | instid1(VALU_DEP_1)
	v_add_nc_u32_e32 v5, v4, v5
	v_add_nc_u32_e32 v6, v5, v6
	s_delay_alu instid0(VALU_DEP_1) | instskip(NEXT) | instid1(VALU_DEP_1)
	v_add_nc_u32_e32 v25, v6, v7
	;; [unrolled: 3-line block ×3, first 2 shown]
	v_add_nc_u32_e32 v1, v0, v2
	ds_store_2addr_b64 v13, v[3:4], v[5:6] offset0:4 offset1:5
	ds_store_2addr_b64 v15, v[25:26], v[0:1] offset0:2 offset1:3
	s_waitcnt lgkmcnt(0)
	s_barrier
	buffer_gl0_inv
	ds_load_b32 v0, v24
	v_lshlrev_b32_e32 v1, 2, v23
	s_waitcnt lgkmcnt(0)
	s_barrier
	buffer_gl0_inv
	v_lshl_add_u32 v0, v0, 2, v1
	ds_store_b32 v0, v22
	s_waitcnt lgkmcnt(0)
	s_barrier
	buffer_gl0_inv
	ds_load_b32 v22, v18
	s_waitcnt lgkmcnt(0)
	s_barrier
	buffer_gl0_inv
	ds_store_b32 v0, v21
	s_waitcnt lgkmcnt(0)
	s_barrier
	buffer_gl0_inv
	v_bfe_u32 v1, v22, 8, 1
	v_lshrrev_b32_e32 v2, 8, v22
	s_delay_alu instid0(VALU_DEP_2) | instskip(NEXT) | instid1(VALU_DEP_1)
	v_add_co_u32 v1, s12, v1, -1
	v_cndmask_b32_e64 v3, 0, 1, s12
	s_delay_alu instid0(VALU_DEP_3)
	v_lshlrev_b32_e32 v4, 30, v2
	v_lshlrev_b32_e32 v5, 29, v2
	;; [unrolled: 1-line block ×4, first 2 shown]
	v_cmp_ne_u32_e64 s12, 0, v3
	v_not_b32_e32 v3, v4
	v_cmp_gt_i32_e64 s13, 0, v4
	v_not_b32_e32 v4, v5
	v_lshlrev_b32_e32 v23, 26, v2
	v_xor_b32_e32 v1, s12, v1
	v_ashrrev_i32_e32 v3, 31, v3
	v_cmp_gt_i32_e64 s12, 0, v5
	v_not_b32_e32 v5, v6
	v_ashrrev_i32_e32 v4, 31, v4
	v_and_b32_e32 v1, exec_lo, v1
	v_xor_b32_e32 v3, s13, v3
	v_cmp_gt_i32_e64 s13, 0, v6
	v_not_b32_e32 v6, v7
	v_ashrrev_i32_e32 v5, 31, v5
	v_xor_b32_e32 v4, s12, v4
	v_and_b32_e32 v1, v1, v3
	v_lshlrev_b32_e32 v24, 25, v2
	v_cmp_gt_i32_e64 s12, 0, v7
	v_not_b32_e32 v3, v23
	v_ashrrev_i32_e32 v6, 31, v6
	v_xor_b32_e32 v5, s13, v5
	v_and_b32_e32 v1, v1, v4
	v_lshlrev_b32_e32 v2, 24, v2
	v_cmp_gt_i32_e64 s13, 0, v23
	v_not_b32_e32 v4, v24
	v_ashrrev_i32_e32 v3, 31, v3
	v_xor_b32_e32 v6, s12, v6
	v_and_b32_e32 v1, v1, v5
	v_cmp_gt_i32_e64 s12, 0, v24
	v_not_b32_e32 v5, v2
	v_ashrrev_i32_e32 v4, 31, v4
	v_xor_b32_e32 v3, s13, v3
	v_and_b32_e32 v1, v1, v6
	v_cmp_gt_i32_e64 s13, 0, v2
	v_ashrrev_i32_e32 v2, 31, v5
	v_xor_b32_e32 v4, s12, v4
	ds_load_b32 v23, v18
	v_and_b32_e32 v1, v1, v3
	s_waitcnt lgkmcnt(0)
	v_xor_b32_e32 v0, s13, v2
	v_lshrrev_b32_e32 v2, 5, v22
	s_barrier
	v_and_b32_e32 v1, v1, v4
	buffer_gl0_inv
	ds_store_2addr_b64 v13, v[11:12], v[9:10] offset0:4 offset1:5
	ds_store_2addr_b64 v15, v[11:12], v[9:10] offset0:2 offset1:3
	s_waitcnt lgkmcnt(0)
	s_barrier
	v_and_b32_e32 v0, v1, v0
	v_and_b32_e32 v1, 0x7f8, v2
	buffer_gl0_inv
	; wave barrier
	v_mbcnt_lo_u32_b32 v21, v0, 0
	v_add_nc_u32_e32 v1, v1, v19
	v_cmp_ne_u32_e64 s13, 0, v0
	s_delay_alu instid0(VALU_DEP_3) | instskip(NEXT) | instid1(VALU_DEP_3)
	v_cmp_eq_u32_e64 s12, 0, v21
	v_lshl_add_u32 v24, v1, 2, 32
	s_delay_alu instid0(VALU_DEP_2) | instskip(NEXT) | instid1(SALU_CYCLE_1)
	s_and_b32 s13, s13, s12
	s_and_saveexec_b32 s12, s13
	s_cbranch_execz .LBB217_12
; %bb.11:                               ;   in Loop: Header=BB217_2 Depth=1
	v_bcnt_u32_b32 v0, v0, 0
	ds_store_b32 v24, v0
.LBB217_12:                             ;   in Loop: Header=BB217_2 Depth=1
	s_or_b32 exec_lo, exec_lo, s12
	; wave barrier
	s_waitcnt lgkmcnt(0)
	s_barrier
	buffer_gl0_inv
	ds_load_2addr_b64 v[4:7], v13 offset0:4 offset1:5
	ds_load_2addr_b64 v[0:3], v15 offset0:2 offset1:3
	s_waitcnt lgkmcnt(1)
	v_add_nc_u32_e32 v25, v5, v4
	s_delay_alu instid0(VALU_DEP_1) | instskip(SKIP_1) | instid1(VALU_DEP_1)
	v_add3_u32 v25, v25, v6, v7
	s_waitcnt lgkmcnt(0)
	v_add3_u32 v25, v25, v0, v1
	s_delay_alu instid0(VALU_DEP_1) | instskip(NEXT) | instid1(VALU_DEP_1)
	v_add3_u32 v3, v25, v2, v3
	v_mov_b32_dpp v25, v3 row_shr:1 row_mask:0xf bank_mask:0xf
	s_delay_alu instid0(VALU_DEP_1) | instskip(NEXT) | instid1(VALU_DEP_1)
	v_cndmask_b32_e64 v25, v25, 0, s0
	v_add_nc_u32_e32 v3, v25, v3
	s_delay_alu instid0(VALU_DEP_1) | instskip(NEXT) | instid1(VALU_DEP_1)
	v_mov_b32_dpp v25, v3 row_shr:2 row_mask:0xf bank_mask:0xf
	v_cndmask_b32_e64 v25, 0, v25, s1
	s_delay_alu instid0(VALU_DEP_1) | instskip(NEXT) | instid1(VALU_DEP_1)
	v_add_nc_u32_e32 v3, v3, v25
	v_mov_b32_dpp v25, v3 row_shr:4 row_mask:0xf bank_mask:0xf
	s_delay_alu instid0(VALU_DEP_1) | instskip(NEXT) | instid1(VALU_DEP_1)
	v_cndmask_b32_e64 v25, 0, v25, s2
	v_add_nc_u32_e32 v3, v3, v25
	s_delay_alu instid0(VALU_DEP_1) | instskip(NEXT) | instid1(VALU_DEP_1)
	v_mov_b32_dpp v25, v3 row_shr:8 row_mask:0xf bank_mask:0xf
	v_cndmask_b32_e64 v25, 0, v25, s3
	s_delay_alu instid0(VALU_DEP_1) | instskip(SKIP_3) | instid1(VALU_DEP_1)
	v_add_nc_u32_e32 v3, v3, v25
	ds_swizzle_b32 v25, v3 offset:swizzle(BROADCAST,32,15)
	s_waitcnt lgkmcnt(0)
	v_cndmask_b32_e64 v25, v25, 0, s4
	v_add_nc_u32_e32 v3, v3, v25
	s_and_saveexec_b32 s12, s11
	s_cbranch_execz .LBB217_14
; %bb.13:                               ;   in Loop: Header=BB217_2 Depth=1
	ds_store_b32 v14, v3
.LBB217_14:                             ;   in Loop: Header=BB217_2 Depth=1
	s_or_b32 exec_lo, exec_lo, s12
	s_waitcnt lgkmcnt(0)
	s_barrier
	buffer_gl0_inv
	s_and_saveexec_b32 s12, s5
	s_cbranch_execz .LBB217_16
; %bb.15:                               ;   in Loop: Header=BB217_2 Depth=1
	ds_load_b32 v25, v20
	s_waitcnt lgkmcnt(0)
	v_mov_b32_dpp v26, v25 row_shr:1 row_mask:0xf bank_mask:0xf
	s_delay_alu instid0(VALU_DEP_1) | instskip(NEXT) | instid1(VALU_DEP_1)
	v_cndmask_b32_e64 v26, v26, 0, s8
	v_add_nc_u32_e32 v25, v26, v25
	s_delay_alu instid0(VALU_DEP_1) | instskip(NEXT) | instid1(VALU_DEP_1)
	v_mov_b32_dpp v26, v25 row_shr:2 row_mask:0xf bank_mask:0xf
	v_cndmask_b32_e64 v26, 0, v26, s9
	s_delay_alu instid0(VALU_DEP_1) | instskip(NEXT) | instid1(VALU_DEP_1)
	v_add_nc_u32_e32 v25, v25, v26
	v_mov_b32_dpp v26, v25 row_shr:4 row_mask:0xf bank_mask:0xf
	s_delay_alu instid0(VALU_DEP_1) | instskip(NEXT) | instid1(VALU_DEP_1)
	v_cndmask_b32_e64 v26, 0, v26, s10
	v_add_nc_u32_e32 v25, v25, v26
	ds_store_b32 v20, v25
.LBB217_16:                             ;   in Loop: Header=BB217_2 Depth=1
	s_or_b32 exec_lo, exec_lo, s12
	v_mov_b32_e32 v25, 0
	s_waitcnt lgkmcnt(0)
	s_barrier
	buffer_gl0_inv
	s_and_saveexec_b32 s12, s6
	s_cbranch_execz .LBB217_18
; %bb.17:                               ;   in Loop: Header=BB217_2 Depth=1
	ds_load_b32 v25, v17
.LBB217_18:                             ;   in Loop: Header=BB217_2 Depth=1
	s_or_b32 exec_lo, exec_lo, s12
	s_waitcnt lgkmcnt(0)
	v_add_nc_u32_e32 v3, v25, v3
	ds_bpermute_b32 v3, v16, v3
	s_waitcnt lgkmcnt(0)
	v_cndmask_b32_e32 v3, v3, v25, vcc_lo
	s_delay_alu instid0(VALU_DEP_1) | instskip(NEXT) | instid1(VALU_DEP_1)
	v_cndmask_b32_e64 v3, v3, 0, s7
	v_add_nc_u32_e32 v4, v3, v4
	s_delay_alu instid0(VALU_DEP_1) | instskip(NEXT) | instid1(VALU_DEP_1)
	v_add_nc_u32_e32 v5, v4, v5
	v_add_nc_u32_e32 v6, v5, v6
	s_delay_alu instid0(VALU_DEP_1) | instskip(NEXT) | instid1(VALU_DEP_1)
	v_add_nc_u32_e32 v25, v6, v7
	;; [unrolled: 3-line block ×3, first 2 shown]
	v_add_nc_u32_e32 v1, v0, v2
	ds_store_2addr_b64 v13, v[3:4], v[5:6] offset0:4 offset1:5
	ds_store_2addr_b64 v15, v[25:26], v[0:1] offset0:2 offset1:3
	s_waitcnt lgkmcnt(0)
	s_barrier
	buffer_gl0_inv
	ds_load_b32 v0, v24
	v_lshlrev_b32_e32 v1, 2, v21
	s_waitcnt lgkmcnt(0)
	s_barrier
	buffer_gl0_inv
	v_lshl_add_u32 v0, v0, 2, v1
	v_dual_mov_b32 v1, s22 :: v_dual_mov_b32 v2, s23
	ds_store_b32 v0, v22
	s_waitcnt lgkmcnt(0)
	s_barrier
	buffer_gl0_inv
	ds_load_b32 v21, v18
	s_waitcnt lgkmcnt(0)
	s_barrier
	buffer_gl0_inv
	ds_store_b32 v0, v23
	s_waitcnt lgkmcnt(0)
	s_barrier
	buffer_gl0_inv
	v_bfe_u32 v3, v21, 16, 1
	v_lshrrev_b32_e32 v4, 16, v21
	s_delay_alu instid0(VALU_DEP_2) | instskip(NEXT) | instid1(VALU_DEP_1)
	v_add_co_u32 v3, s12, v3, -1
	v_cndmask_b32_e64 v5, 0, 1, s12
	s_delay_alu instid0(VALU_DEP_3)
	v_lshlrev_b32_e32 v6, 30, v4
	v_lshlrev_b32_e32 v7, 29, v4
	;; [unrolled: 1-line block ×4, first 2 shown]
	v_cmp_ne_u32_e64 s12, 0, v5
	v_not_b32_e32 v5, v6
	v_cmp_gt_i32_e64 s13, 0, v6
	v_not_b32_e32 v6, v7
	v_lshlrev_b32_e32 v25, 26, v4
	v_xor_b32_e32 v3, s12, v3
	v_ashrrev_i32_e32 v5, 31, v5
	v_cmp_gt_i32_e64 s12, 0, v7
	v_not_b32_e32 v7, v22
	v_ashrrev_i32_e32 v6, 31, v6
	v_and_b32_e32 v3, exec_lo, v3
	v_xor_b32_e32 v5, s13, v5
	v_cmp_gt_i32_e64 s13, 0, v22
	v_not_b32_e32 v22, v24
	v_ashrrev_i32_e32 v7, 31, v7
	v_xor_b32_e32 v6, s12, v6
	v_and_b32_e32 v3, v3, v5
	v_lshlrev_b32_e32 v26, 25, v4
	v_cmp_gt_i32_e64 s12, 0, v24
	v_not_b32_e32 v5, v25
	v_ashrrev_i32_e32 v22, 31, v22
	v_xor_b32_e32 v7, s13, v7
	v_and_b32_e32 v3, v3, v6
	v_lshlrev_b32_e32 v4, 24, v4
	v_cmp_gt_i32_e64 s13, 0, v25
	v_not_b32_e32 v6, v26
	v_ashrrev_i32_e32 v5, 31, v5
	v_xor_b32_e32 v22, s12, v22
	v_and_b32_e32 v3, v3, v7
	v_cmp_gt_i32_e64 s12, 0, v26
	v_not_b32_e32 v7, v4
	v_ashrrev_i32_e32 v6, 31, v6
	v_xor_b32_e32 v5, s13, v5
	v_and_b32_e32 v3, v3, v22
	v_cmp_gt_i32_e64 s13, 0, v4
	v_ashrrev_i32_e32 v4, 31, v7
	v_xor_b32_e32 v6, s12, v6
	ds_load_b32 v22, v18
	v_and_b32_e32 v3, v3, v5
	s_waitcnt lgkmcnt(0)
	v_xor_b32_e32 v0, s13, v4
	s_barrier
	buffer_gl0_inv
	v_and_b32_e32 v5, v3, v6
	v_mov_b32_e32 v3, s16
	v_lshrrev_b32_e32 v6, 13, v21
	v_mov_b32_e32 v4, s17
	ds_store_2addr_b64 v13, v[1:2], v[3:4] offset0:4 offset1:5
	ds_store_2addr_b64 v15, v[1:2], v[3:4] offset0:2 offset1:3
	v_and_b32_e32 v0, v5, v0
	v_and_b32_e32 v5, 0x7f8, v6
	s_waitcnt lgkmcnt(0)
	s_barrier
	buffer_gl0_inv
	v_mbcnt_lo_u32_b32 v23, v0, 0
	v_add_nc_u32_e32 v1, v5, v19
	v_cmp_ne_u32_e64 s13, 0, v0
	; wave barrier
	s_delay_alu instid0(VALU_DEP_3) | instskip(NEXT) | instid1(VALU_DEP_3)
	v_cmp_eq_u32_e64 s12, 0, v23
	v_lshl_add_u32 v24, v1, 2, 32
	s_delay_alu instid0(VALU_DEP_2) | instskip(NEXT) | instid1(SALU_CYCLE_1)
	s_and_b32 s13, s13, s12
	s_and_saveexec_b32 s12, s13
	s_cbranch_execz .LBB217_20
; %bb.19:                               ;   in Loop: Header=BB217_2 Depth=1
	v_bcnt_u32_b32 v0, v0, 0
	ds_store_b32 v24, v0
.LBB217_20:                             ;   in Loop: Header=BB217_2 Depth=1
	s_or_b32 exec_lo, exec_lo, s12
	; wave barrier
	s_waitcnt lgkmcnt(0)
	s_barrier
	buffer_gl0_inv
	ds_load_2addr_b64 v[4:7], v13 offset0:4 offset1:5
	ds_load_2addr_b64 v[0:3], v15 offset0:2 offset1:3
	s_waitcnt lgkmcnt(1)
	v_add_nc_u32_e32 v25, v5, v4
	s_delay_alu instid0(VALU_DEP_1) | instskip(SKIP_1) | instid1(VALU_DEP_1)
	v_add3_u32 v25, v25, v6, v7
	s_waitcnt lgkmcnt(0)
	v_add3_u32 v25, v25, v0, v1
	s_delay_alu instid0(VALU_DEP_1) | instskip(NEXT) | instid1(VALU_DEP_1)
	v_add3_u32 v3, v25, v2, v3
	v_mov_b32_dpp v25, v3 row_shr:1 row_mask:0xf bank_mask:0xf
	s_delay_alu instid0(VALU_DEP_1) | instskip(NEXT) | instid1(VALU_DEP_1)
	v_cndmask_b32_e64 v25, v25, 0, s0
	v_add_nc_u32_e32 v3, v25, v3
	s_delay_alu instid0(VALU_DEP_1) | instskip(NEXT) | instid1(VALU_DEP_1)
	v_mov_b32_dpp v25, v3 row_shr:2 row_mask:0xf bank_mask:0xf
	v_cndmask_b32_e64 v25, 0, v25, s1
	s_delay_alu instid0(VALU_DEP_1) | instskip(NEXT) | instid1(VALU_DEP_1)
	v_add_nc_u32_e32 v3, v3, v25
	v_mov_b32_dpp v25, v3 row_shr:4 row_mask:0xf bank_mask:0xf
	s_delay_alu instid0(VALU_DEP_1) | instskip(NEXT) | instid1(VALU_DEP_1)
	v_cndmask_b32_e64 v25, 0, v25, s2
	v_add_nc_u32_e32 v3, v3, v25
	s_delay_alu instid0(VALU_DEP_1) | instskip(NEXT) | instid1(VALU_DEP_1)
	v_mov_b32_dpp v25, v3 row_shr:8 row_mask:0xf bank_mask:0xf
	v_cndmask_b32_e64 v25, 0, v25, s3
	s_delay_alu instid0(VALU_DEP_1) | instskip(SKIP_3) | instid1(VALU_DEP_1)
	v_add_nc_u32_e32 v3, v3, v25
	ds_swizzle_b32 v25, v3 offset:swizzle(BROADCAST,32,15)
	s_waitcnt lgkmcnt(0)
	v_cndmask_b32_e64 v25, v25, 0, s4
	v_add_nc_u32_e32 v3, v3, v25
	s_and_saveexec_b32 s12, s11
	s_cbranch_execz .LBB217_22
; %bb.21:                               ;   in Loop: Header=BB217_2 Depth=1
	ds_store_b32 v14, v3
.LBB217_22:                             ;   in Loop: Header=BB217_2 Depth=1
	s_or_b32 exec_lo, exec_lo, s12
	s_waitcnt lgkmcnt(0)
	s_barrier
	buffer_gl0_inv
	s_and_saveexec_b32 s12, s5
	s_cbranch_execz .LBB217_24
; %bb.23:                               ;   in Loop: Header=BB217_2 Depth=1
	ds_load_b32 v25, v20
	s_waitcnt lgkmcnt(0)
	v_mov_b32_dpp v26, v25 row_shr:1 row_mask:0xf bank_mask:0xf
	s_delay_alu instid0(VALU_DEP_1) | instskip(NEXT) | instid1(VALU_DEP_1)
	v_cndmask_b32_e64 v26, v26, 0, s8
	v_add_nc_u32_e32 v25, v26, v25
	s_delay_alu instid0(VALU_DEP_1) | instskip(NEXT) | instid1(VALU_DEP_1)
	v_mov_b32_dpp v26, v25 row_shr:2 row_mask:0xf bank_mask:0xf
	v_cndmask_b32_e64 v26, 0, v26, s9
	s_delay_alu instid0(VALU_DEP_1) | instskip(NEXT) | instid1(VALU_DEP_1)
	v_add_nc_u32_e32 v25, v25, v26
	v_mov_b32_dpp v26, v25 row_shr:4 row_mask:0xf bank_mask:0xf
	s_delay_alu instid0(VALU_DEP_1) | instskip(NEXT) | instid1(VALU_DEP_1)
	v_cndmask_b32_e64 v26, 0, v26, s10
	v_add_nc_u32_e32 v25, v25, v26
	ds_store_b32 v20, v25
.LBB217_24:                             ;   in Loop: Header=BB217_2 Depth=1
	s_or_b32 exec_lo, exec_lo, s12
	v_mov_b32_e32 v25, 0
	s_waitcnt lgkmcnt(0)
	s_barrier
	buffer_gl0_inv
	s_and_saveexec_b32 s12, s6
	s_cbranch_execz .LBB217_26
; %bb.25:                               ;   in Loop: Header=BB217_2 Depth=1
	ds_load_b32 v25, v17
.LBB217_26:                             ;   in Loop: Header=BB217_2 Depth=1
	s_or_b32 exec_lo, exec_lo, s12
	s_waitcnt lgkmcnt(0)
	v_add_nc_u32_e32 v3, v25, v3
	ds_bpermute_b32 v3, v16, v3
	s_waitcnt lgkmcnt(0)
	v_cndmask_b32_e32 v3, v3, v25, vcc_lo
	s_delay_alu instid0(VALU_DEP_1) | instskip(NEXT) | instid1(VALU_DEP_1)
	v_cndmask_b32_e64 v3, v3, 0, s7
	v_add_nc_u32_e32 v4, v3, v4
	s_delay_alu instid0(VALU_DEP_1) | instskip(NEXT) | instid1(VALU_DEP_1)
	v_add_nc_u32_e32 v5, v4, v5
	v_add_nc_u32_e32 v6, v5, v6
	s_delay_alu instid0(VALU_DEP_1) | instskip(NEXT) | instid1(VALU_DEP_1)
	v_add_nc_u32_e32 v25, v6, v7
	;; [unrolled: 3-line block ×3, first 2 shown]
	v_add_nc_u32_e32 v1, v0, v2
	ds_store_2addr_b64 v13, v[3:4], v[5:6] offset0:4 offset1:5
	ds_store_2addr_b64 v15, v[25:26], v[0:1] offset0:2 offset1:3
	s_waitcnt lgkmcnt(0)
	s_barrier
	buffer_gl0_inv
	ds_load_b32 v0, v24
	v_lshlrev_b32_e32 v1, 2, v23
	s_waitcnt lgkmcnt(0)
	s_barrier
	buffer_gl0_inv
	v_lshl_add_u32 v0, v0, 2, v1
	ds_store_b32 v0, v21
	s_waitcnt lgkmcnt(0)
	s_barrier
	buffer_gl0_inv
	ds_load_b32 v21, v18
	s_waitcnt lgkmcnt(0)
	s_barrier
	buffer_gl0_inv
	ds_store_b32 v0, v22
	s_waitcnt lgkmcnt(0)
	s_barrier
	buffer_gl0_inv
	v_bfe_u32 v1, v21, 24, 1
	v_lshrrev_b32_e32 v5, 24, v21
	s_delay_alu instid0(VALU_DEP_2) | instskip(NEXT) | instid1(VALU_DEP_1)
	v_add_co_u32 v1, s12, v1, -1
	v_cndmask_b32_e64 v2, 0, 1, s12
	s_delay_alu instid0(VALU_DEP_3)
	v_lshlrev_b32_e32 v3, 30, v5
	v_lshlrev_b32_e32 v4, 29, v5
	v_lshlrev_b32_e32 v6, 28, v5
	v_lshlrev_b32_e32 v7, 27, v5
	v_cmp_ne_u32_e64 s12, 0, v2
	v_not_b32_e32 v2, v3
	v_cmp_gt_i32_e64 s13, 0, v3
	v_not_b32_e32 v3, v4
	v_lshlrev_b32_e32 v23, 26, v5
	v_xor_b32_e32 v1, s12, v1
	v_ashrrev_i32_e32 v2, 31, v2
	v_cmp_gt_i32_e64 s12, 0, v4
	v_not_b32_e32 v4, v6
	v_ashrrev_i32_e32 v3, 31, v3
	v_and_b32_e32 v1, exec_lo, v1
	v_xor_b32_e32 v2, s13, v2
	v_cmp_gt_i32_e64 s13, 0, v6
	v_not_b32_e32 v6, v7
	v_ashrrev_i32_e32 v4, 31, v4
	v_xor_b32_e32 v3, s12, v3
	v_and_b32_e32 v1, v1, v2
	v_lshlrev_b32_e32 v24, 25, v5
	v_cmp_gt_i32_e64 s12, 0, v7
	v_not_b32_e32 v2, v23
	v_ashrrev_i32_e32 v6, 31, v6
	v_xor_b32_e32 v4, s13, v4
	v_and_b32_e32 v1, v1, v3
	v_cmp_gt_i32_e64 s13, 0, v23
	v_not_b32_e32 v3, v24
	v_ashrrev_i32_e32 v2, 31, v2
	v_xor_b32_e32 v6, s12, v6
	v_and_b32_e32 v1, v1, v4
	v_not_b32_e32 v4, v21
	v_cmp_gt_i32_e64 s12, 0, v24
	v_ashrrev_i32_e32 v3, 31, v3
	v_xor_b32_e32 v2, s13, v2
	v_and_b32_e32 v1, v1, v6
	v_cmp_gt_i32_e64 s13, 0, v21
	v_ashrrev_i32_e32 v4, 31, v4
	v_xor_b32_e32 v3, s12, v3
	ds_load_b32 v23, v18
	v_and_b32_e32 v1, v1, v2
	s_waitcnt lgkmcnt(0)
	v_xor_b32_e32 v0, s13, v4
	s_barrier
	buffer_gl0_inv
	v_and_b32_e32 v3, v1, v3
	v_dual_mov_b32 v1, s22 :: v_dual_mov_b32 v2, s23
	s_delay_alu instid0(VALU_DEP_2)
	v_dual_mov_b32 v3, s16 :: v_dual_and_b32 v0, v3, v0
	v_mov_b32_e32 v4, s17
	ds_store_2addr_b64 v13, v[1:2], v[3:4] offset0:4 offset1:5
	ds_store_2addr_b64 v15, v[1:2], v[3:4] offset0:2 offset1:3
	v_mbcnt_lo_u32_b32 v22, v0, 0
	v_lshl_add_u32 v1, v5, 3, v19
	v_cmp_ne_u32_e64 s13, 0, v0
	s_waitcnt lgkmcnt(0)
	s_barrier
	v_cmp_eq_u32_e64 s12, 0, v22
	v_lshl_add_u32 v24, v1, 2, 32
	buffer_gl0_inv
	; wave barrier
	s_and_b32 s13, s13, s12
	s_delay_alu instid0(SALU_CYCLE_1)
	s_and_saveexec_b32 s12, s13
	s_cbranch_execz .LBB217_28
; %bb.27:                               ;   in Loop: Header=BB217_2 Depth=1
	v_bcnt_u32_b32 v0, v0, 0
	ds_store_b32 v24, v0
.LBB217_28:                             ;   in Loop: Header=BB217_2 Depth=1
	s_or_b32 exec_lo, exec_lo, s12
	; wave barrier
	s_waitcnt lgkmcnt(0)
	s_barrier
	buffer_gl0_inv
	ds_load_2addr_b64 v[4:7], v13 offset0:4 offset1:5
	ds_load_2addr_b64 v[0:3], v15 offset0:2 offset1:3
	s_waitcnt lgkmcnt(1)
	v_add_nc_u32_e32 v25, v5, v4
	s_delay_alu instid0(VALU_DEP_1) | instskip(SKIP_1) | instid1(VALU_DEP_1)
	v_add3_u32 v25, v25, v6, v7
	s_waitcnt lgkmcnt(0)
	v_add3_u32 v25, v25, v0, v1
	s_delay_alu instid0(VALU_DEP_1) | instskip(NEXT) | instid1(VALU_DEP_1)
	v_add3_u32 v3, v25, v2, v3
	v_mov_b32_dpp v25, v3 row_shr:1 row_mask:0xf bank_mask:0xf
	s_delay_alu instid0(VALU_DEP_1) | instskip(NEXT) | instid1(VALU_DEP_1)
	v_cndmask_b32_e64 v25, v25, 0, s0
	v_add_nc_u32_e32 v3, v25, v3
	s_delay_alu instid0(VALU_DEP_1) | instskip(NEXT) | instid1(VALU_DEP_1)
	v_mov_b32_dpp v25, v3 row_shr:2 row_mask:0xf bank_mask:0xf
	v_cndmask_b32_e64 v25, 0, v25, s1
	s_delay_alu instid0(VALU_DEP_1) | instskip(NEXT) | instid1(VALU_DEP_1)
	v_add_nc_u32_e32 v3, v3, v25
	v_mov_b32_dpp v25, v3 row_shr:4 row_mask:0xf bank_mask:0xf
	s_delay_alu instid0(VALU_DEP_1) | instskip(NEXT) | instid1(VALU_DEP_1)
	v_cndmask_b32_e64 v25, 0, v25, s2
	v_add_nc_u32_e32 v3, v3, v25
	s_delay_alu instid0(VALU_DEP_1) | instskip(NEXT) | instid1(VALU_DEP_1)
	v_mov_b32_dpp v25, v3 row_shr:8 row_mask:0xf bank_mask:0xf
	v_cndmask_b32_e64 v25, 0, v25, s3
	s_delay_alu instid0(VALU_DEP_1) | instskip(SKIP_3) | instid1(VALU_DEP_1)
	v_add_nc_u32_e32 v3, v3, v25
	ds_swizzle_b32 v25, v3 offset:swizzle(BROADCAST,32,15)
	s_waitcnt lgkmcnt(0)
	v_cndmask_b32_e64 v25, v25, 0, s4
	v_add_nc_u32_e32 v3, v3, v25
	s_and_saveexec_b32 s12, s11
	s_cbranch_execz .LBB217_30
; %bb.29:                               ;   in Loop: Header=BB217_2 Depth=1
	ds_store_b32 v14, v3
.LBB217_30:                             ;   in Loop: Header=BB217_2 Depth=1
	s_or_b32 exec_lo, exec_lo, s12
	s_waitcnt lgkmcnt(0)
	s_barrier
	buffer_gl0_inv
	s_and_saveexec_b32 s12, s5
	s_cbranch_execz .LBB217_32
; %bb.31:                               ;   in Loop: Header=BB217_2 Depth=1
	ds_load_b32 v25, v20
	s_waitcnt lgkmcnt(0)
	v_mov_b32_dpp v26, v25 row_shr:1 row_mask:0xf bank_mask:0xf
	s_delay_alu instid0(VALU_DEP_1) | instskip(NEXT) | instid1(VALU_DEP_1)
	v_cndmask_b32_e64 v26, v26, 0, s8
	v_add_nc_u32_e32 v25, v26, v25
	s_delay_alu instid0(VALU_DEP_1) | instskip(NEXT) | instid1(VALU_DEP_1)
	v_mov_b32_dpp v26, v25 row_shr:2 row_mask:0xf bank_mask:0xf
	v_cndmask_b32_e64 v26, 0, v26, s9
	s_delay_alu instid0(VALU_DEP_1) | instskip(NEXT) | instid1(VALU_DEP_1)
	v_add_nc_u32_e32 v25, v25, v26
	v_mov_b32_dpp v26, v25 row_shr:4 row_mask:0xf bank_mask:0xf
	s_delay_alu instid0(VALU_DEP_1) | instskip(NEXT) | instid1(VALU_DEP_1)
	v_cndmask_b32_e64 v26, 0, v26, s10
	v_add_nc_u32_e32 v25, v25, v26
	ds_store_b32 v20, v25
.LBB217_32:                             ;   in Loop: Header=BB217_2 Depth=1
	s_or_b32 exec_lo, exec_lo, s12
	v_mov_b32_e32 v25, 0
	s_waitcnt lgkmcnt(0)
	s_barrier
	buffer_gl0_inv
	s_and_saveexec_b32 s12, s6
	s_cbranch_execz .LBB217_1
; %bb.33:                               ;   in Loop: Header=BB217_2 Depth=1
	ds_load_b32 v25, v17
	s_branch .LBB217_1
.LBB217_34:
	s_waitcnt lgkmcnt(0)
	v_add3_u32 v0, v21, v22, 0x80000000
	v_lshlrev_b32_e32 v1, 2, v8
	s_add_u32 s0, s18, s20
	s_addc_u32 s1, s19, s21
	global_store_b32 v1, v0, s[0:1]
	s_nop 0
	s_sendmsg sendmsg(MSG_DEALLOC_VGPRS)
	s_endpgm
	.section	.rodata,"a",@progbits
	.p2align	6, 0x0
	.amdhsa_kernel _Z17sort_pairs_kernelI22helper_blocked_stripediLj256ELj1ELj10EEvPKT0_PS1_
		.amdhsa_group_segment_fixed_size 8224
		.amdhsa_private_segment_fixed_size 0
		.amdhsa_kernarg_size 272
		.amdhsa_user_sgpr_count 15
		.amdhsa_user_sgpr_dispatch_ptr 0
		.amdhsa_user_sgpr_queue_ptr 0
		.amdhsa_user_sgpr_kernarg_segment_ptr 1
		.amdhsa_user_sgpr_dispatch_id 0
		.amdhsa_user_sgpr_private_segment_size 0
		.amdhsa_wavefront_size32 1
		.amdhsa_uses_dynamic_stack 0
		.amdhsa_enable_private_segment 0
		.amdhsa_system_sgpr_workgroup_id_x 1
		.amdhsa_system_sgpr_workgroup_id_y 0
		.amdhsa_system_sgpr_workgroup_id_z 0
		.amdhsa_system_sgpr_workgroup_info 0
		.amdhsa_system_vgpr_workitem_id 2
		.amdhsa_next_free_vgpr 27
		.amdhsa_next_free_sgpr 24
		.amdhsa_reserve_vcc 1
		.amdhsa_float_round_mode_32 0
		.amdhsa_float_round_mode_16_64 0
		.amdhsa_float_denorm_mode_32 3
		.amdhsa_float_denorm_mode_16_64 3
		.amdhsa_dx10_clamp 1
		.amdhsa_ieee_mode 1
		.amdhsa_fp16_overflow 0
		.amdhsa_workgroup_processor_mode 1
		.amdhsa_memory_ordered 1
		.amdhsa_forward_progress 0
		.amdhsa_shared_vgpr_count 0
		.amdhsa_exception_fp_ieee_invalid_op 0
		.amdhsa_exception_fp_denorm_src 0
		.amdhsa_exception_fp_ieee_div_zero 0
		.amdhsa_exception_fp_ieee_overflow 0
		.amdhsa_exception_fp_ieee_underflow 0
		.amdhsa_exception_fp_ieee_inexact 0
		.amdhsa_exception_int_div_zero 0
	.end_amdhsa_kernel
	.section	.text._Z17sort_pairs_kernelI22helper_blocked_stripediLj256ELj1ELj10EEvPKT0_PS1_,"axG",@progbits,_Z17sort_pairs_kernelI22helper_blocked_stripediLj256ELj1ELj10EEvPKT0_PS1_,comdat
.Lfunc_end217:
	.size	_Z17sort_pairs_kernelI22helper_blocked_stripediLj256ELj1ELj10EEvPKT0_PS1_, .Lfunc_end217-_Z17sort_pairs_kernelI22helper_blocked_stripediLj256ELj1ELj10EEvPKT0_PS1_
                                        ; -- End function
	.section	.AMDGPU.csdata,"",@progbits
; Kernel info:
; codeLenInByte = 4428
; NumSgprs: 26
; NumVgprs: 27
; ScratchSize: 0
; MemoryBound: 0
; FloatMode: 240
; IeeeMode: 1
; LDSByteSize: 8224 bytes/workgroup (compile time only)
; SGPRBlocks: 3
; VGPRBlocks: 3
; NumSGPRsForWavesPerEU: 26
; NumVGPRsForWavesPerEU: 27
; Occupancy: 16
; WaveLimiterHint : 0
; COMPUTE_PGM_RSRC2:SCRATCH_EN: 0
; COMPUTE_PGM_RSRC2:USER_SGPR: 15
; COMPUTE_PGM_RSRC2:TRAP_HANDLER: 0
; COMPUTE_PGM_RSRC2:TGID_X_EN: 1
; COMPUTE_PGM_RSRC2:TGID_Y_EN: 0
; COMPUTE_PGM_RSRC2:TGID_Z_EN: 0
; COMPUTE_PGM_RSRC2:TIDIG_COMP_CNT: 2
	.section	.text._Z16sort_keys_kernelI22helper_blocked_stripediLj256ELj3ELj10EEvPKT0_PS1_,"axG",@progbits,_Z16sort_keys_kernelI22helper_blocked_stripediLj256ELj3ELj10EEvPKT0_PS1_,comdat
	.protected	_Z16sort_keys_kernelI22helper_blocked_stripediLj256ELj3ELj10EEvPKT0_PS1_ ; -- Begin function _Z16sort_keys_kernelI22helper_blocked_stripediLj256ELj3ELj10EEvPKT0_PS1_
	.globl	_Z16sort_keys_kernelI22helper_blocked_stripediLj256ELj3ELj10EEvPKT0_PS1_
	.p2align	8
	.type	_Z16sort_keys_kernelI22helper_blocked_stripediLj256ELj3ELj10EEvPKT0_PS1_,@function
_Z16sort_keys_kernelI22helper_blocked_stripediLj256ELj3ELj10EEvPKT0_PS1_: ; @_Z16sort_keys_kernelI22helper_blocked_stripediLj256ELj3ELj10EEvPKT0_PS1_
; %bb.0:
	s_clause 0x1
	s_load_b128 s[16:19], s[0:1], 0x0
	s_load_b32 s2, s[0:1], 0x1c
	s_mul_i32 s20, s15, 0x300
	s_mov_b32 s21, 0
	v_bfe_u32 v4, v0, 10, 10
	s_lshl_b64 s[14:15], s[20:21], 2
	s_mov_b32 s20, s21
	v_and_b32_e32 v8, 0x3ff, v0
	v_bfe_u32 v0, v0, 20, 10
	v_mbcnt_lo_u32_b32 v9, -1, 0
	s_delay_alu instid0(VALU_DEP_3) | instskip(SKIP_1) | instid1(VALU_DEP_3)
	v_mul_u32_u24_e32 v1, 3, v8
	v_lshrrev_b32_e32 v6, 5, v8
	v_cmp_eq_u32_e64 s8, 0, v9
	s_delay_alu instid0(VALU_DEP_3) | instskip(NEXT) | instid1(VALU_DEP_3)
	v_lshlrev_b32_e32 v1, 2, v1
	v_mul_u32_u24_e32 v7, 0x60, v6
	v_lshlrev_b32_e32 v19, 2, v6
	s_waitcnt lgkmcnt(0)
	s_add_u32 s0, s16, s14
	s_addc_u32 s1, s17, s15
	s_mov_b32 s16, s21
	global_load_b96 v[1:3], v1, s[0:1]
	s_lshr_b32 s0, s2, 16
	s_mov_b32 s17, s21
	v_mad_u32_u24 v0, v0, s0, v4
	s_and_b32 s0, s2, 0xffff
	v_dual_mov_b32 v11, s16 :: v_dual_lshlrev_b32 v10, 2, v7
	v_add_nc_u32_e32 v20, -4, v19
	s_delay_alu instid0(VALU_DEP_3)
	v_mad_u64_u32 v[4:5], null, v0, s0, v[8:9]
	v_or_b32_e32 v0, v9, v7
	v_and_b32_e32 v5, 15, v9
	v_mad_u32_u24 v14, v9, 12, v10
	v_dual_mov_b32 v12, s17 :: v_dual_and_b32 v7, 16, v9
	v_lshrrev_b32_e32 v17, 5, v4
	v_add_nc_u32_e32 v4, -1, v9
	v_cmp_eq_u32_e64 s0, 0, v5
	v_cmp_lt_u32_e64 s1, 1, v5
	v_cmp_lt_u32_e64 s2, 3, v5
	v_cmp_lt_u32_e64 s3, 7, v5
	v_cmp_gt_i32_e32 vcc_lo, 0, v4
	v_lshlrev_b32_e32 v15, 2, v0
	v_and_b32_e32 v0, 0xe0, v8
	v_cmp_eq_u32_e64 s4, 0, v7
	v_cndmask_b32_e32 v4, v4, v9, vcc_lo
	s_delay_alu instid0(VALU_DEP_3) | instskip(SKIP_1) | instid1(VALU_DEP_3)
	v_or_b32_e32 v10, 31, v0
	v_mul_u32_u24_e32 v0, 3, v0
	v_lshlrev_b32_e32 v18, 2, v4
	v_and_b32_e32 v4, 7, v9
	s_delay_alu instid0(VALU_DEP_4) | instskip(NEXT) | instid1(VALU_DEP_4)
	v_cmp_eq_u32_e64 s5, v10, v8
	v_or_b32_e32 v0, v9, v0
	v_mov_b32_e32 v9, s20
	v_lshlrev_b32_e32 v13, 5, v8
	v_mul_i32_i24_e32 v5, 0xffffffe4, v8
	v_cmp_gt_u32_e64 s6, 8, v8
	v_cmp_lt_u32_e64 s7, 31, v8
	v_cmp_eq_u32_e64 s9, 0, v8
	v_add_nc_u32_e32 v16, 32, v13
	v_cmp_eq_u32_e64 s10, 0, v4
	v_cmp_lt_u32_e64 s11, 1, v4
	v_cmp_lt_u32_e64 s12, 3, v4
	v_dual_mov_b32 v10, s21 :: v_dual_lshlrev_b32 v21, 2, v0
	v_add_nc_u32_e32 v22, v13, v5
	s_branch .LBB218_2
.LBB218_1:                              ;   in Loop: Header=BB218_2 Depth=1
	v_lshlrev_b32_e32 v0, 2, v5
	v_lshlrev_b32_e32 v1, 2, v4
	v_lshlrev_b32_e32 v2, 2, v3
	s_barrier
	buffer_gl0_inv
	ds_store_b32 v0, v23
	ds_store_b32 v1, v25
	;; [unrolled: 1-line block ×3, first 2 shown]
	s_waitcnt lgkmcnt(0)
	s_barrier
	buffer_gl0_inv
	ds_load_2addr_stride64_b32 v[1:2], v22 offset1:4
	ds_load_b32 v0, v22 offset:2048
	s_add_i32 s21, s21, 1
	s_delay_alu instid0(SALU_CYCLE_1)
	s_cmp_eq_u32 s21, 10
	s_waitcnt lgkmcnt(1)
	v_xor_b32_e32 v1, 0x80000000, v1
	v_xor_b32_e32 v2, 0x80000000, v2
	s_waitcnt lgkmcnt(0)
	v_xor_b32_e32 v3, 0x80000000, v0
	s_cbranch_scc1 .LBB218_18
.LBB218_2:                              ; =>This Loop Header: Depth=1
                                        ;     Child Loop BB218_4 Depth 2
	s_waitcnt vmcnt(0)
	v_xor_b32_e32 v0, 0x80000000, v1
	v_xor_b32_e32 v1, 0x80000000, v2
	;; [unrolled: 1-line block ×3, first 2 shown]
	s_mov_b32 s16, 0
	ds_store_2addr_b32 v14, v0, v1 offset1:1
	ds_store_b32 v14, v2 offset:8
	; wave barrier
	ds_load_2addr_b32 v[0:1], v15 offset1:32
	ds_load_b32 v2, v15 offset:256
	s_waitcnt lgkmcnt(0)
	s_barrier
	buffer_gl0_inv
	; wave barrier
	s_barrier
	s_branch .LBB218_4
.LBB218_3:                              ;   in Loop: Header=BB218_4 Depth=2
	v_lshlrev_b32_e32 v0, 2, v5
	v_lshlrev_b32_e32 v1, 2, v4
	s_delay_alu instid0(VALU_DEP_3)
	v_lshlrev_b32_e32 v2, 2, v3
	s_barrier
	buffer_gl0_inv
	ds_store_b32 v0, v23
	ds_store_b32 v1, v25
	;; [unrolled: 1-line block ×3, first 2 shown]
	s_waitcnt lgkmcnt(0)
	s_barrier
	buffer_gl0_inv
	ds_load_2addr_b32 v[0:1], v21 offset1:32
	ds_load_b32 v2, v21 offset:256
	s_add_i32 s16, s16, 8
	s_waitcnt lgkmcnt(0)
	s_barrier
	s_cbranch_execz .LBB218_1
.LBB218_4:                              ;   Parent Loop BB218_2 Depth=1
                                        ; =>  This Inner Loop Header: Depth=2
	v_mov_b32_e32 v23, v0
	buffer_gl0_inv
	ds_store_2addr_b64 v13, v[9:10], v[11:12] offset0:4 offset1:5
	ds_store_2addr_b64 v16, v[9:10], v[11:12] offset0:2 offset1:3
	s_waitcnt lgkmcnt(0)
	s_barrier
	v_lshrrev_b32_e32 v3, s16, v23
	buffer_gl0_inv
	; wave barrier
	v_lshlrev_b32_e32 v6, 29, v3
	v_bfe_u32 v0, v23, s16, 1
	v_lshlrev_b32_e32 v5, 30, v3
	v_lshlrev_b32_e32 v7, 28, v3
	;; [unrolled: 1-line block ×4, first 2 shown]
	v_add_co_u32 v0, s13, v0, -1
	s_delay_alu instid0(VALU_DEP_1) | instskip(SKIP_3) | instid1(VALU_DEP_4)
	v_cndmask_b32_e64 v4, 0, 1, s13
	v_cmp_gt_i32_e64 s13, 0, v5
	v_lshlrev_b32_e32 v26, 25, v3
	v_lshlrev_b32_e32 v3, 24, v3
	v_cmp_ne_u32_e32 vcc_lo, 0, v4
	v_not_b32_e32 v4, v5
	v_not_b32_e32 v5, v6
	v_xor_b32_e32 v0, vcc_lo, v0
	s_delay_alu instid0(VALU_DEP_3)
	v_ashrrev_i32_e32 v4, 31, v4
	v_cmp_gt_i32_e32 vcc_lo, 0, v6
	v_not_b32_e32 v6, v7
	v_ashrrev_i32_e32 v5, 31, v5
	v_and_b32_e32 v0, exec_lo, v0
	v_xor_b32_e32 v4, s13, v4
	v_cmp_gt_i32_e64 s13, 0, v7
	v_ashrrev_i32_e32 v6, 31, v6
	v_xor_b32_e32 v5, vcc_lo, v5
	s_delay_alu instid0(VALU_DEP_4) | instskip(SKIP_1) | instid1(VALU_DEP_4)
	v_and_b32_e32 v0, v0, v4
	v_not_b32_e32 v4, v25
	v_xor_b32_e32 v6, s13, v6
	v_cmp_gt_i32_e64 s13, 0, v25
	v_mov_b32_e32 v25, v1
	v_not_b32_e32 v7, v24
	v_cmp_gt_i32_e32 vcc_lo, 0, v24
	v_and_b32_e32 v0, v0, v5
	v_not_b32_e32 v5, v26
	v_ashrrev_i32_e32 v4, 31, v4
	v_ashrrev_i32_e32 v7, 31, v7
	v_bfe_u32 v1, v23, s16, 8
	v_and_b32_e32 v0, v0, v6
	v_not_b32_e32 v6, v3
	v_ashrrev_i32_e32 v5, 31, v5
	v_xor_b32_e32 v7, vcc_lo, v7
	v_cmp_gt_i32_e32 vcc_lo, 0, v26
	v_xor_b32_e32 v4, s13, v4
	v_cmp_gt_i32_e64 s13, 0, v3
	v_ashrrev_i32_e32 v3, 31, v6
	v_and_b32_e32 v0, v0, v7
	v_xor_b32_e32 v5, vcc_lo, v5
	v_lshl_add_u32 v1, v1, 3, v17
	v_mov_b32_e32 v24, v2
	v_xor_b32_e32 v3, s13, v3
	v_and_b32_e32 v0, v0, v4
	s_delay_alu instid0(VALU_DEP_4) | instskip(NEXT) | instid1(VALU_DEP_2)
	v_lshl_add_u32 v27, v1, 2, 32
	v_and_b32_e32 v0, v0, v5
	s_delay_alu instid0(VALU_DEP_1) | instskip(NEXT) | instid1(VALU_DEP_1)
	v_and_b32_e32 v0, v0, v3
	v_mbcnt_lo_u32_b32 v26, v0, 0
	v_cmp_ne_u32_e64 s13, 0, v0
	s_delay_alu instid0(VALU_DEP_2) | instskip(NEXT) | instid1(VALU_DEP_2)
	v_cmp_eq_u32_e32 vcc_lo, 0, v26
	s_and_b32 s17, s13, vcc_lo
	s_delay_alu instid0(SALU_CYCLE_1)
	s_and_saveexec_b32 s13, s17
	s_cbranch_execz .LBB218_6
; %bb.5:                                ;   in Loop: Header=BB218_4 Depth=2
	v_bcnt_u32_b32 v0, v0, 0
	ds_store_b32 v27, v0
.LBB218_6:                              ;   in Loop: Header=BB218_4 Depth=2
	s_or_b32 exec_lo, exec_lo, s13
	v_bfe_u32 v0, v25, s16, 1
	v_lshrrev_b32_e32 v1, s16, v25
	; wave barrier
	s_delay_alu instid0(VALU_DEP_2) | instskip(NEXT) | instid1(VALU_DEP_1)
	v_add_co_u32 v0, s13, v0, -1
	v_cndmask_b32_e64 v2, 0, 1, s13
	s_delay_alu instid0(VALU_DEP_3)
	v_lshlrev_b32_e32 v3, 30, v1
	v_lshlrev_b32_e32 v4, 29, v1
	v_lshlrev_b32_e32 v5, 28, v1
	v_lshlrev_b32_e32 v6, 27, v1
	v_cmp_ne_u32_e32 vcc_lo, 0, v2
	v_not_b32_e32 v2, v3
	v_cmp_gt_i32_e64 s13, 0, v3
	v_not_b32_e32 v3, v4
	v_lshlrev_b32_e32 v7, 26, v1
	v_xor_b32_e32 v0, vcc_lo, v0
	v_ashrrev_i32_e32 v2, 31, v2
	v_cmp_gt_i32_e32 vcc_lo, 0, v4
	v_not_b32_e32 v4, v5
	v_ashrrev_i32_e32 v3, 31, v3
	v_and_b32_e32 v0, exec_lo, v0
	v_xor_b32_e32 v2, s13, v2
	v_cmp_gt_i32_e64 s13, 0, v5
	v_not_b32_e32 v5, v6
	v_ashrrev_i32_e32 v4, 31, v4
	v_xor_b32_e32 v3, vcc_lo, v3
	v_and_b32_e32 v0, v0, v2
	v_cmp_gt_i32_e32 vcc_lo, 0, v6
	v_not_b32_e32 v2, v7
	v_ashrrev_i32_e32 v5, 31, v5
	v_xor_b32_e32 v4, s13, v4
	v_and_b32_e32 v0, v0, v3
	v_lshlrev_b32_e32 v3, 25, v1
	v_cmp_gt_i32_e64 s13, 0, v7
	v_ashrrev_i32_e32 v2, 31, v2
	v_xor_b32_e32 v5, vcc_lo, v5
	v_and_b32_e32 v0, v0, v4
	v_not_b32_e32 v6, v3
	v_lshlrev_b32_e32 v1, 24, v1
	v_bfe_u32 v4, v25, s16, 8
	v_xor_b32_e32 v2, s13, v2
	v_and_b32_e32 v0, v0, v5
	v_cmp_gt_i32_e32 vcc_lo, 0, v3
	v_ashrrev_i32_e32 v3, 31, v6
	v_not_b32_e32 v5, v1
	v_lshlrev_b32_e32 v4, 3, v4
	v_and_b32_e32 v0, v0, v2
	s_delay_alu instid0(VALU_DEP_4) | instskip(SKIP_3) | instid1(VALU_DEP_4)
	v_xor_b32_e32 v2, vcc_lo, v3
	v_cmp_gt_i32_e32 vcc_lo, 0, v1
	v_ashrrev_i32_e32 v1, 31, v5
	v_add_lshl_u32 v3, v4, v17, 2
	v_and_b32_e32 v0, v0, v2
	s_delay_alu instid0(VALU_DEP_3) | instskip(SKIP_3) | instid1(VALU_DEP_1)
	v_xor_b32_e32 v1, vcc_lo, v1
	ds_load_b32 v28, v3 offset:32
	v_add_nc_u32_e32 v30, 32, v3
	; wave barrier
	v_and_b32_e32 v0, v0, v1
	v_mbcnt_lo_u32_b32 v29, v0, 0
	v_cmp_ne_u32_e64 s13, 0, v0
	s_delay_alu instid0(VALU_DEP_2) | instskip(NEXT) | instid1(VALU_DEP_2)
	v_cmp_eq_u32_e32 vcc_lo, 0, v29
	s_and_b32 s17, s13, vcc_lo
	s_delay_alu instid0(SALU_CYCLE_1)
	s_and_saveexec_b32 s13, s17
	s_cbranch_execz .LBB218_8
; %bb.7:                                ;   in Loop: Header=BB218_4 Depth=2
	s_waitcnt lgkmcnt(0)
	v_bcnt_u32_b32 v0, v0, v28
	ds_store_b32 v30, v0
.LBB218_8:                              ;   in Loop: Header=BB218_4 Depth=2
	s_or_b32 exec_lo, exec_lo, s13
	v_bfe_u32 v0, v24, s16, 1
	v_lshrrev_b32_e32 v1, s16, v24
	; wave barrier
	s_delay_alu instid0(VALU_DEP_2) | instskip(NEXT) | instid1(VALU_DEP_1)
	v_add_co_u32 v0, s13, v0, -1
	v_cndmask_b32_e64 v2, 0, 1, s13
	s_delay_alu instid0(VALU_DEP_3)
	v_lshlrev_b32_e32 v3, 30, v1
	v_lshlrev_b32_e32 v4, 29, v1
	;; [unrolled: 1-line block ×4, first 2 shown]
	v_cmp_ne_u32_e32 vcc_lo, 0, v2
	v_not_b32_e32 v2, v3
	v_cmp_gt_i32_e64 s13, 0, v3
	v_not_b32_e32 v3, v4
	v_lshlrev_b32_e32 v7, 26, v1
	v_xor_b32_e32 v0, vcc_lo, v0
	v_ashrrev_i32_e32 v2, 31, v2
	v_cmp_gt_i32_e32 vcc_lo, 0, v4
	v_not_b32_e32 v4, v5
	v_ashrrev_i32_e32 v3, 31, v3
	v_and_b32_e32 v0, exec_lo, v0
	v_xor_b32_e32 v2, s13, v2
	v_cmp_gt_i32_e64 s13, 0, v5
	v_not_b32_e32 v5, v6
	v_ashrrev_i32_e32 v4, 31, v4
	v_xor_b32_e32 v3, vcc_lo, v3
	v_and_b32_e32 v0, v0, v2
	v_cmp_gt_i32_e32 vcc_lo, 0, v6
	v_not_b32_e32 v2, v7
	v_ashrrev_i32_e32 v5, 31, v5
	v_xor_b32_e32 v4, s13, v4
	v_and_b32_e32 v0, v0, v3
	v_lshlrev_b32_e32 v3, 25, v1
	v_cmp_gt_i32_e64 s13, 0, v7
	v_ashrrev_i32_e32 v2, 31, v2
	v_xor_b32_e32 v5, vcc_lo, v5
	v_and_b32_e32 v0, v0, v4
	v_not_b32_e32 v6, v3
	v_lshlrev_b32_e32 v1, 24, v1
	v_bfe_u32 v4, v24, s16, 8
	v_xor_b32_e32 v2, s13, v2
	v_and_b32_e32 v0, v0, v5
	v_cmp_gt_i32_e32 vcc_lo, 0, v3
	v_ashrrev_i32_e32 v3, 31, v6
	v_not_b32_e32 v5, v1
	v_lshlrev_b32_e32 v4, 3, v4
	v_and_b32_e32 v0, v0, v2
	s_delay_alu instid0(VALU_DEP_4) | instskip(SKIP_3) | instid1(VALU_DEP_4)
	v_xor_b32_e32 v2, vcc_lo, v3
	v_cmp_gt_i32_e32 vcc_lo, 0, v1
	v_ashrrev_i32_e32 v1, 31, v5
	v_add_lshl_u32 v3, v4, v17, 2
	v_and_b32_e32 v0, v0, v2
	s_delay_alu instid0(VALU_DEP_3) | instskip(SKIP_3) | instid1(VALU_DEP_1)
	v_xor_b32_e32 v1, vcc_lo, v1
	ds_load_b32 v31, v3 offset:32
	v_add_nc_u32_e32 v33, 32, v3
	; wave barrier
	v_and_b32_e32 v0, v0, v1
	v_mbcnt_lo_u32_b32 v32, v0, 0
	v_cmp_ne_u32_e64 s13, 0, v0
	s_delay_alu instid0(VALU_DEP_2) | instskip(NEXT) | instid1(VALU_DEP_2)
	v_cmp_eq_u32_e32 vcc_lo, 0, v32
	s_and_b32 s17, s13, vcc_lo
	s_delay_alu instid0(SALU_CYCLE_1)
	s_and_saveexec_b32 s13, s17
	s_cbranch_execz .LBB218_10
; %bb.9:                                ;   in Loop: Header=BB218_4 Depth=2
	s_waitcnt lgkmcnt(0)
	v_bcnt_u32_b32 v0, v0, v31
	ds_store_b32 v33, v0
.LBB218_10:                             ;   in Loop: Header=BB218_4 Depth=2
	s_or_b32 exec_lo, exec_lo, s13
	; wave barrier
	s_waitcnt lgkmcnt(0)
	s_barrier
	buffer_gl0_inv
	ds_load_2addr_b64 v[4:7], v13 offset0:4 offset1:5
	ds_load_2addr_b64 v[0:3], v16 offset0:2 offset1:3
	s_waitcnt lgkmcnt(1)
	v_add_nc_u32_e32 v34, v5, v4
	s_delay_alu instid0(VALU_DEP_1) | instskip(SKIP_1) | instid1(VALU_DEP_1)
	v_add3_u32 v34, v34, v6, v7
	s_waitcnt lgkmcnt(0)
	v_add3_u32 v34, v34, v0, v1
	s_delay_alu instid0(VALU_DEP_1) | instskip(NEXT) | instid1(VALU_DEP_1)
	v_add3_u32 v3, v34, v2, v3
	v_mov_b32_dpp v34, v3 row_shr:1 row_mask:0xf bank_mask:0xf
	s_delay_alu instid0(VALU_DEP_1) | instskip(NEXT) | instid1(VALU_DEP_1)
	v_cndmask_b32_e64 v34, v34, 0, s0
	v_add_nc_u32_e32 v3, v34, v3
	s_delay_alu instid0(VALU_DEP_1) | instskip(NEXT) | instid1(VALU_DEP_1)
	v_mov_b32_dpp v34, v3 row_shr:2 row_mask:0xf bank_mask:0xf
	v_cndmask_b32_e64 v34, 0, v34, s1
	s_delay_alu instid0(VALU_DEP_1) | instskip(NEXT) | instid1(VALU_DEP_1)
	v_add_nc_u32_e32 v3, v3, v34
	v_mov_b32_dpp v34, v3 row_shr:4 row_mask:0xf bank_mask:0xf
	s_delay_alu instid0(VALU_DEP_1) | instskip(NEXT) | instid1(VALU_DEP_1)
	v_cndmask_b32_e64 v34, 0, v34, s2
	v_add_nc_u32_e32 v3, v3, v34
	s_delay_alu instid0(VALU_DEP_1) | instskip(NEXT) | instid1(VALU_DEP_1)
	v_mov_b32_dpp v34, v3 row_shr:8 row_mask:0xf bank_mask:0xf
	v_cndmask_b32_e64 v34, 0, v34, s3
	s_delay_alu instid0(VALU_DEP_1) | instskip(SKIP_3) | instid1(VALU_DEP_1)
	v_add_nc_u32_e32 v3, v3, v34
	ds_swizzle_b32 v34, v3 offset:swizzle(BROADCAST,32,15)
	s_waitcnt lgkmcnt(0)
	v_cndmask_b32_e64 v34, v34, 0, s4
	v_add_nc_u32_e32 v3, v3, v34
	s_and_saveexec_b32 s13, s5
	s_cbranch_execz .LBB218_12
; %bb.11:                               ;   in Loop: Header=BB218_4 Depth=2
	ds_store_b32 v19, v3
.LBB218_12:                             ;   in Loop: Header=BB218_4 Depth=2
	s_or_b32 exec_lo, exec_lo, s13
	s_waitcnt lgkmcnt(0)
	s_barrier
	buffer_gl0_inv
	s_and_saveexec_b32 s13, s6
	s_cbranch_execz .LBB218_14
; %bb.13:                               ;   in Loop: Header=BB218_4 Depth=2
	ds_load_b32 v34, v22
	s_waitcnt lgkmcnt(0)
	v_mov_b32_dpp v35, v34 row_shr:1 row_mask:0xf bank_mask:0xf
	s_delay_alu instid0(VALU_DEP_1) | instskip(NEXT) | instid1(VALU_DEP_1)
	v_cndmask_b32_e64 v35, v35, 0, s10
	v_add_nc_u32_e32 v34, v35, v34
	s_delay_alu instid0(VALU_DEP_1) | instskip(NEXT) | instid1(VALU_DEP_1)
	v_mov_b32_dpp v35, v34 row_shr:2 row_mask:0xf bank_mask:0xf
	v_cndmask_b32_e64 v35, 0, v35, s11
	s_delay_alu instid0(VALU_DEP_1) | instskip(NEXT) | instid1(VALU_DEP_1)
	v_add_nc_u32_e32 v34, v34, v35
	v_mov_b32_dpp v35, v34 row_shr:4 row_mask:0xf bank_mask:0xf
	s_delay_alu instid0(VALU_DEP_1) | instskip(NEXT) | instid1(VALU_DEP_1)
	v_cndmask_b32_e64 v35, 0, v35, s12
	v_add_nc_u32_e32 v34, v34, v35
	ds_store_b32 v22, v34
.LBB218_14:                             ;   in Loop: Header=BB218_4 Depth=2
	s_or_b32 exec_lo, exec_lo, s13
	v_mov_b32_e32 v34, 0
	s_waitcnt lgkmcnt(0)
	s_barrier
	buffer_gl0_inv
	s_and_saveexec_b32 s13, s7
	s_cbranch_execz .LBB218_16
; %bb.15:                               ;   in Loop: Header=BB218_4 Depth=2
	ds_load_b32 v34, v20
.LBB218_16:                             ;   in Loop: Header=BB218_4 Depth=2
	s_or_b32 exec_lo, exec_lo, s13
	s_waitcnt lgkmcnt(0)
	v_add_nc_u32_e32 v3, v34, v3
	s_cmp_gt_u32 s16, 23
	ds_bpermute_b32 v3, v18, v3
	s_waitcnt lgkmcnt(0)
	v_cndmask_b32_e64 v3, v3, v34, s8
	s_delay_alu instid0(VALU_DEP_1) | instskip(NEXT) | instid1(VALU_DEP_1)
	v_cndmask_b32_e64 v3, v3, 0, s9
	v_add_nc_u32_e32 v4, v3, v4
	s_delay_alu instid0(VALU_DEP_1) | instskip(NEXT) | instid1(VALU_DEP_1)
	v_add_nc_u32_e32 v5, v4, v5
	v_add_nc_u32_e32 v6, v5, v6
	s_delay_alu instid0(VALU_DEP_1) | instskip(NEXT) | instid1(VALU_DEP_1)
	v_add_nc_u32_e32 v34, v6, v7
	;; [unrolled: 3-line block ×3, first 2 shown]
	v_add_nc_u32_e32 v1, v0, v2
	ds_store_2addr_b64 v13, v[3:4], v[5:6] offset0:4 offset1:5
	ds_store_2addr_b64 v16, v[34:35], v[0:1] offset0:2 offset1:3
	s_waitcnt lgkmcnt(0)
	s_barrier
	buffer_gl0_inv
	ds_load_b32 v0, v27
	ds_load_b32 v1, v30
	;; [unrolled: 1-line block ×3, first 2 shown]
	s_waitcnt lgkmcnt(2)
	v_add_nc_u32_e32 v5, v0, v26
	s_waitcnt lgkmcnt(1)
	v_add3_u32 v4, v29, v28, v1
	s_waitcnt lgkmcnt(0)
	v_add3_u32 v3, v32, v31, v2
	s_cbranch_scc0 .LBB218_3
; %bb.17:                               ;   in Loop: Header=BB218_2 Depth=1
                                        ; implicit-def: $vgpr2
                                        ; implicit-def: $vgpr1
                                        ; implicit-def: $sgpr16
	s_branch .LBB218_1
.LBB218_18:
	v_lshlrev_b32_e32 v0, 2, v8
	s_add_u32 s0, s18, s14
	s_addc_u32 s1, s19, s15
	s_clause 0x2
	global_store_b32 v0, v1, s[0:1]
	global_store_b32 v0, v2, s[0:1] offset:1024
	global_store_b32 v0, v3, s[0:1] offset:2048
	s_nop 0
	s_sendmsg sendmsg(MSG_DEALLOC_VGPRS)
	s_endpgm
	.section	.rodata,"a",@progbits
	.p2align	6, 0x0
	.amdhsa_kernel _Z16sort_keys_kernelI22helper_blocked_stripediLj256ELj3ELj10EEvPKT0_PS1_
		.amdhsa_group_segment_fixed_size 8224
		.amdhsa_private_segment_fixed_size 0
		.amdhsa_kernarg_size 272
		.amdhsa_user_sgpr_count 15
		.amdhsa_user_sgpr_dispatch_ptr 0
		.amdhsa_user_sgpr_queue_ptr 0
		.amdhsa_user_sgpr_kernarg_segment_ptr 1
		.amdhsa_user_sgpr_dispatch_id 0
		.amdhsa_user_sgpr_private_segment_size 0
		.amdhsa_wavefront_size32 1
		.amdhsa_uses_dynamic_stack 0
		.amdhsa_enable_private_segment 0
		.amdhsa_system_sgpr_workgroup_id_x 1
		.amdhsa_system_sgpr_workgroup_id_y 0
		.amdhsa_system_sgpr_workgroup_id_z 0
		.amdhsa_system_sgpr_workgroup_info 0
		.amdhsa_system_vgpr_workitem_id 2
		.amdhsa_next_free_vgpr 36
		.amdhsa_next_free_sgpr 22
		.amdhsa_reserve_vcc 1
		.amdhsa_float_round_mode_32 0
		.amdhsa_float_round_mode_16_64 0
		.amdhsa_float_denorm_mode_32 3
		.amdhsa_float_denorm_mode_16_64 3
		.amdhsa_dx10_clamp 1
		.amdhsa_ieee_mode 1
		.amdhsa_fp16_overflow 0
		.amdhsa_workgroup_processor_mode 1
		.amdhsa_memory_ordered 1
		.amdhsa_forward_progress 0
		.amdhsa_shared_vgpr_count 0
		.amdhsa_exception_fp_ieee_invalid_op 0
		.amdhsa_exception_fp_denorm_src 0
		.amdhsa_exception_fp_ieee_div_zero 0
		.amdhsa_exception_fp_ieee_overflow 0
		.amdhsa_exception_fp_ieee_underflow 0
		.amdhsa_exception_fp_ieee_inexact 0
		.amdhsa_exception_int_div_zero 0
	.end_amdhsa_kernel
	.section	.text._Z16sort_keys_kernelI22helper_blocked_stripediLj256ELj3ELj10EEvPKT0_PS1_,"axG",@progbits,_Z16sort_keys_kernelI22helper_blocked_stripediLj256ELj3ELj10EEvPKT0_PS1_,comdat
.Lfunc_end218:
	.size	_Z16sort_keys_kernelI22helper_blocked_stripediLj256ELj3ELj10EEvPKT0_PS1_, .Lfunc_end218-_Z16sort_keys_kernelI22helper_blocked_stripediLj256ELj3ELj10EEvPKT0_PS1_
                                        ; -- End function
	.section	.AMDGPU.csdata,"",@progbits
; Kernel info:
; codeLenInByte = 2376
; NumSgprs: 24
; NumVgprs: 36
; ScratchSize: 0
; MemoryBound: 0
; FloatMode: 240
; IeeeMode: 1
; LDSByteSize: 8224 bytes/workgroup (compile time only)
; SGPRBlocks: 2
; VGPRBlocks: 4
; NumSGPRsForWavesPerEU: 24
; NumVGPRsForWavesPerEU: 36
; Occupancy: 16
; WaveLimiterHint : 1
; COMPUTE_PGM_RSRC2:SCRATCH_EN: 0
; COMPUTE_PGM_RSRC2:USER_SGPR: 15
; COMPUTE_PGM_RSRC2:TRAP_HANDLER: 0
; COMPUTE_PGM_RSRC2:TGID_X_EN: 1
; COMPUTE_PGM_RSRC2:TGID_Y_EN: 0
; COMPUTE_PGM_RSRC2:TGID_Z_EN: 0
; COMPUTE_PGM_RSRC2:TIDIG_COMP_CNT: 2
	.section	.text._Z17sort_pairs_kernelI22helper_blocked_stripediLj256ELj3ELj10EEvPKT0_PS1_,"axG",@progbits,_Z17sort_pairs_kernelI22helper_blocked_stripediLj256ELj3ELj10EEvPKT0_PS1_,comdat
	.protected	_Z17sort_pairs_kernelI22helper_blocked_stripediLj256ELj3ELj10EEvPKT0_PS1_ ; -- Begin function _Z17sort_pairs_kernelI22helper_blocked_stripediLj256ELj3ELj10EEvPKT0_PS1_
	.globl	_Z17sort_pairs_kernelI22helper_blocked_stripediLj256ELj3ELj10EEvPKT0_PS1_
	.p2align	8
	.type	_Z17sort_pairs_kernelI22helper_blocked_stripediLj256ELj3ELj10EEvPKT0_PS1_,@function
_Z17sort_pairs_kernelI22helper_blocked_stripediLj256ELj3ELj10EEvPKT0_PS1_: ; @_Z17sort_pairs_kernelI22helper_blocked_stripediLj256ELj3ELj10EEvPKT0_PS1_
; %bb.0:
	s_clause 0x1
	s_load_b128 s[16:19], s[0:1], 0x0
	s_load_b32 s12, s[0:1], 0x1c
	s_mov_b32 s21, 0
	s_mul_i32 s20, s15, 0x300
	v_mbcnt_lo_u32_b32 v6, -1, 0
	s_lshl_b64 s[14:15], s[20:21], 2
	s_mov_b32 s20, s21
	s_delay_alu instid0(SALU_CYCLE_1) | instskip(NEXT) | instid1(VALU_DEP_2)
	v_dual_mov_b32 v9, s20 :: v_dual_and_b32 v8, 0x3ff, v0
	v_add_nc_u32_e32 v11, -1, v6
	v_and_b32_e32 v7, 16, v6
	v_bfe_u32 v4, v0, 10, 10
	s_delay_alu instid0(VALU_DEP_4)
	v_mul_u32_u24_e32 v1, 3, v8
	v_mov_b32_e32 v10, s21
	v_lshrrev_b32_e32 v17, 5, v8
	v_cmp_gt_i32_e32 vcc_lo, 0, v11
	v_bfe_u32 v0, v0, 20, 10
	v_lshlrev_b32_e32 v1, 2, v1
	v_cmp_eq_u32_e64 s5, 0, v7
	v_and_b32_e32 v12, 7, v6
	s_waitcnt lgkmcnt(0)
	s_add_u32 s0, s16, s14
	s_addc_u32 s1, s17, s15
	s_mov_b32 s16, s21
	global_load_b96 v[1:3], v1, s[0:1]
	s_mov_b32 s17, s21
	v_and_b32_e32 v5, 15, v6
	v_cndmask_b32_e32 v7, v11, v6, vcc_lo
	v_mul_u32_u24_e32 v11, 0x60, v17
	s_lshr_b32 s13, s12, 16
	v_lshlrev_b32_e32 v17, 2, v17
	v_cmp_eq_u32_e64 s1, 0, v5
	v_cmp_lt_u32_e64 s2, 1, v5
	v_cmp_lt_u32_e64 s3, 3, v5
	;; [unrolled: 1-line block ×3, first 2 shown]
	v_add_nc_u32_e32 v18, -4, v17
	v_and_b32_e32 v5, 0xe0, v8
	v_mad_u32_u24 v0, v0, s13, v4
	v_lshlrev_b32_e32 v16, 2, v7
	s_and_b32 s12, s12, 0xffff
	v_cmp_eq_u32_e64 s9, 0, v12
	v_mul_u32_u24_e32 v7, 3, v5
	v_cmp_lt_u32_e64 s10, 1, v12
	v_cmp_lt_u32_e64 s11, 3, v12
	v_or_b32_e32 v12, 31, v5
	v_mad_u64_u32 v[4:5], null, v0, s12, v[8:9]
	v_lshlrev_b32_e32 v13, 5, v8
	v_lshlrev_b32_e32 v19, 2, v11
	v_or_b32_e32 v0, v6, v11
	v_or_b32_e32 v5, v6, v7
	v_cmp_eq_u32_e64 s12, v12, v8
	v_mov_b32_e32 v11, s16
	v_cmp_eq_u32_e64 s0, 0, v6
	v_cmp_gt_u32_e64 s6, 8, v8
	v_cmp_lt_u32_e64 s7, 31, v8
	v_cmp_eq_u32_e64 s8, 0, v8
	v_mul_i32_i24_e32 v14, 0xffffffe4, v8
	v_add_nc_u32_e32 v15, 32, v13
	v_mad_u32_u24 v19, v6, 12, v19
	v_lshlrev_b32_e32 v20, 2, v0
	v_lshlrev_b32_e32 v21, 2, v5
	v_lshrrev_b32_e32 v22, 5, v4
	v_mov_b32_e32 v12, s17
	s_waitcnt vmcnt(0)
	v_add_nc_u32_e32 v4, 1, v1
	v_add_nc_u32_e32 v5, 1, v2
	;; [unrolled: 1-line block ×3, first 2 shown]
	s_branch .LBB219_2
.LBB219_1:                              ;   in Loop: Header=BB219_2 Depth=1
	v_lshlrev_b32_e32 v0, 2, v29
	s_delay_alu instid0(VALU_DEP_2)
	v_lshlrev_b32_e32 v4, 2, v5
	v_add_nc_u32_e32 v6, v13, v14
	v_lshlrev_b32_e32 v3, 2, v7
	s_barrier
	buffer_gl0_inv
	ds_store_b32 v0, v23
	ds_store_b32 v3, v28
	;; [unrolled: 1-line block ×3, first 2 shown]
	s_waitcnt lgkmcnt(0)
	s_barrier
	buffer_gl0_inv
	ds_load_2addr_stride64_b32 v[1:2], v6 offset1:4
	ds_load_b32 v23, v6 offset:2048
	s_waitcnt lgkmcnt(0)
	s_barrier
	buffer_gl0_inv
	ds_store_b32 v0, v26
	ds_store_b32 v3, v25
	;; [unrolled: 1-line block ×3, first 2 shown]
	s_waitcnt lgkmcnt(0)
	s_barrier
	buffer_gl0_inv
	ds_load_2addr_stride64_b32 v[4:5], v6 offset1:4
	ds_load_b32 v7, v6 offset:2048
	s_add_i32 s21, s21, 1
	s_delay_alu instid0(SALU_CYCLE_1)
	s_cmp_eq_u32 s21, 10
	v_xor_b32_e32 v1, 0x80000000, v1
	v_xor_b32_e32 v2, 0x80000000, v2
	;; [unrolled: 1-line block ×3, first 2 shown]
	s_cbranch_scc1 .LBB219_18
.LBB219_2:                              ; =>This Loop Header: Depth=1
                                        ;     Child Loop BB219_4 Depth 2
	s_delay_alu instid0(VALU_DEP_3) | instskip(NEXT) | instid1(VALU_DEP_3)
	v_xor_b32_e32 v0, 0x80000000, v1
	v_xor_b32_e32 v1, 0x80000000, v2
	s_delay_alu instid0(VALU_DEP_3)
	v_xor_b32_e32 v2, 0x80000000, v3
	s_mov_b32 s16, 0
	ds_store_2addr_b32 v19, v0, v1 offset1:1
	ds_store_b32 v19, v2 offset:8
	; wave barrier
	ds_load_2addr_b32 v[0:1], v20 offset1:32
	ds_load_b32 v6, v20 offset:256
	; wave barrier
	s_waitcnt lgkmcnt(5)
	ds_store_2addr_b32 v19, v4, v5 offset1:1
	s_waitcnt lgkmcnt(5)
	ds_store_b32 v19, v7 offset:8
	; wave barrier
	ds_load_2addr_b32 v[2:3], v20 offset1:32
	ds_load_b32 v4, v20 offset:256
	s_waitcnt lgkmcnt(0)
	s_barrier
	s_branch .LBB219_4
.LBB219_3:                              ;   in Loop: Header=BB219_4 Depth=2
	v_lshlrev_b32_e32 v2, 2, v29
	v_lshlrev_b32_e32 v3, 2, v7
	s_delay_alu instid0(VALU_DEP_3)
	v_lshlrev_b32_e32 v4, 2, v5
	s_barrier
	buffer_gl0_inv
	ds_store_b32 v2, v23
	ds_store_b32 v3, v28
	;; [unrolled: 1-line block ×3, first 2 shown]
	s_waitcnt lgkmcnt(0)
	s_barrier
	buffer_gl0_inv
	ds_load_2addr_b32 v[0:1], v21 offset1:32
	ds_load_b32 v6, v21 offset:256
	s_waitcnt lgkmcnt(0)
	s_barrier
	buffer_gl0_inv
	ds_store_b32 v2, v26
	ds_store_b32 v3, v25
	;; [unrolled: 1-line block ×3, first 2 shown]
	s_waitcnt lgkmcnt(0)
	s_barrier
	buffer_gl0_inv
	ds_load_2addr_b32 v[2:3], v21 offset1:32
	ds_load_b32 v4, v21 offset:256
	s_add_i32 s16, s16, 8
	s_waitcnt lgkmcnt(0)
	s_barrier
	s_cbranch_execz .LBB219_1
.LBB219_4:                              ;   Parent Loop BB219_2 Depth=1
                                        ; =>  This Inner Loop Header: Depth=2
	v_mov_b32_e32 v23, v0
	buffer_gl0_inv
	ds_store_2addr_b64 v13, v[9:10], v[11:12] offset0:4 offset1:5
	ds_store_2addr_b64 v15, v[9:10], v[11:12] offset0:2 offset1:3
	s_waitcnt lgkmcnt(0)
	s_barrier
	v_lshrrev_b32_e32 v5, s16, v23
	buffer_gl0_inv
	; wave barrier
	v_lshlrev_b32_e32 v24, 30, v5
	v_bfe_u32 v0, v23, s16, 1
	v_lshlrev_b32_e32 v25, 29, v5
	v_lshlrev_b32_e32 v26, 28, v5
	;; [unrolled: 1-line block ×4, first 2 shown]
	v_add_co_u32 v0, s13, v0, -1
	s_delay_alu instid0(VALU_DEP_1) | instskip(SKIP_3) | instid1(VALU_DEP_4)
	v_cndmask_b32_e64 v7, 0, 1, s13
	v_cmp_gt_i32_e64 s13, 0, v24
	v_lshlrev_b32_e32 v29, 25, v5
	v_lshlrev_b32_e32 v5, 24, v5
	v_cmp_ne_u32_e32 vcc_lo, 0, v7
	v_not_b32_e32 v7, v24
	v_not_b32_e32 v24, v25
	v_xor_b32_e32 v0, vcc_lo, v0
	s_delay_alu instid0(VALU_DEP_3)
	v_ashrrev_i32_e32 v7, 31, v7
	v_cmp_gt_i32_e32 vcc_lo, 0, v25
	v_not_b32_e32 v25, v26
	v_ashrrev_i32_e32 v24, 31, v24
	v_and_b32_e32 v0, exec_lo, v0
	v_xor_b32_e32 v7, s13, v7
	v_cmp_gt_i32_e64 s13, 0, v26
	v_not_b32_e32 v26, v27
	v_ashrrev_i32_e32 v25, 31, v25
	v_xor_b32_e32 v24, vcc_lo, v24
	v_and_b32_e32 v0, v0, v7
	v_cmp_gt_i32_e32 vcc_lo, 0, v27
	v_ashrrev_i32_e32 v26, 31, v26
	v_xor_b32_e32 v25, s13, v25
	v_not_b32_e32 v7, v28
	v_and_b32_e32 v0, v0, v24
	v_cmp_gt_i32_e64 s13, 0, v28
	v_xor_b32_e32 v26, vcc_lo, v26
	v_mov_b32_e32 v28, v1
	v_ashrrev_i32_e32 v7, 31, v7
	v_and_b32_e32 v0, v0, v25
	v_not_b32_e32 v25, v5
	v_bfe_u32 v1, v23, s16, 8
	v_mov_b32_e32 v27, v6
	v_xor_b32_e32 v7, s13, v7
	v_and_b32_e32 v0, v0, v26
	v_mov_b32_e32 v26, v2
	v_not_b32_e32 v24, v29
	v_cmp_gt_i32_e32 vcc_lo, 0, v29
	v_cmp_gt_i32_e64 s13, 0, v5
	v_ashrrev_i32_e32 v5, 31, v25
	v_and_b32_e32 v0, v0, v7
	v_ashrrev_i32_e32 v24, 31, v24
	v_lshl_add_u32 v1, v1, 3, v22
	v_mov_b32_e32 v25, v3
	v_xor_b32_e32 v5, s13, v5
	s_delay_alu instid0(VALU_DEP_4) | instskip(NEXT) | instid1(VALU_DEP_4)
	v_xor_b32_e32 v24, vcc_lo, v24
	v_lshl_add_u32 v30, v1, 2, 32
	s_delay_alu instid0(VALU_DEP_2) | instskip(SKIP_1) | instid1(VALU_DEP_2)
	v_and_b32_e32 v0, v0, v24
	v_mov_b32_e32 v24, v4
	v_and_b32_e32 v0, v0, v5
	s_delay_alu instid0(VALU_DEP_1) | instskip(SKIP_1) | instid1(VALU_DEP_2)
	v_mbcnt_lo_u32_b32 v29, v0, 0
	v_cmp_ne_u32_e64 s13, 0, v0
	v_cmp_eq_u32_e32 vcc_lo, 0, v29
	s_delay_alu instid0(VALU_DEP_2) | instskip(NEXT) | instid1(SALU_CYCLE_1)
	s_and_b32 s17, s13, vcc_lo
	s_and_saveexec_b32 s13, s17
	s_cbranch_execz .LBB219_6
; %bb.5:                                ;   in Loop: Header=BB219_4 Depth=2
	v_bcnt_u32_b32 v0, v0, 0
	ds_store_b32 v30, v0
.LBB219_6:                              ;   in Loop: Header=BB219_4 Depth=2
	s_or_b32 exec_lo, exec_lo, s13
	v_bfe_u32 v0, v28, s16, 1
	v_lshrrev_b32_e32 v1, s16, v28
	; wave barrier
	s_delay_alu instid0(VALU_DEP_2) | instskip(NEXT) | instid1(VALU_DEP_1)
	v_add_co_u32 v0, s13, v0, -1
	v_cndmask_b32_e64 v2, 0, 1, s13
	s_delay_alu instid0(VALU_DEP_3)
	v_lshlrev_b32_e32 v3, 30, v1
	v_lshlrev_b32_e32 v4, 29, v1
	v_lshlrev_b32_e32 v5, 28, v1
	v_lshlrev_b32_e32 v6, 27, v1
	v_cmp_ne_u32_e32 vcc_lo, 0, v2
	v_not_b32_e32 v2, v3
	v_cmp_gt_i32_e64 s13, 0, v3
	v_not_b32_e32 v3, v4
	v_lshlrev_b32_e32 v7, 26, v1
	v_xor_b32_e32 v0, vcc_lo, v0
	v_ashrrev_i32_e32 v2, 31, v2
	v_cmp_gt_i32_e32 vcc_lo, 0, v4
	v_not_b32_e32 v4, v5
	v_ashrrev_i32_e32 v3, 31, v3
	v_and_b32_e32 v0, exec_lo, v0
	v_xor_b32_e32 v2, s13, v2
	v_cmp_gt_i32_e64 s13, 0, v5
	v_not_b32_e32 v5, v6
	v_ashrrev_i32_e32 v4, 31, v4
	v_xor_b32_e32 v3, vcc_lo, v3
	v_and_b32_e32 v0, v0, v2
	v_cmp_gt_i32_e32 vcc_lo, 0, v6
	v_not_b32_e32 v2, v7
	v_ashrrev_i32_e32 v5, 31, v5
	v_xor_b32_e32 v4, s13, v4
	v_and_b32_e32 v0, v0, v3
	v_lshlrev_b32_e32 v3, 25, v1
	v_cmp_gt_i32_e64 s13, 0, v7
	v_ashrrev_i32_e32 v2, 31, v2
	v_xor_b32_e32 v5, vcc_lo, v5
	v_and_b32_e32 v0, v0, v4
	v_not_b32_e32 v6, v3
	v_lshlrev_b32_e32 v1, 24, v1
	v_bfe_u32 v4, v28, s16, 8
	v_xor_b32_e32 v2, s13, v2
	v_and_b32_e32 v0, v0, v5
	v_cmp_gt_i32_e32 vcc_lo, 0, v3
	v_ashrrev_i32_e32 v3, 31, v6
	v_not_b32_e32 v5, v1
	v_lshlrev_b32_e32 v4, 3, v4
	v_and_b32_e32 v0, v0, v2
	s_delay_alu instid0(VALU_DEP_4) | instskip(SKIP_3) | instid1(VALU_DEP_4)
	v_xor_b32_e32 v2, vcc_lo, v3
	v_cmp_gt_i32_e32 vcc_lo, 0, v1
	v_ashrrev_i32_e32 v1, 31, v5
	v_add_lshl_u32 v3, v4, v22, 2
	v_and_b32_e32 v0, v0, v2
	s_delay_alu instid0(VALU_DEP_3) | instskip(SKIP_3) | instid1(VALU_DEP_1)
	v_xor_b32_e32 v1, vcc_lo, v1
	ds_load_b32 v31, v3 offset:32
	v_add_nc_u32_e32 v33, 32, v3
	; wave barrier
	v_and_b32_e32 v0, v0, v1
	v_mbcnt_lo_u32_b32 v32, v0, 0
	v_cmp_ne_u32_e64 s13, 0, v0
	s_delay_alu instid0(VALU_DEP_2) | instskip(NEXT) | instid1(VALU_DEP_2)
	v_cmp_eq_u32_e32 vcc_lo, 0, v32
	s_and_b32 s17, s13, vcc_lo
	s_delay_alu instid0(SALU_CYCLE_1)
	s_and_saveexec_b32 s13, s17
	s_cbranch_execz .LBB219_8
; %bb.7:                                ;   in Loop: Header=BB219_4 Depth=2
	s_waitcnt lgkmcnt(0)
	v_bcnt_u32_b32 v0, v0, v31
	ds_store_b32 v33, v0
.LBB219_8:                              ;   in Loop: Header=BB219_4 Depth=2
	s_or_b32 exec_lo, exec_lo, s13
	v_bfe_u32 v0, v27, s16, 1
	v_lshrrev_b32_e32 v1, s16, v27
	; wave barrier
	s_delay_alu instid0(VALU_DEP_2) | instskip(NEXT) | instid1(VALU_DEP_1)
	v_add_co_u32 v0, s13, v0, -1
	v_cndmask_b32_e64 v2, 0, 1, s13
	s_delay_alu instid0(VALU_DEP_3)
	v_lshlrev_b32_e32 v3, 30, v1
	v_lshlrev_b32_e32 v4, 29, v1
	;; [unrolled: 1-line block ×4, first 2 shown]
	v_cmp_ne_u32_e32 vcc_lo, 0, v2
	v_not_b32_e32 v2, v3
	v_cmp_gt_i32_e64 s13, 0, v3
	v_not_b32_e32 v3, v4
	v_lshlrev_b32_e32 v7, 26, v1
	v_xor_b32_e32 v0, vcc_lo, v0
	v_ashrrev_i32_e32 v2, 31, v2
	v_cmp_gt_i32_e32 vcc_lo, 0, v4
	v_not_b32_e32 v4, v5
	v_ashrrev_i32_e32 v3, 31, v3
	v_and_b32_e32 v0, exec_lo, v0
	v_xor_b32_e32 v2, s13, v2
	v_cmp_gt_i32_e64 s13, 0, v5
	v_not_b32_e32 v5, v6
	v_ashrrev_i32_e32 v4, 31, v4
	v_xor_b32_e32 v3, vcc_lo, v3
	v_and_b32_e32 v0, v0, v2
	v_cmp_gt_i32_e32 vcc_lo, 0, v6
	v_not_b32_e32 v2, v7
	v_ashrrev_i32_e32 v5, 31, v5
	v_xor_b32_e32 v4, s13, v4
	v_and_b32_e32 v0, v0, v3
	v_lshlrev_b32_e32 v3, 25, v1
	v_cmp_gt_i32_e64 s13, 0, v7
	v_ashrrev_i32_e32 v2, 31, v2
	v_xor_b32_e32 v5, vcc_lo, v5
	v_and_b32_e32 v0, v0, v4
	v_not_b32_e32 v6, v3
	v_lshlrev_b32_e32 v1, 24, v1
	v_bfe_u32 v4, v27, s16, 8
	v_xor_b32_e32 v2, s13, v2
	v_and_b32_e32 v0, v0, v5
	v_cmp_gt_i32_e32 vcc_lo, 0, v3
	v_ashrrev_i32_e32 v3, 31, v6
	v_not_b32_e32 v5, v1
	v_lshlrev_b32_e32 v4, 3, v4
	v_and_b32_e32 v0, v0, v2
	s_delay_alu instid0(VALU_DEP_4) | instskip(SKIP_3) | instid1(VALU_DEP_4)
	v_xor_b32_e32 v2, vcc_lo, v3
	v_cmp_gt_i32_e32 vcc_lo, 0, v1
	v_ashrrev_i32_e32 v1, 31, v5
	v_add_lshl_u32 v3, v4, v22, 2
	v_and_b32_e32 v0, v0, v2
	s_delay_alu instid0(VALU_DEP_3) | instskip(SKIP_3) | instid1(VALU_DEP_1)
	v_xor_b32_e32 v1, vcc_lo, v1
	ds_load_b32 v34, v3 offset:32
	v_add_nc_u32_e32 v36, 32, v3
	; wave barrier
	v_and_b32_e32 v0, v0, v1
	v_mbcnt_lo_u32_b32 v35, v0, 0
	v_cmp_ne_u32_e64 s13, 0, v0
	s_delay_alu instid0(VALU_DEP_2) | instskip(NEXT) | instid1(VALU_DEP_2)
	v_cmp_eq_u32_e32 vcc_lo, 0, v35
	s_and_b32 s17, s13, vcc_lo
	s_delay_alu instid0(SALU_CYCLE_1)
	s_and_saveexec_b32 s13, s17
	s_cbranch_execz .LBB219_10
; %bb.9:                                ;   in Loop: Header=BB219_4 Depth=2
	s_waitcnt lgkmcnt(0)
	v_bcnt_u32_b32 v0, v0, v34
	ds_store_b32 v36, v0
.LBB219_10:                             ;   in Loop: Header=BB219_4 Depth=2
	s_or_b32 exec_lo, exec_lo, s13
	; wave barrier
	s_waitcnt lgkmcnt(0)
	s_barrier
	buffer_gl0_inv
	ds_load_2addr_b64 v[4:7], v13 offset0:4 offset1:5
	ds_load_2addr_b64 v[0:3], v15 offset0:2 offset1:3
	s_waitcnt lgkmcnt(1)
	v_add_nc_u32_e32 v37, v5, v4
	s_delay_alu instid0(VALU_DEP_1) | instskip(SKIP_1) | instid1(VALU_DEP_1)
	v_add3_u32 v37, v37, v6, v7
	s_waitcnt lgkmcnt(0)
	v_add3_u32 v37, v37, v0, v1
	s_delay_alu instid0(VALU_DEP_1) | instskip(NEXT) | instid1(VALU_DEP_1)
	v_add3_u32 v3, v37, v2, v3
	v_mov_b32_dpp v37, v3 row_shr:1 row_mask:0xf bank_mask:0xf
	s_delay_alu instid0(VALU_DEP_1) | instskip(NEXT) | instid1(VALU_DEP_1)
	v_cndmask_b32_e64 v37, v37, 0, s1
	v_add_nc_u32_e32 v3, v37, v3
	s_delay_alu instid0(VALU_DEP_1) | instskip(NEXT) | instid1(VALU_DEP_1)
	v_mov_b32_dpp v37, v3 row_shr:2 row_mask:0xf bank_mask:0xf
	v_cndmask_b32_e64 v37, 0, v37, s2
	s_delay_alu instid0(VALU_DEP_1) | instskip(NEXT) | instid1(VALU_DEP_1)
	v_add_nc_u32_e32 v3, v3, v37
	v_mov_b32_dpp v37, v3 row_shr:4 row_mask:0xf bank_mask:0xf
	s_delay_alu instid0(VALU_DEP_1) | instskip(NEXT) | instid1(VALU_DEP_1)
	v_cndmask_b32_e64 v37, 0, v37, s3
	v_add_nc_u32_e32 v3, v3, v37
	s_delay_alu instid0(VALU_DEP_1) | instskip(NEXT) | instid1(VALU_DEP_1)
	v_mov_b32_dpp v37, v3 row_shr:8 row_mask:0xf bank_mask:0xf
	v_cndmask_b32_e64 v37, 0, v37, s4
	s_delay_alu instid0(VALU_DEP_1) | instskip(SKIP_3) | instid1(VALU_DEP_1)
	v_add_nc_u32_e32 v3, v3, v37
	ds_swizzle_b32 v37, v3 offset:swizzle(BROADCAST,32,15)
	s_waitcnt lgkmcnt(0)
	v_cndmask_b32_e64 v37, v37, 0, s5
	v_add_nc_u32_e32 v3, v3, v37
	s_and_saveexec_b32 s13, s12
	s_cbranch_execz .LBB219_12
; %bb.11:                               ;   in Loop: Header=BB219_4 Depth=2
	ds_store_b32 v17, v3
.LBB219_12:                             ;   in Loop: Header=BB219_4 Depth=2
	s_or_b32 exec_lo, exec_lo, s13
	s_waitcnt lgkmcnt(0)
	s_barrier
	buffer_gl0_inv
	s_and_saveexec_b32 s13, s6
	s_cbranch_execz .LBB219_14
; %bb.13:                               ;   in Loop: Header=BB219_4 Depth=2
	v_add_nc_u32_e32 v37, v13, v14
	ds_load_b32 v38, v37
	s_waitcnt lgkmcnt(0)
	v_mov_b32_dpp v39, v38 row_shr:1 row_mask:0xf bank_mask:0xf
	s_delay_alu instid0(VALU_DEP_1) | instskip(NEXT) | instid1(VALU_DEP_1)
	v_cndmask_b32_e64 v39, v39, 0, s9
	v_add_nc_u32_e32 v38, v39, v38
	s_delay_alu instid0(VALU_DEP_1) | instskip(NEXT) | instid1(VALU_DEP_1)
	v_mov_b32_dpp v39, v38 row_shr:2 row_mask:0xf bank_mask:0xf
	v_cndmask_b32_e64 v39, 0, v39, s10
	s_delay_alu instid0(VALU_DEP_1) | instskip(NEXT) | instid1(VALU_DEP_1)
	v_add_nc_u32_e32 v38, v38, v39
	v_mov_b32_dpp v39, v38 row_shr:4 row_mask:0xf bank_mask:0xf
	s_delay_alu instid0(VALU_DEP_1) | instskip(NEXT) | instid1(VALU_DEP_1)
	v_cndmask_b32_e64 v39, 0, v39, s11
	v_add_nc_u32_e32 v38, v38, v39
	ds_store_b32 v37, v38
.LBB219_14:                             ;   in Loop: Header=BB219_4 Depth=2
	s_or_b32 exec_lo, exec_lo, s13
	v_mov_b32_e32 v37, 0
	s_waitcnt lgkmcnt(0)
	s_barrier
	buffer_gl0_inv
	s_and_saveexec_b32 s13, s7
	s_cbranch_execz .LBB219_16
; %bb.15:                               ;   in Loop: Header=BB219_4 Depth=2
	ds_load_b32 v37, v18
.LBB219_16:                             ;   in Loop: Header=BB219_4 Depth=2
	s_or_b32 exec_lo, exec_lo, s13
	s_waitcnt lgkmcnt(0)
	v_add_nc_u32_e32 v3, v37, v3
	s_cmp_gt_u32 s16, 23
	ds_bpermute_b32 v3, v16, v3
	s_waitcnt lgkmcnt(0)
	v_cndmask_b32_e64 v3, v3, v37, s0
	s_delay_alu instid0(VALU_DEP_1) | instskip(NEXT) | instid1(VALU_DEP_1)
	v_cndmask_b32_e64 v3, v3, 0, s8
	v_add_nc_u32_e32 v4, v3, v4
	s_delay_alu instid0(VALU_DEP_1) | instskip(NEXT) | instid1(VALU_DEP_1)
	v_add_nc_u32_e32 v5, v4, v5
	v_add_nc_u32_e32 v6, v5, v6
	s_delay_alu instid0(VALU_DEP_1) | instskip(NEXT) | instid1(VALU_DEP_1)
	v_add_nc_u32_e32 v37, v6, v7
	;; [unrolled: 3-line block ×3, first 2 shown]
	v_add_nc_u32_e32 v1, v0, v2
	ds_store_2addr_b64 v13, v[3:4], v[5:6] offset0:4 offset1:5
	ds_store_2addr_b64 v15, v[37:38], v[0:1] offset0:2 offset1:3
	s_waitcnt lgkmcnt(0)
	s_barrier
	buffer_gl0_inv
	ds_load_b32 v0, v30
	ds_load_b32 v1, v33
	;; [unrolled: 1-line block ×3, first 2 shown]
	s_waitcnt lgkmcnt(2)
	v_add_nc_u32_e32 v29, v0, v29
	s_waitcnt lgkmcnt(1)
	v_add3_u32 v7, v32, v31, v1
	s_waitcnt lgkmcnt(0)
	v_add3_u32 v5, v35, v34, v2
	s_cbranch_scc0 .LBB219_3
; %bb.17:                               ;   in Loop: Header=BB219_2 Depth=1
                                        ; implicit-def: $vgpr6
                                        ; implicit-def: $vgpr1
                                        ; implicit-def: $vgpr4
                                        ; implicit-def: $vgpr3
                                        ; implicit-def: $sgpr16
	s_branch .LBB219_1
.LBB219_18:
	s_waitcnt lgkmcnt(1)
	v_add_nc_u32_e32 v0, v1, v4
	v_add_nc_u32_e32 v1, v2, v5
	v_lshlrev_b32_e32 v2, 2, v8
	s_waitcnt lgkmcnt(0)
	v_add_nc_u32_e32 v3, v3, v7
	s_add_u32 s0, s18, s14
	s_addc_u32 s1, s19, s15
	s_clause 0x2
	global_store_b32 v2, v0, s[0:1]
	global_store_b32 v2, v1, s[0:1] offset:1024
	global_store_b32 v2, v3, s[0:1] offset:2048
	s_nop 0
	s_sendmsg sendmsg(MSG_DEALLOC_VGPRS)
	s_endpgm
	.section	.rodata,"a",@progbits
	.p2align	6, 0x0
	.amdhsa_kernel _Z17sort_pairs_kernelI22helper_blocked_stripediLj256ELj3ELj10EEvPKT0_PS1_
		.amdhsa_group_segment_fixed_size 8224
		.amdhsa_private_segment_fixed_size 0
		.amdhsa_kernarg_size 272
		.amdhsa_user_sgpr_count 15
		.amdhsa_user_sgpr_dispatch_ptr 0
		.amdhsa_user_sgpr_queue_ptr 0
		.amdhsa_user_sgpr_kernarg_segment_ptr 1
		.amdhsa_user_sgpr_dispatch_id 0
		.amdhsa_user_sgpr_private_segment_size 0
		.amdhsa_wavefront_size32 1
		.amdhsa_uses_dynamic_stack 0
		.amdhsa_enable_private_segment 0
		.amdhsa_system_sgpr_workgroup_id_x 1
		.amdhsa_system_sgpr_workgroup_id_y 0
		.amdhsa_system_sgpr_workgroup_id_z 0
		.amdhsa_system_sgpr_workgroup_info 0
		.amdhsa_system_vgpr_workitem_id 2
		.amdhsa_next_free_vgpr 40
		.amdhsa_next_free_sgpr 22
		.amdhsa_reserve_vcc 1
		.amdhsa_float_round_mode_32 0
		.amdhsa_float_round_mode_16_64 0
		.amdhsa_float_denorm_mode_32 3
		.amdhsa_float_denorm_mode_16_64 3
		.amdhsa_dx10_clamp 1
		.amdhsa_ieee_mode 1
		.amdhsa_fp16_overflow 0
		.amdhsa_workgroup_processor_mode 1
		.amdhsa_memory_ordered 1
		.amdhsa_forward_progress 0
		.amdhsa_shared_vgpr_count 0
		.amdhsa_exception_fp_ieee_invalid_op 0
		.amdhsa_exception_fp_denorm_src 0
		.amdhsa_exception_fp_ieee_div_zero 0
		.amdhsa_exception_fp_ieee_overflow 0
		.amdhsa_exception_fp_ieee_underflow 0
		.amdhsa_exception_fp_ieee_inexact 0
		.amdhsa_exception_int_div_zero 0
	.end_amdhsa_kernel
	.section	.text._Z17sort_pairs_kernelI22helper_blocked_stripediLj256ELj3ELj10EEvPKT0_PS1_,"axG",@progbits,_Z17sort_pairs_kernelI22helper_blocked_stripediLj256ELj3ELj10EEvPKT0_PS1_,comdat
.Lfunc_end219:
	.size	_Z17sort_pairs_kernelI22helper_blocked_stripediLj256ELj3ELj10EEvPKT0_PS1_, .Lfunc_end219-_Z17sort_pairs_kernelI22helper_blocked_stripediLj256ELj3ELj10EEvPKT0_PS1_
                                        ; -- End function
	.section	.AMDGPU.csdata,"",@progbits
; Kernel info:
; codeLenInByte = 2584
; NumSgprs: 24
; NumVgprs: 40
; ScratchSize: 0
; MemoryBound: 0
; FloatMode: 240
; IeeeMode: 1
; LDSByteSize: 8224 bytes/workgroup (compile time only)
; SGPRBlocks: 2
; VGPRBlocks: 4
; NumSGPRsForWavesPerEU: 24
; NumVGPRsForWavesPerEU: 40
; Occupancy: 16
; WaveLimiterHint : 1
; COMPUTE_PGM_RSRC2:SCRATCH_EN: 0
; COMPUTE_PGM_RSRC2:USER_SGPR: 15
; COMPUTE_PGM_RSRC2:TRAP_HANDLER: 0
; COMPUTE_PGM_RSRC2:TGID_X_EN: 1
; COMPUTE_PGM_RSRC2:TGID_Y_EN: 0
; COMPUTE_PGM_RSRC2:TGID_Z_EN: 0
; COMPUTE_PGM_RSRC2:TIDIG_COMP_CNT: 2
	.section	.text._Z16sort_keys_kernelI22helper_blocked_stripediLj256ELj4ELj10EEvPKT0_PS1_,"axG",@progbits,_Z16sort_keys_kernelI22helper_blocked_stripediLj256ELj4ELj10EEvPKT0_PS1_,comdat
	.protected	_Z16sort_keys_kernelI22helper_blocked_stripediLj256ELj4ELj10EEvPKT0_PS1_ ; -- Begin function _Z16sort_keys_kernelI22helper_blocked_stripediLj256ELj4ELj10EEvPKT0_PS1_
	.globl	_Z16sort_keys_kernelI22helper_blocked_stripediLj256ELj4ELj10EEvPKT0_PS1_
	.p2align	8
	.type	_Z16sort_keys_kernelI22helper_blocked_stripediLj256ELj4ELj10EEvPKT0_PS1_,@function
_Z16sort_keys_kernelI22helper_blocked_stripediLj256ELj4ELj10EEvPKT0_PS1_: ; @_Z16sort_keys_kernelI22helper_blocked_stripediLj256ELj4ELj10EEvPKT0_PS1_
; %bb.0:
	s_clause 0x1
	s_load_b128 s[16:19], s[0:1], 0x0
	s_load_b32 s2, s[0:1], 0x1c
	s_lshl_b32 s20, s15, 10
	s_mov_b32 s21, 0
	v_mbcnt_lo_u32_b32 v8, -1, 0
	s_lshl_b64 s[22:23], s[20:21], 2
	s_mov_b32 s20, s21
	v_and_b32_e32 v5, 0x3ff, v0
	v_bfe_u32 v6, v0, 10, 10
	v_bfe_u32 v0, v0, 20, 10
	v_and_b32_e32 v13, 28, v8
	v_cmp_eq_u32_e64 s11, 0, v8
	v_lshlrev_b32_e32 v1, 4, v5
	v_lshlrev_b32_e32 v12, 2, v5
	v_cmp_gt_u32_e64 s9, 8, v5
	v_cmp_lt_u32_e64 s10, 31, v5
	v_cmp_eq_u32_e64 s12, 0, v5
	v_mul_i32_i24_e32 v22, 0xffffffe4, v5
	v_or_b32_e32 v15, 32, v13
	v_or_b32_e32 v16, 64, v13
	s_waitcnt lgkmcnt(0)
	s_add_u32 s0, s16, s22
	s_addc_u32 s1, s17, s23
	s_mov_b32 s16, s21
	global_load_b128 v[1:4], v1, s[0:1]
	s_lshr_b32 s1, s2, 16
	s_and_b32 s2, s2, 0xffff
	v_mad_u32_u24 v0, v0, s1, v6
	s_mov_b32 s17, s21
	v_dual_mov_b32 v10, s16 :: v_dual_and_b32 v9, 3, v8
	v_dual_mov_b32 v11, s17 :: v_dual_lshlrev_b32 v14, 5, v5
	s_delay_alu instid0(VALU_DEP_3)
	v_mad_u64_u32 v[6:7], null, v0, s2, v[5:6]
	v_add_nc_u32_e32 v7, -1, v8
	v_and_b32_e32 v0, 15, v8
	v_cmp_eq_u32_e64 s0, 3, v9
	v_cmp_eq_u32_e64 s1, 2, v9
	;; [unrolled: 1-line block ×3, first 2 shown]
	v_cmp_gt_i32_e32 vcc_lo, 0, v7
	v_lshrrev_b32_e32 v19, 5, v6
	v_and_b32_e32 v6, 16, v8
	v_cmp_eq_u32_e64 s3, 0, v0
	v_cmp_lt_u32_e64 s4, 1, v0
	v_cmp_lt_u32_e64 s5, 3, v0
	v_or_b32_e32 v9, 31, v5
	v_cmp_lt_u32_e64 s6, 7, v0
	v_cmp_eq_u32_e64 s7, 0, v6
	v_cndmask_b32_e32 v0, v7, v8, vcc_lo
	v_lshrrev_b32_e32 v6, 3, v5
	v_cmp_eq_u32_e64 s8, v9, v5
	v_and_or_b32 v5, 0x380, v12, v8
	v_or_b32_e32 v17, 0x60, v13
	v_lshlrev_b32_e32 v20, 2, v0
	v_and_b32_e32 v0, 7, v8
	v_dual_mov_b32 v8, s20 :: v_dual_and_b32 v21, 28, v6
	v_add_nc_u32_e32 v18, 32, v14
	v_lshlrev_b32_e32 v24, 2, v5
	s_delay_alu instid0(VALU_DEP_4)
	v_cmp_eq_u32_e64 s13, 0, v0
	v_cmp_lt_u32_e64 s14, 1, v0
	v_cmp_lt_u32_e64 s15, 3, v0
	v_add_nc_u32_e32 v23, -4, v21
	v_mov_b32_e32 v9, s21
	s_branch .LBB220_2
.LBB220_1:                              ;   in Loop: Header=BB220_2 Depth=1
	v_lshlrev_b32_e32 v0, 2, v7
	v_lshlrev_b32_e32 v1, 2, v6
	;; [unrolled: 1-line block ×3, first 2 shown]
	s_barrier
	buffer_gl0_inv
	v_lshlrev_b32_e32 v3, 2, v4
	ds_store_b32 v0, v25
	ds_store_b32 v1, v28
	;; [unrolled: 1-line block ×3, first 2 shown]
	v_add_nc_u32_e32 v0, v14, v22
	s_add_i32 s21, s21, 1
	ds_store_b32 v3, v26
	s_waitcnt lgkmcnt(0)
	s_barrier
	buffer_gl0_inv
	ds_load_2addr_stride64_b32 v[1:2], v0 offset1:4
	ds_load_2addr_stride64_b32 v[3:4], v0 offset0:8 offset1:12
	s_cmp_eq_u32 s21, 10
	s_waitcnt lgkmcnt(1)
	v_xor_b32_e32 v1, 0x80000000, v1
	v_xor_b32_e32 v2, 0x80000000, v2
	s_waitcnt lgkmcnt(0)
	v_xor_b32_e32 v3, 0x80000000, v3
	v_xor_b32_e32 v4, 0x80000000, v4
	s_cbranch_scc1 .LBB220_20
.LBB220_2:                              ; =>This Loop Header: Depth=1
                                        ;     Child Loop BB220_4 Depth 2
	s_waitcnt vmcnt(0)
	v_xor_b32_e32 v0, 0x80000000, v1
	v_xor_b32_e32 v1, 0x80000000, v2
	;; [unrolled: 1-line block ×4, first 2 shown]
	s_mov_b32 s17, 0
	ds_bpermute_b32 v3, v13, v0
	ds_bpermute_b32 v5, v13, v1
	;; [unrolled: 1-line block ×16, first 2 shown]
	s_waitcnt lgkmcnt(0)
	s_barrier
	v_cndmask_b32_e64 v3, v3, v5, s2
	v_cndmask_b32_e64 v5, v6, v7, s2
	;; [unrolled: 1-line block ×4, first 2 shown]
	s_delay_alu instid0(VALU_DEP_4) | instskip(NEXT) | instid1(VALU_DEP_4)
	v_cndmask_b32_e64 v1, v3, v27, s1
	v_cndmask_b32_e64 v3, v5, v28, s1
	s_delay_alu instid0(VALU_DEP_4) | instskip(NEXT) | instid1(VALU_DEP_4)
	v_cndmask_b32_e64 v5, v6, v29, s1
	v_cndmask_b32_e64 v6, v0, v2, s1
	;; [unrolled: 3-line block ×4, first 2 shown]
	s_branch .LBB220_4
.LBB220_3:                              ;   in Loop: Header=BB220_4 Depth=2
	v_lshlrev_b32_e32 v0, 2, v7
	v_lshlrev_b32_e32 v1, 2, v6
	;; [unrolled: 1-line block ×4, first 2 shown]
	s_barrier
	buffer_gl0_inv
	ds_store_b32 v0, v25
	ds_store_b32 v1, v28
	;; [unrolled: 1-line block ×4, first 2 shown]
	s_waitcnt lgkmcnt(0)
	s_barrier
	buffer_gl0_inv
	ds_load_2addr_b32 v[0:1], v24 offset1:32
	ds_load_2addr_b32 v[2:3], v24 offset0:64 offset1:96
	s_add_i32 s17, s17, 8
	s_waitcnt lgkmcnt(0)
	s_barrier
	s_cbranch_execz .LBB220_1
.LBB220_4:                              ;   Parent Loop BB220_2 Depth=1
                                        ; =>  This Inner Loop Header: Depth=2
	v_mov_b32_e32 v25, v0
	buffer_gl0_inv
	ds_store_2addr_b64 v14, v[8:9], v[10:11] offset0:4 offset1:5
	ds_store_2addr_b64 v18, v[8:9], v[10:11] offset0:2 offset1:3
	s_waitcnt lgkmcnt(0)
	s_barrier
	v_lshrrev_b32_e32 v4, s17, v25
	buffer_gl0_inv
	; wave barrier
	v_lshlrev_b32_e32 v6, 30, v4
	v_bfe_u32 v0, v25, s17, 1
	v_lshlrev_b32_e32 v7, 29, v4
	v_lshlrev_b32_e32 v26, 28, v4
	;; [unrolled: 1-line block ×4, first 2 shown]
	v_add_co_u32 v0, s16, v0, -1
	s_delay_alu instid0(VALU_DEP_1) | instskip(SKIP_3) | instid1(VALU_DEP_4)
	v_cndmask_b32_e64 v5, 0, 1, s16
	v_cmp_gt_i32_e64 s16, 0, v6
	v_lshlrev_b32_e32 v29, 25, v4
	v_lshlrev_b32_e32 v4, 24, v4
	v_cmp_ne_u32_e32 vcc_lo, 0, v5
	v_not_b32_e32 v5, v6
	v_not_b32_e32 v6, v7
	v_xor_b32_e32 v0, vcc_lo, v0
	s_delay_alu instid0(VALU_DEP_3)
	v_ashrrev_i32_e32 v5, 31, v5
	v_cmp_gt_i32_e32 vcc_lo, 0, v7
	v_not_b32_e32 v7, v26
	v_ashrrev_i32_e32 v6, 31, v6
	v_and_b32_e32 v0, exec_lo, v0
	v_xor_b32_e32 v5, s16, v5
	v_cmp_gt_i32_e64 s16, 0, v26
	v_ashrrev_i32_e32 v7, 31, v7
	v_xor_b32_e32 v6, vcc_lo, v6
	s_delay_alu instid0(VALU_DEP_4) | instskip(SKIP_1) | instid1(VALU_DEP_4)
	v_and_b32_e32 v0, v0, v5
	v_not_b32_e32 v5, v28
	v_xor_b32_e32 v7, s16, v7
	v_cmp_gt_i32_e64 s16, 0, v28
	v_mov_b32_e32 v28, v1
	v_not_b32_e32 v26, v27
	v_cmp_gt_i32_e32 vcc_lo, 0, v27
	v_and_b32_e32 v0, v0, v6
	v_not_b32_e32 v6, v29
	v_ashrrev_i32_e32 v5, 31, v5
	v_ashrrev_i32_e32 v26, 31, v26
	v_bfe_u32 v1, v25, s17, 8
	v_and_b32_e32 v0, v0, v7
	v_not_b32_e32 v7, v4
	v_ashrrev_i32_e32 v6, 31, v6
	v_xor_b32_e32 v26, vcc_lo, v26
	v_cmp_gt_i32_e32 vcc_lo, 0, v29
	v_xor_b32_e32 v5, s16, v5
	v_cmp_gt_i32_e64 s16, 0, v4
	v_ashrrev_i32_e32 v4, 31, v7
	v_and_b32_e32 v0, v0, v26
	v_xor_b32_e32 v6, vcc_lo, v6
	v_lshl_add_u32 v1, v1, 3, v19
	v_mov_b32_e32 v26, v3
	v_xor_b32_e32 v4, s16, v4
	v_dual_mov_b32 v27, v2 :: v_dual_and_b32 v0, v0, v5
	s_delay_alu instid0(VALU_DEP_4) | instskip(NEXT) | instid1(VALU_DEP_2)
	v_lshl_add_u32 v30, v1, 2, 32
	v_and_b32_e32 v0, v0, v6
	s_delay_alu instid0(VALU_DEP_1) | instskip(NEXT) | instid1(VALU_DEP_1)
	v_and_b32_e32 v0, v0, v4
	v_mbcnt_lo_u32_b32 v29, v0, 0
	v_cmp_ne_u32_e64 s16, 0, v0
	s_delay_alu instid0(VALU_DEP_2) | instskip(NEXT) | instid1(VALU_DEP_2)
	v_cmp_eq_u32_e32 vcc_lo, 0, v29
	s_and_b32 s20, s16, vcc_lo
	s_delay_alu instid0(SALU_CYCLE_1)
	s_and_saveexec_b32 s16, s20
	s_cbranch_execz .LBB220_6
; %bb.5:                                ;   in Loop: Header=BB220_4 Depth=2
	v_bcnt_u32_b32 v0, v0, 0
	ds_store_b32 v30, v0
.LBB220_6:                              ;   in Loop: Header=BB220_4 Depth=2
	s_or_b32 exec_lo, exec_lo, s16
	v_bfe_u32 v0, v28, s17, 1
	v_lshrrev_b32_e32 v1, s17, v28
	; wave barrier
	s_delay_alu instid0(VALU_DEP_2) | instskip(NEXT) | instid1(VALU_DEP_1)
	v_add_co_u32 v0, s16, v0, -1
	v_cndmask_b32_e64 v2, 0, 1, s16
	s_delay_alu instid0(VALU_DEP_3)
	v_lshlrev_b32_e32 v3, 30, v1
	v_lshlrev_b32_e32 v4, 29, v1
	;; [unrolled: 1-line block ×4, first 2 shown]
	v_cmp_ne_u32_e32 vcc_lo, 0, v2
	v_not_b32_e32 v2, v3
	v_cmp_gt_i32_e64 s16, 0, v3
	v_not_b32_e32 v3, v4
	v_lshlrev_b32_e32 v7, 26, v1
	v_xor_b32_e32 v0, vcc_lo, v0
	v_ashrrev_i32_e32 v2, 31, v2
	v_cmp_gt_i32_e32 vcc_lo, 0, v4
	v_not_b32_e32 v4, v5
	v_ashrrev_i32_e32 v3, 31, v3
	v_and_b32_e32 v0, exec_lo, v0
	v_xor_b32_e32 v2, s16, v2
	v_cmp_gt_i32_e64 s16, 0, v5
	v_not_b32_e32 v5, v6
	v_ashrrev_i32_e32 v4, 31, v4
	v_xor_b32_e32 v3, vcc_lo, v3
	v_and_b32_e32 v0, v0, v2
	v_cmp_gt_i32_e32 vcc_lo, 0, v6
	v_not_b32_e32 v2, v7
	v_ashrrev_i32_e32 v5, 31, v5
	v_xor_b32_e32 v4, s16, v4
	v_and_b32_e32 v0, v0, v3
	v_lshlrev_b32_e32 v3, 25, v1
	v_cmp_gt_i32_e64 s16, 0, v7
	v_ashrrev_i32_e32 v2, 31, v2
	v_xor_b32_e32 v5, vcc_lo, v5
	v_and_b32_e32 v0, v0, v4
	v_not_b32_e32 v6, v3
	v_lshlrev_b32_e32 v1, 24, v1
	v_bfe_u32 v4, v28, s17, 8
	v_xor_b32_e32 v2, s16, v2
	v_and_b32_e32 v0, v0, v5
	v_cmp_gt_i32_e32 vcc_lo, 0, v3
	v_ashrrev_i32_e32 v3, 31, v6
	v_not_b32_e32 v5, v1
	v_lshlrev_b32_e32 v4, 3, v4
	v_and_b32_e32 v0, v0, v2
	s_delay_alu instid0(VALU_DEP_4) | instskip(SKIP_3) | instid1(VALU_DEP_4)
	v_xor_b32_e32 v2, vcc_lo, v3
	v_cmp_gt_i32_e32 vcc_lo, 0, v1
	v_ashrrev_i32_e32 v1, 31, v5
	v_add_lshl_u32 v3, v4, v19, 2
	v_and_b32_e32 v0, v0, v2
	s_delay_alu instid0(VALU_DEP_3) | instskip(SKIP_3) | instid1(VALU_DEP_1)
	v_xor_b32_e32 v1, vcc_lo, v1
	ds_load_b32 v31, v3 offset:32
	v_add_nc_u32_e32 v33, 32, v3
	; wave barrier
	v_and_b32_e32 v0, v0, v1
	v_mbcnt_lo_u32_b32 v32, v0, 0
	v_cmp_ne_u32_e64 s16, 0, v0
	s_delay_alu instid0(VALU_DEP_2) | instskip(NEXT) | instid1(VALU_DEP_2)
	v_cmp_eq_u32_e32 vcc_lo, 0, v32
	s_and_b32 s20, s16, vcc_lo
	s_delay_alu instid0(SALU_CYCLE_1)
	s_and_saveexec_b32 s16, s20
	s_cbranch_execz .LBB220_8
; %bb.7:                                ;   in Loop: Header=BB220_4 Depth=2
	s_waitcnt lgkmcnt(0)
	v_bcnt_u32_b32 v0, v0, v31
	ds_store_b32 v33, v0
.LBB220_8:                              ;   in Loop: Header=BB220_4 Depth=2
	s_or_b32 exec_lo, exec_lo, s16
	v_bfe_u32 v0, v27, s17, 1
	v_lshrrev_b32_e32 v1, s17, v27
	; wave barrier
	s_delay_alu instid0(VALU_DEP_2) | instskip(NEXT) | instid1(VALU_DEP_1)
	v_add_co_u32 v0, s16, v0, -1
	v_cndmask_b32_e64 v2, 0, 1, s16
	s_delay_alu instid0(VALU_DEP_3)
	v_lshlrev_b32_e32 v3, 30, v1
	v_lshlrev_b32_e32 v4, 29, v1
	;; [unrolled: 1-line block ×4, first 2 shown]
	v_cmp_ne_u32_e32 vcc_lo, 0, v2
	v_not_b32_e32 v2, v3
	v_cmp_gt_i32_e64 s16, 0, v3
	v_not_b32_e32 v3, v4
	v_lshlrev_b32_e32 v7, 26, v1
	v_xor_b32_e32 v0, vcc_lo, v0
	v_ashrrev_i32_e32 v2, 31, v2
	v_cmp_gt_i32_e32 vcc_lo, 0, v4
	v_not_b32_e32 v4, v5
	v_ashrrev_i32_e32 v3, 31, v3
	v_and_b32_e32 v0, exec_lo, v0
	v_xor_b32_e32 v2, s16, v2
	v_cmp_gt_i32_e64 s16, 0, v5
	v_not_b32_e32 v5, v6
	v_ashrrev_i32_e32 v4, 31, v4
	v_xor_b32_e32 v3, vcc_lo, v3
	v_and_b32_e32 v0, v0, v2
	v_cmp_gt_i32_e32 vcc_lo, 0, v6
	v_not_b32_e32 v2, v7
	v_ashrrev_i32_e32 v5, 31, v5
	v_xor_b32_e32 v4, s16, v4
	v_and_b32_e32 v0, v0, v3
	v_lshlrev_b32_e32 v3, 25, v1
	v_cmp_gt_i32_e64 s16, 0, v7
	v_ashrrev_i32_e32 v2, 31, v2
	v_xor_b32_e32 v5, vcc_lo, v5
	v_and_b32_e32 v0, v0, v4
	v_not_b32_e32 v6, v3
	v_lshlrev_b32_e32 v1, 24, v1
	v_bfe_u32 v4, v27, s17, 8
	v_xor_b32_e32 v2, s16, v2
	v_and_b32_e32 v0, v0, v5
	v_cmp_gt_i32_e32 vcc_lo, 0, v3
	v_ashrrev_i32_e32 v3, 31, v6
	v_not_b32_e32 v5, v1
	v_lshlrev_b32_e32 v4, 3, v4
	v_and_b32_e32 v0, v0, v2
	s_delay_alu instid0(VALU_DEP_4) | instskip(SKIP_3) | instid1(VALU_DEP_4)
	v_xor_b32_e32 v2, vcc_lo, v3
	v_cmp_gt_i32_e32 vcc_lo, 0, v1
	v_ashrrev_i32_e32 v1, 31, v5
	v_add_lshl_u32 v3, v4, v19, 2
	v_and_b32_e32 v0, v0, v2
	s_delay_alu instid0(VALU_DEP_3) | instskip(SKIP_3) | instid1(VALU_DEP_1)
	v_xor_b32_e32 v1, vcc_lo, v1
	ds_load_b32 v34, v3 offset:32
	v_add_nc_u32_e32 v36, 32, v3
	; wave barrier
	v_and_b32_e32 v0, v0, v1
	v_mbcnt_lo_u32_b32 v35, v0, 0
	v_cmp_ne_u32_e64 s16, 0, v0
	s_delay_alu instid0(VALU_DEP_2) | instskip(NEXT) | instid1(VALU_DEP_2)
	v_cmp_eq_u32_e32 vcc_lo, 0, v35
	s_and_b32 s20, s16, vcc_lo
	s_delay_alu instid0(SALU_CYCLE_1)
	s_and_saveexec_b32 s16, s20
	s_cbranch_execz .LBB220_10
; %bb.9:                                ;   in Loop: Header=BB220_4 Depth=2
	s_waitcnt lgkmcnt(0)
	v_bcnt_u32_b32 v0, v0, v34
	ds_store_b32 v36, v0
.LBB220_10:                             ;   in Loop: Header=BB220_4 Depth=2
	s_or_b32 exec_lo, exec_lo, s16
	v_bfe_u32 v0, v26, s17, 1
	v_lshrrev_b32_e32 v1, s17, v26
	; wave barrier
	s_delay_alu instid0(VALU_DEP_2) | instskip(NEXT) | instid1(VALU_DEP_1)
	v_add_co_u32 v0, s16, v0, -1
	v_cndmask_b32_e64 v2, 0, 1, s16
	s_delay_alu instid0(VALU_DEP_3)
	v_lshlrev_b32_e32 v3, 30, v1
	v_lshlrev_b32_e32 v4, 29, v1
	;; [unrolled: 1-line block ×4, first 2 shown]
	v_cmp_ne_u32_e32 vcc_lo, 0, v2
	v_not_b32_e32 v2, v3
	v_cmp_gt_i32_e64 s16, 0, v3
	v_not_b32_e32 v3, v4
	v_lshlrev_b32_e32 v7, 26, v1
	v_xor_b32_e32 v0, vcc_lo, v0
	v_ashrrev_i32_e32 v2, 31, v2
	v_cmp_gt_i32_e32 vcc_lo, 0, v4
	v_not_b32_e32 v4, v5
	v_ashrrev_i32_e32 v3, 31, v3
	v_and_b32_e32 v0, exec_lo, v0
	v_xor_b32_e32 v2, s16, v2
	v_cmp_gt_i32_e64 s16, 0, v5
	v_not_b32_e32 v5, v6
	v_ashrrev_i32_e32 v4, 31, v4
	v_xor_b32_e32 v3, vcc_lo, v3
	v_and_b32_e32 v0, v0, v2
	v_cmp_gt_i32_e32 vcc_lo, 0, v6
	v_not_b32_e32 v2, v7
	v_ashrrev_i32_e32 v5, 31, v5
	v_xor_b32_e32 v4, s16, v4
	v_and_b32_e32 v0, v0, v3
	v_lshlrev_b32_e32 v3, 25, v1
	v_cmp_gt_i32_e64 s16, 0, v7
	v_ashrrev_i32_e32 v2, 31, v2
	v_xor_b32_e32 v5, vcc_lo, v5
	v_and_b32_e32 v0, v0, v4
	v_not_b32_e32 v6, v3
	v_lshlrev_b32_e32 v1, 24, v1
	v_bfe_u32 v4, v26, s17, 8
	v_xor_b32_e32 v2, s16, v2
	v_and_b32_e32 v0, v0, v5
	v_cmp_gt_i32_e32 vcc_lo, 0, v3
	v_ashrrev_i32_e32 v3, 31, v6
	v_not_b32_e32 v5, v1
	v_lshlrev_b32_e32 v4, 3, v4
	v_and_b32_e32 v0, v0, v2
	s_delay_alu instid0(VALU_DEP_4) | instskip(SKIP_3) | instid1(VALU_DEP_4)
	v_xor_b32_e32 v2, vcc_lo, v3
	v_cmp_gt_i32_e32 vcc_lo, 0, v1
	v_ashrrev_i32_e32 v1, 31, v5
	v_add_lshl_u32 v3, v4, v19, 2
	v_and_b32_e32 v0, v0, v2
	s_delay_alu instid0(VALU_DEP_3) | instskip(SKIP_3) | instid1(VALU_DEP_1)
	v_xor_b32_e32 v1, vcc_lo, v1
	ds_load_b32 v37, v3 offset:32
	v_add_nc_u32_e32 v39, 32, v3
	; wave barrier
	v_and_b32_e32 v0, v0, v1
	v_mbcnt_lo_u32_b32 v38, v0, 0
	v_cmp_ne_u32_e64 s16, 0, v0
	s_delay_alu instid0(VALU_DEP_2) | instskip(NEXT) | instid1(VALU_DEP_2)
	v_cmp_eq_u32_e32 vcc_lo, 0, v38
	s_and_b32 s20, s16, vcc_lo
	s_delay_alu instid0(SALU_CYCLE_1)
	s_and_saveexec_b32 s16, s20
	s_cbranch_execz .LBB220_12
; %bb.11:                               ;   in Loop: Header=BB220_4 Depth=2
	s_waitcnt lgkmcnt(0)
	v_bcnt_u32_b32 v0, v0, v37
	ds_store_b32 v39, v0
.LBB220_12:                             ;   in Loop: Header=BB220_4 Depth=2
	s_or_b32 exec_lo, exec_lo, s16
	; wave barrier
	s_waitcnt lgkmcnt(0)
	s_barrier
	buffer_gl0_inv
	ds_load_2addr_b64 v[4:7], v14 offset0:4 offset1:5
	ds_load_2addr_b64 v[0:3], v18 offset0:2 offset1:3
	s_waitcnt lgkmcnt(1)
	v_add_nc_u32_e32 v40, v5, v4
	s_delay_alu instid0(VALU_DEP_1) | instskip(SKIP_1) | instid1(VALU_DEP_1)
	v_add3_u32 v40, v40, v6, v7
	s_waitcnt lgkmcnt(0)
	v_add3_u32 v40, v40, v0, v1
	s_delay_alu instid0(VALU_DEP_1) | instskip(NEXT) | instid1(VALU_DEP_1)
	v_add3_u32 v3, v40, v2, v3
	v_mov_b32_dpp v40, v3 row_shr:1 row_mask:0xf bank_mask:0xf
	s_delay_alu instid0(VALU_DEP_1) | instskip(NEXT) | instid1(VALU_DEP_1)
	v_cndmask_b32_e64 v40, v40, 0, s3
	v_add_nc_u32_e32 v3, v40, v3
	s_delay_alu instid0(VALU_DEP_1) | instskip(NEXT) | instid1(VALU_DEP_1)
	v_mov_b32_dpp v40, v3 row_shr:2 row_mask:0xf bank_mask:0xf
	v_cndmask_b32_e64 v40, 0, v40, s4
	s_delay_alu instid0(VALU_DEP_1) | instskip(NEXT) | instid1(VALU_DEP_1)
	v_add_nc_u32_e32 v3, v3, v40
	v_mov_b32_dpp v40, v3 row_shr:4 row_mask:0xf bank_mask:0xf
	s_delay_alu instid0(VALU_DEP_1) | instskip(NEXT) | instid1(VALU_DEP_1)
	v_cndmask_b32_e64 v40, 0, v40, s5
	v_add_nc_u32_e32 v3, v3, v40
	s_delay_alu instid0(VALU_DEP_1) | instskip(NEXT) | instid1(VALU_DEP_1)
	v_mov_b32_dpp v40, v3 row_shr:8 row_mask:0xf bank_mask:0xf
	v_cndmask_b32_e64 v40, 0, v40, s6
	s_delay_alu instid0(VALU_DEP_1) | instskip(SKIP_3) | instid1(VALU_DEP_1)
	v_add_nc_u32_e32 v3, v3, v40
	ds_swizzle_b32 v40, v3 offset:swizzle(BROADCAST,32,15)
	s_waitcnt lgkmcnt(0)
	v_cndmask_b32_e64 v40, v40, 0, s7
	v_add_nc_u32_e32 v3, v3, v40
	s_and_saveexec_b32 s16, s8
	s_cbranch_execz .LBB220_14
; %bb.13:                               ;   in Loop: Header=BB220_4 Depth=2
	ds_store_b32 v21, v3
.LBB220_14:                             ;   in Loop: Header=BB220_4 Depth=2
	s_or_b32 exec_lo, exec_lo, s16
	s_waitcnt lgkmcnt(0)
	s_barrier
	buffer_gl0_inv
	s_and_saveexec_b32 s16, s9
	s_cbranch_execz .LBB220_16
; %bb.15:                               ;   in Loop: Header=BB220_4 Depth=2
	v_add_nc_u32_e32 v40, v14, v22
	ds_load_b32 v41, v40
	s_waitcnt lgkmcnt(0)
	v_mov_b32_dpp v42, v41 row_shr:1 row_mask:0xf bank_mask:0xf
	s_delay_alu instid0(VALU_DEP_1) | instskip(NEXT) | instid1(VALU_DEP_1)
	v_cndmask_b32_e64 v42, v42, 0, s13
	v_add_nc_u32_e32 v41, v42, v41
	s_delay_alu instid0(VALU_DEP_1) | instskip(NEXT) | instid1(VALU_DEP_1)
	v_mov_b32_dpp v42, v41 row_shr:2 row_mask:0xf bank_mask:0xf
	v_cndmask_b32_e64 v42, 0, v42, s14
	s_delay_alu instid0(VALU_DEP_1) | instskip(NEXT) | instid1(VALU_DEP_1)
	v_add_nc_u32_e32 v41, v41, v42
	v_mov_b32_dpp v42, v41 row_shr:4 row_mask:0xf bank_mask:0xf
	s_delay_alu instid0(VALU_DEP_1) | instskip(NEXT) | instid1(VALU_DEP_1)
	v_cndmask_b32_e64 v42, 0, v42, s15
	v_add_nc_u32_e32 v41, v41, v42
	ds_store_b32 v40, v41
.LBB220_16:                             ;   in Loop: Header=BB220_4 Depth=2
	s_or_b32 exec_lo, exec_lo, s16
	v_mov_b32_e32 v40, 0
	s_waitcnt lgkmcnt(0)
	s_barrier
	buffer_gl0_inv
	s_and_saveexec_b32 s16, s10
	s_cbranch_execz .LBB220_18
; %bb.17:                               ;   in Loop: Header=BB220_4 Depth=2
	ds_load_b32 v40, v23
.LBB220_18:                             ;   in Loop: Header=BB220_4 Depth=2
	s_or_b32 exec_lo, exec_lo, s16
	s_waitcnt lgkmcnt(0)
	v_add_nc_u32_e32 v3, v40, v3
	s_cmp_gt_u32 s17, 23
	ds_bpermute_b32 v3, v20, v3
	s_waitcnt lgkmcnt(0)
	v_cndmask_b32_e64 v3, v3, v40, s11
	s_delay_alu instid0(VALU_DEP_1) | instskip(NEXT) | instid1(VALU_DEP_1)
	v_cndmask_b32_e64 v3, v3, 0, s12
	v_add_nc_u32_e32 v4, v3, v4
	s_delay_alu instid0(VALU_DEP_1) | instskip(NEXT) | instid1(VALU_DEP_1)
	v_add_nc_u32_e32 v5, v4, v5
	v_add_nc_u32_e32 v6, v5, v6
	s_delay_alu instid0(VALU_DEP_1) | instskip(NEXT) | instid1(VALU_DEP_1)
	v_add_nc_u32_e32 v40, v6, v7
	;; [unrolled: 3-line block ×3, first 2 shown]
	v_add_nc_u32_e32 v1, v0, v2
	ds_store_2addr_b64 v14, v[3:4], v[5:6] offset0:4 offset1:5
	ds_store_2addr_b64 v18, v[40:41], v[0:1] offset0:2 offset1:3
	s_waitcnt lgkmcnt(0)
	s_barrier
	buffer_gl0_inv
	ds_load_b32 v0, v30
	ds_load_b32 v1, v33
	;; [unrolled: 1-line block ×4, first 2 shown]
	s_waitcnt lgkmcnt(3)
	v_add_nc_u32_e32 v7, v0, v29
	s_waitcnt lgkmcnt(2)
	v_add3_u32 v6, v32, v31, v1
	s_waitcnt lgkmcnt(1)
	v_add3_u32 v5, v35, v34, v2
	;; [unrolled: 2-line block ×3, first 2 shown]
	s_cbranch_scc0 .LBB220_3
; %bb.19:                               ;   in Loop: Header=BB220_2 Depth=1
                                        ; implicit-def: $vgpr3
                                        ; implicit-def: $vgpr1
                                        ; implicit-def: $sgpr17
	s_branch .LBB220_1
.LBB220_20:
	s_add_u32 s0, s18, s22
	s_addc_u32 s1, s19, s23
	s_clause 0x3
	global_store_b32 v12, v1, s[0:1]
	global_store_b32 v12, v2, s[0:1] offset:1024
	global_store_b32 v12, v3, s[0:1] offset:2048
	;; [unrolled: 1-line block ×3, first 2 shown]
	s_nop 0
	s_sendmsg sendmsg(MSG_DEALLOC_VGPRS)
	s_endpgm
	.section	.rodata,"a",@progbits
	.p2align	6, 0x0
	.amdhsa_kernel _Z16sort_keys_kernelI22helper_blocked_stripediLj256ELj4ELj10EEvPKT0_PS1_
		.amdhsa_group_segment_fixed_size 8224
		.amdhsa_private_segment_fixed_size 0
		.amdhsa_kernarg_size 272
		.amdhsa_user_sgpr_count 15
		.amdhsa_user_sgpr_dispatch_ptr 0
		.amdhsa_user_sgpr_queue_ptr 0
		.amdhsa_user_sgpr_kernarg_segment_ptr 1
		.amdhsa_user_sgpr_dispatch_id 0
		.amdhsa_user_sgpr_private_segment_size 0
		.amdhsa_wavefront_size32 1
		.amdhsa_uses_dynamic_stack 0
		.amdhsa_enable_private_segment 0
		.amdhsa_system_sgpr_workgroup_id_x 1
		.amdhsa_system_sgpr_workgroup_id_y 0
		.amdhsa_system_sgpr_workgroup_id_z 0
		.amdhsa_system_sgpr_workgroup_info 0
		.amdhsa_system_vgpr_workitem_id 2
		.amdhsa_next_free_vgpr 43
		.amdhsa_next_free_sgpr 24
		.amdhsa_reserve_vcc 1
		.amdhsa_float_round_mode_32 0
		.amdhsa_float_round_mode_16_64 0
		.amdhsa_float_denorm_mode_32 3
		.amdhsa_float_denorm_mode_16_64 3
		.amdhsa_dx10_clamp 1
		.amdhsa_ieee_mode 1
		.amdhsa_fp16_overflow 0
		.amdhsa_workgroup_processor_mode 1
		.amdhsa_memory_ordered 1
		.amdhsa_forward_progress 0
		.amdhsa_shared_vgpr_count 0
		.amdhsa_exception_fp_ieee_invalid_op 0
		.amdhsa_exception_fp_denorm_src 0
		.amdhsa_exception_fp_ieee_div_zero 0
		.amdhsa_exception_fp_ieee_overflow 0
		.amdhsa_exception_fp_ieee_underflow 0
		.amdhsa_exception_fp_ieee_inexact 0
		.amdhsa_exception_int_div_zero 0
	.end_amdhsa_kernel
	.section	.text._Z16sort_keys_kernelI22helper_blocked_stripediLj256ELj4ELj10EEvPKT0_PS1_,"axG",@progbits,_Z16sort_keys_kernelI22helper_blocked_stripediLj256ELj4ELj10EEvPKT0_PS1_,comdat
.Lfunc_end220:
	.size	_Z16sort_keys_kernelI22helper_blocked_stripediLj256ELj4ELj10EEvPKT0_PS1_, .Lfunc_end220-_Z16sort_keys_kernelI22helper_blocked_stripediLj256ELj4ELj10EEvPKT0_PS1_
                                        ; -- End function
	.section	.AMDGPU.csdata,"",@progbits
; Kernel info:
; codeLenInByte = 2968
; NumSgprs: 26
; NumVgprs: 43
; ScratchSize: 0
; MemoryBound: 0
; FloatMode: 240
; IeeeMode: 1
; LDSByteSize: 8224 bytes/workgroup (compile time only)
; SGPRBlocks: 3
; VGPRBlocks: 5
; NumSGPRsForWavesPerEU: 26
; NumVGPRsForWavesPerEU: 43
; Occupancy: 16
; WaveLimiterHint : 1
; COMPUTE_PGM_RSRC2:SCRATCH_EN: 0
; COMPUTE_PGM_RSRC2:USER_SGPR: 15
; COMPUTE_PGM_RSRC2:TRAP_HANDLER: 0
; COMPUTE_PGM_RSRC2:TGID_X_EN: 1
; COMPUTE_PGM_RSRC2:TGID_Y_EN: 0
; COMPUTE_PGM_RSRC2:TGID_Z_EN: 0
; COMPUTE_PGM_RSRC2:TIDIG_COMP_CNT: 2
	.section	.text._Z17sort_pairs_kernelI22helper_blocked_stripediLj256ELj4ELj10EEvPKT0_PS1_,"axG",@progbits,_Z17sort_pairs_kernelI22helper_blocked_stripediLj256ELj4ELj10EEvPKT0_PS1_,comdat
	.protected	_Z17sort_pairs_kernelI22helper_blocked_stripediLj256ELj4ELj10EEvPKT0_PS1_ ; -- Begin function _Z17sort_pairs_kernelI22helper_blocked_stripediLj256ELj4ELj10EEvPKT0_PS1_
	.globl	_Z17sort_pairs_kernelI22helper_blocked_stripediLj256ELj4ELj10EEvPKT0_PS1_
	.p2align	8
	.type	_Z17sort_pairs_kernelI22helper_blocked_stripediLj256ELj4ELj10EEvPKT0_PS1_,@function
_Z17sort_pairs_kernelI22helper_blocked_stripediLj256ELj4ELj10EEvPKT0_PS1_: ; @_Z17sort_pairs_kernelI22helper_blocked_stripediLj256ELj4ELj10EEvPKT0_PS1_
; %bb.0:
	s_load_b128 s[16:19], s[0:1], 0x0
	v_mbcnt_lo_u32_b32 v10, -1, 0
	s_mov_b32 s23, 0
	s_lshl_b32 s22, s15, 10
	s_load_b32 s15, s[0:1], 0x1c
	s_lshl_b64 s[20:21], s[22:23], 2
	s_mov_b32 s22, s23
	s_delay_alu instid0(SALU_CYCLE_1) | instskip(SKIP_4) | instid1(VALU_DEP_4)
	v_dual_mov_b32 v8, s22 :: v_dual_and_b32 v5, 0x3ff, v0
	v_add_nc_u32_e32 v13, -1, v10
	v_bfe_u32 v7, v0, 10, 10
	v_bfe_u32 v0, v0, 20, 10
	v_dual_mov_b32 v9, s23 :: v_dual_and_b32 v6, 3, v10
	v_cmp_gt_i32_e32 vcc_lo, 0, v13
	v_lshlrev_b32_e32 v1, 4, v5
	v_and_b32_e32 v11, 15, v10
	v_and_b32_e32 v21, 7, v10
	v_lshlrev_b32_e32 v14, 2, v5
	v_cmp_eq_u32_e64 s2, 2, v6
	s_waitcnt lgkmcnt(0)
	s_add_u32 s0, s16, s20
	s_addc_u32 s1, s17, s21
	s_mov_b32 s16, s23
	s_mov_b32 s17, s23
	v_and_b32_e32 v12, 16, v10
	s_lshr_b32 s13, s15, 16
	s_and_b32 s15, s15, 0xffff
	v_mad_u32_u24 v0, v0, s13, v7
	v_cmp_eq_u32_e64 s3, 1, v6
	v_cmp_eq_u32_e64 s8, 0, v12
	v_cndmask_b32_e32 v12, v13, v10, vcc_lo
	global_load_b128 v[1:4], v1, s[0:1]
	v_lshrrev_b32_e32 v13, 3, v5
	v_cmp_eq_u32_e64 s1, 3, v6
	v_mad_u64_u32 v[6:7], null, v0, s15, v[5:6]
	v_cmp_eq_u32_e64 s4, 0, v11
	v_cmp_lt_u32_e64 s5, 1, v11
	v_cmp_lt_u32_e64 s6, 3, v11
	;; [unrolled: 1-line block ×3, first 2 shown]
	v_or_b32_e32 v11, 31, v5
	v_and_b32_e32 v15, 28, v10
	v_lshlrev_b32_e32 v19, 5, v5
	v_cmp_eq_u32_e64 s12, 0, v21
	v_cmp_lt_u32_e64 s13, 1, v21
	v_cmp_lt_u32_e64 s14, 3, v21
	v_and_b32_e32 v21, 28, v13
	v_and_or_b32 v0, 0x380, v14, v10
	v_cmp_eq_u32_e64 s0, 0, v10
	v_cmp_eq_u32_e64 s15, v11, v5
	v_mov_b32_e32 v10, s16
	v_or_b32_e32 v16, 32, v15
	v_or_b32_e32 v17, 64, v15
	;; [unrolled: 1-line block ×3, first 2 shown]
	v_cmp_gt_u32_e64 s9, 8, v5
	v_cmp_lt_u32_e64 s10, 31, v5
	v_cmp_eq_u32_e64 s11, 0, v5
	v_mul_i32_i24_e32 v20, 0xffffffe4, v5
	v_add_nc_u32_e32 v22, 32, v19
	v_lshlrev_b32_e32 v23, 2, v12
	v_add_nc_u32_e32 v24, -4, v21
	v_lshlrev_b32_e32 v25, 2, v0
	v_lshrrev_b32_e32 v26, 5, v6
	s_waitcnt vmcnt(0)
	v_dual_mov_b32 v11, s17 :: v_dual_add_nc_u32 v12, 1, v1
	v_add_nc_u32_e32 v13, 1, v2
	v_add_nc_u32_e32 v5, 1, v3
	;; [unrolled: 1-line block ×3, first 2 shown]
	s_branch .LBB221_2
.LBB221_1:                              ;   in Loop: Header=BB221_2 Depth=1
	v_lshlrev_b32_e32 v0, 2, v37
	v_lshlrev_b32_e32 v5, 2, v35
	;; [unrolled: 1-line block ×3, first 2 shown]
	s_barrier
	buffer_gl0_inv
	v_lshlrev_b32_e32 v7, 2, v33
	ds_store_b32 v0, v12
	ds_store_b32 v5, v32
	;; [unrolled: 1-line block ×3, first 2 shown]
	v_add_nc_u32_e32 v31, v19, v20
	s_add_i32 s23, s23, 1
	ds_store_b32 v7, v30
	s_waitcnt lgkmcnt(0)
	s_barrier
	buffer_gl0_inv
	ds_load_2addr_stride64_b32 v[1:2], v31 offset1:4
	ds_load_2addr_stride64_b32 v[3:4], v31 offset0:8 offset1:12
	s_waitcnt lgkmcnt(0)
	s_barrier
	buffer_gl0_inv
	ds_store_b32 v0, v29
	ds_store_b32 v5, v28
	ds_store_b32 v6, v27
	ds_store_b32 v7, v13
	s_waitcnt lgkmcnt(0)
	s_barrier
	buffer_gl0_inv
	ds_load_2addr_stride64_b32 v[12:13], v31 offset1:4
	ds_load_2addr_stride64_b32 v[5:6], v31 offset0:8 offset1:12
	s_cmp_eq_u32 s23, 10
	v_xor_b32_e32 v1, 0x80000000, v1
	v_xor_b32_e32 v2, 0x80000000, v2
	v_xor_b32_e32 v3, 0x80000000, v3
	v_xor_b32_e32 v4, 0x80000000, v4
	s_cbranch_scc1 .LBB221_20
.LBB221_2:                              ; =>This Loop Header: Depth=1
                                        ;     Child Loop BB221_4 Depth 2
	v_xor_b32_e32 v0, 0x80000000, v1
	v_xor_b32_e32 v1, 0x80000000, v2
	;; [unrolled: 1-line block ×4, first 2 shown]
	s_waitcnt lgkmcnt(1)
	ds_bpermute_b32 v34, v15, v12
	ds_bpermute_b32 v3, v15, v0
	;; [unrolled: 1-line block ×20, first 2 shown]
	s_waitcnt lgkmcnt(20)
	ds_bpermute_b32 v43, v17, v6
	ds_bpermute_b32 v44, v18, v6
	s_waitcnt lgkmcnt(19)
	v_cndmask_b32_e64 v3, v3, v7, s3
	s_mov_b32 s17, 0
	s_waitcnt lgkmcnt(17)
	v_cndmask_b32_e64 v7, v27, v28, s3
	ds_bpermute_b32 v28, v18, v0
	s_waitcnt lgkmcnt(16)
	v_cndmask_b32_e64 v27, v29, v30, s3
	ds_bpermute_b32 v29, v18, v1
	s_waitcnt lgkmcnt(15)
	v_cndmask_b32_e64 v0, v3, v31, s2
	v_cndmask_b32_e64 v1, v7, v32, s2
	ds_bpermute_b32 v7, v18, v13
	s_waitcnt lgkmcnt(15)
	v_cndmask_b32_e64 v3, v27, v33, s2
	ds_bpermute_b32 v13, v18, v2
	ds_bpermute_b32 v27, v15, v5
	;; [unrolled: 1-line block ×7, first 2 shown]
	s_waitcnt lgkmcnt(15)
	v_cndmask_b32_e64 v2, v3, v42, s1
	v_cndmask_b32_e64 v6, v34, v35, s3
	s_waitcnt lgkmcnt(14)
	v_cndmask_b32_e64 v0, v0, v40, s1
	s_waitcnt lgkmcnt(13)
	;; [unrolled: 2-line block ×3, first 2 shown]
	s_barrier
	v_cndmask_b32_e64 v3, v28, v29, s3
	v_cndmask_b32_e64 v28, v36, v37, s3
	;; [unrolled: 1-line block ×4, first 2 shown]
	s_delay_alu instid0(VALU_DEP_4)
	v_cndmask_b32_e64 v3, v3, v13, s2
	v_cndmask_b32_e64 v6, v6, v27, s2
	v_cndmask_b32_e64 v12, v28, v30, s2
	v_cndmask_b32_e64 v13, v29, v31, s2
	v_cndmask_b32_e64 v7, v7, v5, s2
	v_cndmask_b32_e64 v3, v3, v4, s1
	v_cndmask_b32_e64 v4, v6, v32, s1
	v_cndmask_b32_e64 v5, v12, v33, s1
	v_cndmask_b32_e64 v6, v13, v43, s1
	v_cndmask_b32_e64 v7, v7, v44, s1
	s_branch .LBB221_4
.LBB221_3:                              ;   in Loop: Header=BB221_4 Depth=2
	v_lshlrev_b32_e32 v4, 2, v37
	v_lshlrev_b32_e32 v5, 2, v35
	;; [unrolled: 1-line block ×4, first 2 shown]
	s_barrier
	buffer_gl0_inv
	ds_store_b32 v4, v12
	ds_store_b32 v5, v32
	;; [unrolled: 1-line block ×4, first 2 shown]
	s_waitcnt lgkmcnt(0)
	s_barrier
	buffer_gl0_inv
	ds_load_2addr_b32 v[0:1], v25 offset1:32
	ds_load_2addr_b32 v[2:3], v25 offset0:64 offset1:96
	s_waitcnt lgkmcnt(0)
	s_barrier
	buffer_gl0_inv
	ds_store_b32 v4, v29
	ds_store_b32 v5, v28
	;; [unrolled: 1-line block ×4, first 2 shown]
	s_waitcnt lgkmcnt(0)
	s_barrier
	buffer_gl0_inv
	ds_load_2addr_b32 v[4:5], v25 offset1:32
	ds_load_2addr_b32 v[6:7], v25 offset0:64 offset1:96
	s_add_i32 s17, s17, 8
	s_waitcnt lgkmcnt(0)
	s_barrier
	s_cbranch_execz .LBB221_1
.LBB221_4:                              ;   Parent Loop BB221_2 Depth=1
                                        ; =>  This Inner Loop Header: Depth=2
	v_mov_b32_e32 v12, v0
	buffer_gl0_inv
	ds_store_2addr_b64 v19, v[8:9], v[10:11] offset0:4 offset1:5
	ds_store_2addr_b64 v22, v[8:9], v[10:11] offset0:2 offset1:3
	s_waitcnt lgkmcnt(0)
	s_barrier
	v_lshrrev_b32_e32 v13, s17, v12
	buffer_gl0_inv
	; wave barrier
	v_lshlrev_b32_e32 v29, 29, v13
	v_bfe_u32 v0, v12, s17, 1
	v_lshlrev_b32_e32 v28, 30, v13
	v_lshlrev_b32_e32 v30, 28, v13
	;; [unrolled: 1-line block ×4, first 2 shown]
	v_add_co_u32 v0, s16, v0, -1
	s_delay_alu instid0(VALU_DEP_1) | instskip(SKIP_3) | instid1(VALU_DEP_4)
	v_cndmask_b32_e64 v27, 0, 1, s16
	v_cmp_gt_i32_e64 s16, 0, v28
	v_lshlrev_b32_e32 v33, 25, v13
	v_lshlrev_b32_e32 v13, 24, v13
	v_cmp_ne_u32_e32 vcc_lo, 0, v27
	v_not_b32_e32 v27, v28
	v_not_b32_e32 v28, v29
	v_xor_b32_e32 v0, vcc_lo, v0
	s_delay_alu instid0(VALU_DEP_3)
	v_ashrrev_i32_e32 v27, 31, v27
	v_cmp_gt_i32_e32 vcc_lo, 0, v29
	v_not_b32_e32 v29, v30
	v_ashrrev_i32_e32 v28, 31, v28
	v_and_b32_e32 v0, exec_lo, v0
	v_xor_b32_e32 v27, s16, v27
	v_cmp_gt_i32_e64 s16, 0, v30
	v_not_b32_e32 v30, v31
	v_ashrrev_i32_e32 v29, 31, v29
	v_xor_b32_e32 v28, vcc_lo, v28
	v_and_b32_e32 v0, v0, v27
	v_cmp_gt_i32_e32 vcc_lo, 0, v31
	v_not_b32_e32 v27, v32
	v_ashrrev_i32_e32 v30, 31, v30
	v_xor_b32_e32 v29, s16, v29
	v_and_b32_e32 v0, v0, v28
	v_cmp_gt_i32_e64 s16, 0, v32
	v_ashrrev_i32_e32 v27, 31, v27
	v_xor_b32_e32 v30, vcc_lo, v30
	v_mov_b32_e32 v32, v1
	v_not_b32_e32 v28, v33
	v_and_b32_e32 v0, v0, v29
	v_cmp_gt_i32_e32 vcc_lo, 0, v33
	v_xor_b32_e32 v27, s16, v27
	v_bfe_u32 v1, v12, s17, 8
	v_ashrrev_i32_e32 v28, 31, v28
	v_and_b32_e32 v0, v0, v30
	v_dual_mov_b32 v30, v3 :: v_dual_mov_b32 v31, v2
	s_delay_alu instid0(VALU_DEP_4) | instskip(NEXT) | instid1(VALU_DEP_4)
	v_lshl_add_u32 v1, v1, 3, v26
	v_xor_b32_e32 v28, vcc_lo, v28
	s_delay_alu instid0(VALU_DEP_4) | instskip(NEXT) | instid1(VALU_DEP_3)
	v_dual_mov_b32 v27, v6 :: v_dual_and_b32 v0, v0, v27
	v_lshl_add_u32 v34, v1, 2, 32
	s_delay_alu instid0(VALU_DEP_2) | instskip(SKIP_3) | instid1(VALU_DEP_2)
	v_and_b32_e32 v0, v0, v28
	v_mov_b32_e32 v28, v5
	v_not_b32_e32 v29, v13
	v_cmp_gt_i32_e64 s16, 0, v13
	v_ashrrev_i32_e32 v13, 31, v29
	v_mov_b32_e32 v29, v4
	s_delay_alu instid0(VALU_DEP_2) | instskip(NEXT) | instid1(VALU_DEP_1)
	v_xor_b32_e32 v3, s16, v13
	v_dual_mov_b32 v13, v7 :: v_dual_and_b32 v0, v0, v3
	s_delay_alu instid0(VALU_DEP_1) | instskip(SKIP_1) | instid1(VALU_DEP_2)
	v_mbcnt_lo_u32_b32 v33, v0, 0
	v_cmp_ne_u32_e64 s16, 0, v0
	v_cmp_eq_u32_e32 vcc_lo, 0, v33
	s_delay_alu instid0(VALU_DEP_2) | instskip(NEXT) | instid1(SALU_CYCLE_1)
	s_and_b32 s22, s16, vcc_lo
	s_and_saveexec_b32 s16, s22
	s_cbranch_execz .LBB221_6
; %bb.5:                                ;   in Loop: Header=BB221_4 Depth=2
	v_bcnt_u32_b32 v0, v0, 0
	ds_store_b32 v34, v0
.LBB221_6:                              ;   in Loop: Header=BB221_4 Depth=2
	s_or_b32 exec_lo, exec_lo, s16
	v_bfe_u32 v0, v32, s17, 1
	v_lshrrev_b32_e32 v1, s17, v32
	; wave barrier
	s_delay_alu instid0(VALU_DEP_2) | instskip(NEXT) | instid1(VALU_DEP_1)
	v_add_co_u32 v0, s16, v0, -1
	v_cndmask_b32_e64 v2, 0, 1, s16
	s_delay_alu instid0(VALU_DEP_3)
	v_lshlrev_b32_e32 v3, 30, v1
	v_lshlrev_b32_e32 v4, 29, v1
	;; [unrolled: 1-line block ×4, first 2 shown]
	v_cmp_ne_u32_e32 vcc_lo, 0, v2
	v_not_b32_e32 v2, v3
	v_cmp_gt_i32_e64 s16, 0, v3
	v_not_b32_e32 v3, v4
	v_lshlrev_b32_e32 v7, 26, v1
	v_xor_b32_e32 v0, vcc_lo, v0
	v_ashrrev_i32_e32 v2, 31, v2
	v_cmp_gt_i32_e32 vcc_lo, 0, v4
	v_not_b32_e32 v4, v5
	v_ashrrev_i32_e32 v3, 31, v3
	v_and_b32_e32 v0, exec_lo, v0
	v_xor_b32_e32 v2, s16, v2
	v_cmp_gt_i32_e64 s16, 0, v5
	v_not_b32_e32 v5, v6
	v_ashrrev_i32_e32 v4, 31, v4
	v_xor_b32_e32 v3, vcc_lo, v3
	v_and_b32_e32 v0, v0, v2
	v_cmp_gt_i32_e32 vcc_lo, 0, v6
	v_not_b32_e32 v2, v7
	v_ashrrev_i32_e32 v5, 31, v5
	v_xor_b32_e32 v4, s16, v4
	v_and_b32_e32 v0, v0, v3
	v_lshlrev_b32_e32 v3, 25, v1
	v_cmp_gt_i32_e64 s16, 0, v7
	v_ashrrev_i32_e32 v2, 31, v2
	v_xor_b32_e32 v5, vcc_lo, v5
	v_and_b32_e32 v0, v0, v4
	v_not_b32_e32 v6, v3
	v_lshlrev_b32_e32 v1, 24, v1
	v_bfe_u32 v4, v32, s17, 8
	v_xor_b32_e32 v2, s16, v2
	v_and_b32_e32 v0, v0, v5
	v_cmp_gt_i32_e32 vcc_lo, 0, v3
	v_ashrrev_i32_e32 v3, 31, v6
	v_not_b32_e32 v5, v1
	v_lshlrev_b32_e32 v4, 3, v4
	v_and_b32_e32 v0, v0, v2
	s_delay_alu instid0(VALU_DEP_4) | instskip(SKIP_3) | instid1(VALU_DEP_4)
	v_xor_b32_e32 v2, vcc_lo, v3
	v_cmp_gt_i32_e32 vcc_lo, 0, v1
	v_ashrrev_i32_e32 v1, 31, v5
	v_add_lshl_u32 v3, v4, v26, 2
	v_and_b32_e32 v0, v0, v2
	s_delay_alu instid0(VALU_DEP_3) | instskip(SKIP_3) | instid1(VALU_DEP_1)
	v_xor_b32_e32 v1, vcc_lo, v1
	ds_load_b32 v35, v3 offset:32
	v_add_nc_u32_e32 v37, 32, v3
	; wave barrier
	v_and_b32_e32 v0, v0, v1
	v_mbcnt_lo_u32_b32 v36, v0, 0
	v_cmp_ne_u32_e64 s16, 0, v0
	s_delay_alu instid0(VALU_DEP_2) | instskip(NEXT) | instid1(VALU_DEP_2)
	v_cmp_eq_u32_e32 vcc_lo, 0, v36
	s_and_b32 s22, s16, vcc_lo
	s_delay_alu instid0(SALU_CYCLE_1)
	s_and_saveexec_b32 s16, s22
	s_cbranch_execz .LBB221_8
; %bb.7:                                ;   in Loop: Header=BB221_4 Depth=2
	s_waitcnt lgkmcnt(0)
	v_bcnt_u32_b32 v0, v0, v35
	ds_store_b32 v37, v0
.LBB221_8:                              ;   in Loop: Header=BB221_4 Depth=2
	s_or_b32 exec_lo, exec_lo, s16
	v_bfe_u32 v0, v31, s17, 1
	v_lshrrev_b32_e32 v1, s17, v31
	; wave barrier
	s_delay_alu instid0(VALU_DEP_2) | instskip(NEXT) | instid1(VALU_DEP_1)
	v_add_co_u32 v0, s16, v0, -1
	v_cndmask_b32_e64 v2, 0, 1, s16
	s_delay_alu instid0(VALU_DEP_3)
	v_lshlrev_b32_e32 v3, 30, v1
	v_lshlrev_b32_e32 v4, 29, v1
	;; [unrolled: 1-line block ×4, first 2 shown]
	v_cmp_ne_u32_e32 vcc_lo, 0, v2
	v_not_b32_e32 v2, v3
	v_cmp_gt_i32_e64 s16, 0, v3
	v_not_b32_e32 v3, v4
	v_lshlrev_b32_e32 v7, 26, v1
	v_xor_b32_e32 v0, vcc_lo, v0
	v_ashrrev_i32_e32 v2, 31, v2
	v_cmp_gt_i32_e32 vcc_lo, 0, v4
	v_not_b32_e32 v4, v5
	v_ashrrev_i32_e32 v3, 31, v3
	v_and_b32_e32 v0, exec_lo, v0
	v_xor_b32_e32 v2, s16, v2
	v_cmp_gt_i32_e64 s16, 0, v5
	v_not_b32_e32 v5, v6
	v_ashrrev_i32_e32 v4, 31, v4
	v_xor_b32_e32 v3, vcc_lo, v3
	v_and_b32_e32 v0, v0, v2
	v_cmp_gt_i32_e32 vcc_lo, 0, v6
	v_not_b32_e32 v2, v7
	v_ashrrev_i32_e32 v5, 31, v5
	v_xor_b32_e32 v4, s16, v4
	v_and_b32_e32 v0, v0, v3
	v_lshlrev_b32_e32 v3, 25, v1
	v_cmp_gt_i32_e64 s16, 0, v7
	v_ashrrev_i32_e32 v2, 31, v2
	v_xor_b32_e32 v5, vcc_lo, v5
	v_and_b32_e32 v0, v0, v4
	v_not_b32_e32 v6, v3
	v_lshlrev_b32_e32 v1, 24, v1
	v_bfe_u32 v4, v31, s17, 8
	v_xor_b32_e32 v2, s16, v2
	v_and_b32_e32 v0, v0, v5
	v_cmp_gt_i32_e32 vcc_lo, 0, v3
	v_ashrrev_i32_e32 v3, 31, v6
	v_not_b32_e32 v5, v1
	v_lshlrev_b32_e32 v4, 3, v4
	v_and_b32_e32 v0, v0, v2
	s_delay_alu instid0(VALU_DEP_4) | instskip(SKIP_3) | instid1(VALU_DEP_4)
	v_xor_b32_e32 v2, vcc_lo, v3
	v_cmp_gt_i32_e32 vcc_lo, 0, v1
	v_ashrrev_i32_e32 v1, 31, v5
	v_add_lshl_u32 v3, v4, v26, 2
	v_and_b32_e32 v0, v0, v2
	s_delay_alu instid0(VALU_DEP_3) | instskip(SKIP_3) | instid1(VALU_DEP_1)
	v_xor_b32_e32 v1, vcc_lo, v1
	ds_load_b32 v38, v3 offset:32
	v_add_nc_u32_e32 v40, 32, v3
	; wave barrier
	v_and_b32_e32 v0, v0, v1
	v_mbcnt_lo_u32_b32 v39, v0, 0
	v_cmp_ne_u32_e64 s16, 0, v0
	s_delay_alu instid0(VALU_DEP_2) | instskip(NEXT) | instid1(VALU_DEP_2)
	v_cmp_eq_u32_e32 vcc_lo, 0, v39
	s_and_b32 s22, s16, vcc_lo
	s_delay_alu instid0(SALU_CYCLE_1)
	s_and_saveexec_b32 s16, s22
	s_cbranch_execz .LBB221_10
; %bb.9:                                ;   in Loop: Header=BB221_4 Depth=2
	s_waitcnt lgkmcnt(0)
	v_bcnt_u32_b32 v0, v0, v38
	ds_store_b32 v40, v0
.LBB221_10:                             ;   in Loop: Header=BB221_4 Depth=2
	s_or_b32 exec_lo, exec_lo, s16
	v_bfe_u32 v0, v30, s17, 1
	v_lshrrev_b32_e32 v1, s17, v30
	; wave barrier
	s_delay_alu instid0(VALU_DEP_2) | instskip(NEXT) | instid1(VALU_DEP_1)
	v_add_co_u32 v0, s16, v0, -1
	v_cndmask_b32_e64 v2, 0, 1, s16
	s_delay_alu instid0(VALU_DEP_3)
	v_lshlrev_b32_e32 v3, 30, v1
	v_lshlrev_b32_e32 v4, 29, v1
	;; [unrolled: 1-line block ×4, first 2 shown]
	v_cmp_ne_u32_e32 vcc_lo, 0, v2
	v_not_b32_e32 v2, v3
	v_cmp_gt_i32_e64 s16, 0, v3
	v_not_b32_e32 v3, v4
	v_lshlrev_b32_e32 v7, 26, v1
	v_xor_b32_e32 v0, vcc_lo, v0
	v_ashrrev_i32_e32 v2, 31, v2
	v_cmp_gt_i32_e32 vcc_lo, 0, v4
	v_not_b32_e32 v4, v5
	v_ashrrev_i32_e32 v3, 31, v3
	v_and_b32_e32 v0, exec_lo, v0
	v_xor_b32_e32 v2, s16, v2
	v_cmp_gt_i32_e64 s16, 0, v5
	v_not_b32_e32 v5, v6
	v_ashrrev_i32_e32 v4, 31, v4
	v_xor_b32_e32 v3, vcc_lo, v3
	v_and_b32_e32 v0, v0, v2
	v_cmp_gt_i32_e32 vcc_lo, 0, v6
	v_not_b32_e32 v2, v7
	v_ashrrev_i32_e32 v5, 31, v5
	v_xor_b32_e32 v4, s16, v4
	v_and_b32_e32 v0, v0, v3
	v_lshlrev_b32_e32 v3, 25, v1
	v_cmp_gt_i32_e64 s16, 0, v7
	v_ashrrev_i32_e32 v2, 31, v2
	v_xor_b32_e32 v5, vcc_lo, v5
	v_and_b32_e32 v0, v0, v4
	v_not_b32_e32 v6, v3
	v_lshlrev_b32_e32 v1, 24, v1
	v_bfe_u32 v4, v30, s17, 8
	v_xor_b32_e32 v2, s16, v2
	v_and_b32_e32 v0, v0, v5
	v_cmp_gt_i32_e32 vcc_lo, 0, v3
	v_ashrrev_i32_e32 v3, 31, v6
	v_not_b32_e32 v5, v1
	v_lshlrev_b32_e32 v4, 3, v4
	v_and_b32_e32 v0, v0, v2
	s_delay_alu instid0(VALU_DEP_4) | instskip(SKIP_3) | instid1(VALU_DEP_4)
	v_xor_b32_e32 v2, vcc_lo, v3
	v_cmp_gt_i32_e32 vcc_lo, 0, v1
	v_ashrrev_i32_e32 v1, 31, v5
	v_add_lshl_u32 v3, v4, v26, 2
	v_and_b32_e32 v0, v0, v2
	s_delay_alu instid0(VALU_DEP_3) | instskip(SKIP_3) | instid1(VALU_DEP_1)
	v_xor_b32_e32 v1, vcc_lo, v1
	ds_load_b32 v41, v3 offset:32
	v_add_nc_u32_e32 v43, 32, v3
	; wave barrier
	v_and_b32_e32 v0, v0, v1
	v_mbcnt_lo_u32_b32 v42, v0, 0
	v_cmp_ne_u32_e64 s16, 0, v0
	s_delay_alu instid0(VALU_DEP_2) | instskip(NEXT) | instid1(VALU_DEP_2)
	v_cmp_eq_u32_e32 vcc_lo, 0, v42
	s_and_b32 s22, s16, vcc_lo
	s_delay_alu instid0(SALU_CYCLE_1)
	s_and_saveexec_b32 s16, s22
	s_cbranch_execz .LBB221_12
; %bb.11:                               ;   in Loop: Header=BB221_4 Depth=2
	s_waitcnt lgkmcnt(0)
	v_bcnt_u32_b32 v0, v0, v41
	ds_store_b32 v43, v0
.LBB221_12:                             ;   in Loop: Header=BB221_4 Depth=2
	s_or_b32 exec_lo, exec_lo, s16
	; wave barrier
	s_waitcnt lgkmcnt(0)
	s_barrier
	buffer_gl0_inv
	ds_load_2addr_b64 v[4:7], v19 offset0:4 offset1:5
	ds_load_2addr_b64 v[0:3], v22 offset0:2 offset1:3
	s_waitcnt lgkmcnt(1)
	v_add_nc_u32_e32 v44, v5, v4
	s_delay_alu instid0(VALU_DEP_1) | instskip(SKIP_1) | instid1(VALU_DEP_1)
	v_add3_u32 v44, v44, v6, v7
	s_waitcnt lgkmcnt(0)
	v_add3_u32 v44, v44, v0, v1
	s_delay_alu instid0(VALU_DEP_1) | instskip(NEXT) | instid1(VALU_DEP_1)
	v_add3_u32 v3, v44, v2, v3
	v_mov_b32_dpp v44, v3 row_shr:1 row_mask:0xf bank_mask:0xf
	s_delay_alu instid0(VALU_DEP_1) | instskip(NEXT) | instid1(VALU_DEP_1)
	v_cndmask_b32_e64 v44, v44, 0, s4
	v_add_nc_u32_e32 v3, v44, v3
	s_delay_alu instid0(VALU_DEP_1) | instskip(NEXT) | instid1(VALU_DEP_1)
	v_mov_b32_dpp v44, v3 row_shr:2 row_mask:0xf bank_mask:0xf
	v_cndmask_b32_e64 v44, 0, v44, s5
	s_delay_alu instid0(VALU_DEP_1) | instskip(NEXT) | instid1(VALU_DEP_1)
	v_add_nc_u32_e32 v3, v3, v44
	v_mov_b32_dpp v44, v3 row_shr:4 row_mask:0xf bank_mask:0xf
	s_delay_alu instid0(VALU_DEP_1) | instskip(NEXT) | instid1(VALU_DEP_1)
	v_cndmask_b32_e64 v44, 0, v44, s6
	v_add_nc_u32_e32 v3, v3, v44
	s_delay_alu instid0(VALU_DEP_1) | instskip(NEXT) | instid1(VALU_DEP_1)
	v_mov_b32_dpp v44, v3 row_shr:8 row_mask:0xf bank_mask:0xf
	v_cndmask_b32_e64 v44, 0, v44, s7
	s_delay_alu instid0(VALU_DEP_1) | instskip(SKIP_3) | instid1(VALU_DEP_1)
	v_add_nc_u32_e32 v3, v3, v44
	ds_swizzle_b32 v44, v3 offset:swizzle(BROADCAST,32,15)
	s_waitcnt lgkmcnt(0)
	v_cndmask_b32_e64 v44, v44, 0, s8
	v_add_nc_u32_e32 v3, v3, v44
	s_and_saveexec_b32 s16, s15
	s_cbranch_execz .LBB221_14
; %bb.13:                               ;   in Loop: Header=BB221_4 Depth=2
	ds_store_b32 v21, v3
.LBB221_14:                             ;   in Loop: Header=BB221_4 Depth=2
	s_or_b32 exec_lo, exec_lo, s16
	s_waitcnt lgkmcnt(0)
	s_barrier
	buffer_gl0_inv
	s_and_saveexec_b32 s16, s9
	s_cbranch_execz .LBB221_16
; %bb.15:                               ;   in Loop: Header=BB221_4 Depth=2
	v_add_nc_u32_e32 v44, v19, v20
	ds_load_b32 v45, v44
	s_waitcnt lgkmcnt(0)
	v_mov_b32_dpp v46, v45 row_shr:1 row_mask:0xf bank_mask:0xf
	s_delay_alu instid0(VALU_DEP_1) | instskip(NEXT) | instid1(VALU_DEP_1)
	v_cndmask_b32_e64 v46, v46, 0, s12
	v_add_nc_u32_e32 v45, v46, v45
	s_delay_alu instid0(VALU_DEP_1) | instskip(NEXT) | instid1(VALU_DEP_1)
	v_mov_b32_dpp v46, v45 row_shr:2 row_mask:0xf bank_mask:0xf
	v_cndmask_b32_e64 v46, 0, v46, s13
	s_delay_alu instid0(VALU_DEP_1) | instskip(NEXT) | instid1(VALU_DEP_1)
	v_add_nc_u32_e32 v45, v45, v46
	v_mov_b32_dpp v46, v45 row_shr:4 row_mask:0xf bank_mask:0xf
	s_delay_alu instid0(VALU_DEP_1) | instskip(NEXT) | instid1(VALU_DEP_1)
	v_cndmask_b32_e64 v46, 0, v46, s14
	v_add_nc_u32_e32 v45, v45, v46
	ds_store_b32 v44, v45
.LBB221_16:                             ;   in Loop: Header=BB221_4 Depth=2
	s_or_b32 exec_lo, exec_lo, s16
	v_mov_b32_e32 v44, 0
	s_waitcnt lgkmcnt(0)
	s_barrier
	buffer_gl0_inv
	s_and_saveexec_b32 s16, s10
	s_cbranch_execz .LBB221_18
; %bb.17:                               ;   in Loop: Header=BB221_4 Depth=2
	ds_load_b32 v44, v24
.LBB221_18:                             ;   in Loop: Header=BB221_4 Depth=2
	s_or_b32 exec_lo, exec_lo, s16
	s_waitcnt lgkmcnt(0)
	v_add_nc_u32_e32 v3, v44, v3
	s_cmp_gt_u32 s17, 23
	ds_bpermute_b32 v3, v23, v3
	s_waitcnt lgkmcnt(0)
	v_cndmask_b32_e64 v3, v3, v44, s0
	s_delay_alu instid0(VALU_DEP_1) | instskip(NEXT) | instid1(VALU_DEP_1)
	v_cndmask_b32_e64 v3, v3, 0, s11
	v_add_nc_u32_e32 v4, v3, v4
	s_delay_alu instid0(VALU_DEP_1) | instskip(NEXT) | instid1(VALU_DEP_1)
	v_add_nc_u32_e32 v5, v4, v5
	v_add_nc_u32_e32 v6, v5, v6
	s_delay_alu instid0(VALU_DEP_1) | instskip(NEXT) | instid1(VALU_DEP_1)
	v_add_nc_u32_e32 v44, v6, v7
	v_add_nc_u32_e32 v45, v44, v0
	s_delay_alu instid0(VALU_DEP_1) | instskip(NEXT) | instid1(VALU_DEP_1)
	v_add_nc_u32_e32 v0, v45, v1
	v_add_nc_u32_e32 v1, v0, v2
	ds_store_2addr_b64 v19, v[3:4], v[5:6] offset0:4 offset1:5
	ds_store_2addr_b64 v22, v[44:45], v[0:1] offset0:2 offset1:3
	s_waitcnt lgkmcnt(0)
	s_barrier
	buffer_gl0_inv
	ds_load_b32 v0, v34
	ds_load_b32 v1, v37
	;; [unrolled: 1-line block ×4, first 2 shown]
	s_waitcnt lgkmcnt(3)
	v_add_nc_u32_e32 v37, v0, v33
	s_waitcnt lgkmcnt(2)
	v_add3_u32 v35, v36, v35, v1
	s_waitcnt lgkmcnt(1)
	v_add3_u32 v34, v39, v38, v2
	;; [unrolled: 2-line block ×3, first 2 shown]
	s_cbranch_scc0 .LBB221_3
; %bb.19:                               ;   in Loop: Header=BB221_2 Depth=1
                                        ; implicit-def: $vgpr3
                                        ; implicit-def: $vgpr1
                                        ; implicit-def: $vgpr7
                                        ; implicit-def: $vgpr5
                                        ; implicit-def: $sgpr17
	s_branch .LBB221_1
.LBB221_20:
	s_waitcnt lgkmcnt(1)
	v_add_nc_u32_e32 v0, v1, v12
	v_add_nc_u32_e32 v1, v2, v13
	s_waitcnt lgkmcnt(0)
	v_add_nc_u32_e32 v2, v3, v5
	s_add_u32 s0, s18, s20
	v_add_nc_u32_e32 v3, v4, v6
	s_addc_u32 s1, s19, s21
	s_clause 0x3
	global_store_b32 v14, v0, s[0:1]
	global_store_b32 v14, v1, s[0:1] offset:1024
	global_store_b32 v14, v2, s[0:1] offset:2048
	;; [unrolled: 1-line block ×3, first 2 shown]
	s_nop 0
	s_sendmsg sendmsg(MSG_DEALLOC_VGPRS)
	s_endpgm
	.section	.rodata,"a",@progbits
	.p2align	6, 0x0
	.amdhsa_kernel _Z17sort_pairs_kernelI22helper_blocked_stripediLj256ELj4ELj10EEvPKT0_PS1_
		.amdhsa_group_segment_fixed_size 8224
		.amdhsa_private_segment_fixed_size 0
		.amdhsa_kernarg_size 272
		.amdhsa_user_sgpr_count 15
		.amdhsa_user_sgpr_dispatch_ptr 0
		.amdhsa_user_sgpr_queue_ptr 0
		.amdhsa_user_sgpr_kernarg_segment_ptr 1
		.amdhsa_user_sgpr_dispatch_id 0
		.amdhsa_user_sgpr_private_segment_size 0
		.amdhsa_wavefront_size32 1
		.amdhsa_uses_dynamic_stack 0
		.amdhsa_enable_private_segment 0
		.amdhsa_system_sgpr_workgroup_id_x 1
		.amdhsa_system_sgpr_workgroup_id_y 0
		.amdhsa_system_sgpr_workgroup_id_z 0
		.amdhsa_system_sgpr_workgroup_info 0
		.amdhsa_system_vgpr_workitem_id 2
		.amdhsa_next_free_vgpr 47
		.amdhsa_next_free_sgpr 24
		.amdhsa_reserve_vcc 1
		.amdhsa_float_round_mode_32 0
		.amdhsa_float_round_mode_16_64 0
		.amdhsa_float_denorm_mode_32 3
		.amdhsa_float_denorm_mode_16_64 3
		.amdhsa_dx10_clamp 1
		.amdhsa_ieee_mode 1
		.amdhsa_fp16_overflow 0
		.amdhsa_workgroup_processor_mode 1
		.amdhsa_memory_ordered 1
		.amdhsa_forward_progress 0
		.amdhsa_shared_vgpr_count 0
		.amdhsa_exception_fp_ieee_invalid_op 0
		.amdhsa_exception_fp_denorm_src 0
		.amdhsa_exception_fp_ieee_div_zero 0
		.amdhsa_exception_fp_ieee_overflow 0
		.amdhsa_exception_fp_ieee_underflow 0
		.amdhsa_exception_fp_ieee_inexact 0
		.amdhsa_exception_int_div_zero 0
	.end_amdhsa_kernel
	.section	.text._Z17sort_pairs_kernelI22helper_blocked_stripediLj256ELj4ELj10EEvPKT0_PS1_,"axG",@progbits,_Z17sort_pairs_kernelI22helper_blocked_stripediLj256ELj4ELj10EEvPKT0_PS1_,comdat
.Lfunc_end221:
	.size	_Z17sort_pairs_kernelI22helper_blocked_stripediLj256ELj4ELj10EEvPKT0_PS1_, .Lfunc_end221-_Z17sort_pairs_kernelI22helper_blocked_stripediLj256ELj4ELj10EEvPKT0_PS1_
                                        ; -- End function
	.section	.AMDGPU.csdata,"",@progbits
; Kernel info:
; codeLenInByte = 3424
; NumSgprs: 26
; NumVgprs: 47
; ScratchSize: 0
; MemoryBound: 0
; FloatMode: 240
; IeeeMode: 1
; LDSByteSize: 8224 bytes/workgroup (compile time only)
; SGPRBlocks: 3
; VGPRBlocks: 5
; NumSGPRsForWavesPerEU: 26
; NumVGPRsForWavesPerEU: 47
; Occupancy: 16
; WaveLimiterHint : 1
; COMPUTE_PGM_RSRC2:SCRATCH_EN: 0
; COMPUTE_PGM_RSRC2:USER_SGPR: 15
; COMPUTE_PGM_RSRC2:TRAP_HANDLER: 0
; COMPUTE_PGM_RSRC2:TGID_X_EN: 1
; COMPUTE_PGM_RSRC2:TGID_Y_EN: 0
; COMPUTE_PGM_RSRC2:TGID_Z_EN: 0
; COMPUTE_PGM_RSRC2:TIDIG_COMP_CNT: 2
	.section	.text._Z16sort_keys_kernelI22helper_blocked_stripediLj256ELj8ELj10EEvPKT0_PS1_,"axG",@progbits,_Z16sort_keys_kernelI22helper_blocked_stripediLj256ELj8ELj10EEvPKT0_PS1_,comdat
	.protected	_Z16sort_keys_kernelI22helper_blocked_stripediLj256ELj8ELj10EEvPKT0_PS1_ ; -- Begin function _Z16sort_keys_kernelI22helper_blocked_stripediLj256ELj8ELj10EEvPKT0_PS1_
	.globl	_Z16sort_keys_kernelI22helper_blocked_stripediLj256ELj8ELj10EEvPKT0_PS1_
	.p2align	8
	.type	_Z16sort_keys_kernelI22helper_blocked_stripediLj256ELj8ELj10EEvPKT0_PS1_,@function
_Z16sort_keys_kernelI22helper_blocked_stripediLj256ELj8ELj10EEvPKT0_PS1_: ; @_Z16sort_keys_kernelI22helper_blocked_stripediLj256ELj8ELj10EEvPKT0_PS1_
; %bb.0:
	s_clause 0x1
	s_load_b128 s[16:19], s[0:1], 0x0
	s_load_b32 s2, s[0:1], 0x1c
	s_mov_b32 s21, 0
	s_lshl_b32 s20, s15, 11
	v_bfe_u32 v10, v0, 10, 10
	s_lshl_b64 s[14:15], s[20:21], 2
	s_mov_b32 s20, s21
	v_and_b32_e32 v9, 0x3ff, v0
	v_bfe_u32 v0, v0, 20, 10
	v_mbcnt_lo_u32_b32 v12, -1, 0
	s_delay_alu instid0(VALU_DEP_3) | instskip(NEXT) | instid1(VALU_DEP_2)
	v_lshlrev_b32_e32 v14, 5, v9
	v_cmp_eq_u32_e64 s8, 0, v12
	s_waitcnt lgkmcnt(0)
	s_add_u32 s0, s16, s14
	s_addc_u32 s1, s17, s15
	s_mov_b32 s16, s21
	s_clause 0x1
	global_load_b128 v[5:8], v14, s[0:1]
	global_load_b128 v[1:4], v14, s[0:1] offset:16
	s_lshr_b32 s0, s2, 16
	s_mov_b32 s17, s21
	v_mad_u32_u24 v0, v0, s0, v10
	s_and_b32 s0, s2, 0xffff
	v_lshlrev_b32_e32 v15, 3, v9
	s_delay_alu instid0(VALU_DEP_2) | instskip(NEXT) | instid1(VALU_DEP_2)
	v_mad_u64_u32 v[10:11], null, v0, s0, v[9:10]
	v_and_or_b32 v0, 0x700, v15, v12
	v_and_b32_e32 v11, 15, v12
	s_delay_alu instid0(VALU_DEP_1) | instskip(NEXT) | instid1(VALU_DEP_4)
	v_cmp_eq_u32_e64 s0, 0, v11
	v_lshrrev_b32_e32 v18, 5, v10
	v_add_nc_u32_e32 v10, -1, v12
	v_cmp_lt_u32_e64 s1, 1, v11
	v_cmp_lt_u32_e64 s2, 3, v11
	;; [unrolled: 1-line block ×3, first 2 shown]
	s_delay_alu instid0(VALU_DEP_4) | instskip(SKIP_1) | instid1(VALU_DEP_1)
	v_cmp_gt_i32_e32 vcc_lo, 0, v10
	v_and_b32_e32 v13, 0xe0, v9
	v_or_b32_e32 v16, v12, v13
	s_delay_alu instid0(VALU_DEP_1) | instskip(SKIP_2) | instid1(VALU_DEP_1)
	v_lshlrev_b32_e32 v15, 5, v16
	v_lshlrev_b32_e32 v16, 2, v0
	v_and_b32_e32 v0, 16, v12
	v_cmp_eq_u32_e64 s4, 0, v0
	v_cndmask_b32_e32 v0, v10, v12, vcc_lo
	v_lshrrev_b32_e32 v10, 3, v9
	v_or_b32_e32 v13, 31, v13
	s_delay_alu instid0(VALU_DEP_3) | instskip(SKIP_1) | instid1(VALU_DEP_4)
	v_lshlrev_b32_e32 v19, 2, v0
	v_and_b32_e32 v0, 7, v12
	v_and_b32_e32 v20, 28, v10
	v_mov_b32_e32 v10, s20
	v_cmp_eq_u32_e64 s5, v13, v9
	v_dual_mov_b32 v12, s16 :: v_dual_mov_b32 v13, s17
	v_cmp_gt_u32_e64 s6, 8, v9
	v_cmp_lt_u32_e64 s7, 31, v9
	v_cmp_eq_u32_e64 s9, 0, v9
	v_mul_i32_i24_e32 v21, 0xffffffe4, v9
	v_cmp_eq_u32_e64 s10, 0, v0
	v_cmp_lt_u32_e64 s11, 1, v0
	v_cmp_lt_u32_e64 s12, 3, v0
	v_dual_mov_b32 v11, s21 :: v_dual_add_nc_u32 v22, -4, v20
	v_add_nc_u32_e32 v17, 32, v14
	s_branch .LBB222_2
.LBB222_1:                              ;   in Loop: Header=BB222_2 Depth=1
	v_lshlrev_b32_e32 v0, 2, v40
	v_lshlrev_b32_e32 v1, 2, v37
	s_barrier
	v_lshlrev_b32_e32 v2, 2, v35
	buffer_gl0_inv
	ds_store_b32 v0, v8
	ds_store_b32 v1, v29
	v_lshlrev_b32_e32 v0, 2, v34
	v_lshlrev_b32_e32 v1, 2, v33
	ds_store_b32 v2, v28
	v_add_nc_u32_e32 v4, v14, v21
	v_lshlrev_b32_e32 v2, 2, v32
	ds_store_b32 v0, v27
	v_lshlrev_b32_e32 v0, 2, v30
	v_lshlrev_b32_e32 v3, 2, v31
	ds_store_b32 v1, v26
	ds_store_b32 v2, v25
	;; [unrolled: 1-line block ×4, first 2 shown]
	s_waitcnt lgkmcnt(0)
	s_barrier
	buffer_gl0_inv
	ds_load_2addr_stride64_b32 v[0:1], v4 offset1:4
	ds_load_2addr_stride64_b32 v[2:3], v4 offset0:8 offset1:12
	ds_load_2addr_stride64_b32 v[23:24], v4 offset0:16 offset1:20
	;; [unrolled: 1-line block ×3, first 2 shown]
	s_add_i32 s21, s21, 1
	s_delay_alu instid0(SALU_CYCLE_1)
	s_cmp_eq_u32 s21, 10
	s_waitcnt lgkmcnt(3)
	v_xor_b32_e32 v5, 0x80000000, v0
	v_xor_b32_e32 v6, 0x80000000, v1
	s_waitcnt lgkmcnt(2)
	v_xor_b32_e32 v7, 0x80000000, v2
	v_xor_b32_e32 v8, 0x80000000, v3
	;; [unrolled: 3-line block ×4, first 2 shown]
	s_cbranch_scc1 .LBB222_28
.LBB222_2:                              ; =>This Loop Header: Depth=1
                                        ;     Child Loop BB222_4 Depth 2
	s_waitcnt vmcnt(1)
	v_xor_b32_e32 v5, 0x80000000, v5
	v_xor_b32_e32 v6, 0x80000000, v6
	;; [unrolled: 1-line block ×4, first 2 shown]
	s_waitcnt vmcnt(0)
	v_xor_b32_e32 v0, 0x80000000, v1
	v_xor_b32_e32 v1, 0x80000000, v2
	;; [unrolled: 1-line block ×4, first 2 shown]
	ds_store_2addr_b64 v15, v[5:6], v[7:8] offset1:1
	ds_store_2addr_b64 v15, v[0:1], v[2:3] offset0:2 offset1:3
	; wave barrier
	ds_load_2addr_b32 v[0:1], v16 offset1:32
	ds_load_2addr_b32 v[2:3], v16 offset0:64 offset1:96
	ds_load_2addr_b32 v[4:5], v16 offset0:128 offset1:160
	;; [unrolled: 1-line block ×3, first 2 shown]
	s_mov_b32 s16, 0
	s_waitcnt lgkmcnt(0)
	s_barrier
	buffer_gl0_inv
	; wave barrier
	s_barrier
	s_branch .LBB222_4
.LBB222_3:                              ;   in Loop: Header=BB222_4 Depth=2
	v_lshlrev_b32_e32 v0, 2, v40
	v_lshlrev_b32_e32 v1, 2, v37
	;; [unrolled: 1-line block ×3, first 2 shown]
	s_barrier
	buffer_gl0_inv
	ds_store_b32 v0, v8
	ds_store_b32 v1, v29
	;; [unrolled: 1-line block ×3, first 2 shown]
	v_lshlrev_b32_e32 v0, 2, v34
	v_lshlrev_b32_e32 v1, 2, v33
	;; [unrolled: 1-line block ×5, first 2 shown]
	ds_store_b32 v0, v27
	ds_store_b32 v1, v26
	;; [unrolled: 1-line block ×5, first 2 shown]
	s_waitcnt lgkmcnt(0)
	s_barrier
	buffer_gl0_inv
	ds_load_2addr_b32 v[0:1], v16 offset1:32
	ds_load_2addr_b32 v[2:3], v16 offset0:64 offset1:96
	ds_load_2addr_b32 v[4:5], v16 offset0:128 offset1:160
	;; [unrolled: 1-line block ×3, first 2 shown]
	s_add_i32 s16, s16, 8
	s_waitcnt lgkmcnt(0)
	s_barrier
	s_cbranch_execz .LBB222_1
.LBB222_4:                              ;   Parent Loop BB222_2 Depth=1
                                        ; =>  This Inner Loop Header: Depth=2
	v_mov_b32_e32 v8, v0
	buffer_gl0_inv
	ds_store_2addr_b64 v14, v[10:11], v[12:13] offset0:4 offset1:5
	ds_store_2addr_b64 v17, v[10:11], v[12:13] offset0:2 offset1:3
	s_waitcnt lgkmcnt(0)
	s_barrier
	v_lshrrev_b32_e32 v23, s16, v8
	buffer_gl0_inv
	; wave barrier
	v_lshlrev_b32_e32 v25, 30, v23
	v_bfe_u32 v0, v8, s16, 1
	v_lshlrev_b32_e32 v26, 29, v23
	v_lshlrev_b32_e32 v27, 28, v23
	v_lshlrev_b32_e32 v28, 27, v23
	v_lshlrev_b32_e32 v29, 26, v23
	v_add_co_u32 v0, s13, v0, -1
	s_delay_alu instid0(VALU_DEP_1) | instskip(SKIP_3) | instid1(VALU_DEP_4)
	v_cndmask_b32_e64 v24, 0, 1, s13
	v_cmp_gt_i32_e64 s13, 0, v25
	v_lshlrev_b32_e32 v30, 25, v23
	v_lshlrev_b32_e32 v23, 24, v23
	v_cmp_ne_u32_e32 vcc_lo, 0, v24
	v_not_b32_e32 v24, v25
	v_not_b32_e32 v25, v26
	v_xor_b32_e32 v0, vcc_lo, v0
	s_delay_alu instid0(VALU_DEP_3)
	v_ashrrev_i32_e32 v24, 31, v24
	v_cmp_gt_i32_e32 vcc_lo, 0, v26
	v_not_b32_e32 v26, v27
	v_ashrrev_i32_e32 v25, 31, v25
	v_and_b32_e32 v0, exec_lo, v0
	v_xor_b32_e32 v24, s13, v24
	v_cmp_gt_i32_e64 s13, 0, v27
	v_not_b32_e32 v27, v28
	v_ashrrev_i32_e32 v26, 31, v26
	v_xor_b32_e32 v25, vcc_lo, v25
	v_and_b32_e32 v0, v0, v24
	v_cmp_gt_i32_e32 vcc_lo, 0, v28
	v_ashrrev_i32_e32 v27, 31, v27
	v_xor_b32_e32 v26, s13, v26
	v_not_b32_e32 v24, v29
	v_and_b32_e32 v0, v0, v25
	v_cmp_gt_i32_e64 s13, 0, v29
	v_mov_b32_e32 v29, v1
	v_xor_b32_e32 v27, vcc_lo, v27
	v_ashrrev_i32_e32 v24, 31, v24
	v_and_b32_e32 v0, v0, v26
	v_mov_b32_e32 v28, v2
	v_not_b32_e32 v26, v23
	v_bfe_u32 v1, v8, s16, 8
	v_xor_b32_e32 v24, s13, v24
	v_dual_mov_b32 v27, v3 :: v_dual_and_b32 v0, v0, v27
	v_not_b32_e32 v25, v30
	v_cmp_gt_i32_e32 vcc_lo, 0, v30
	v_cmp_gt_i32_e64 s13, 0, v23
	v_ashrrev_i32_e32 v26, 31, v26
	v_and_b32_e32 v0, v0, v24
	v_ashrrev_i32_e32 v25, 31, v25
	v_mov_b32_e32 v23, v7
	v_lshl_add_u32 v1, v1, 3, v18
	v_xor_b32_e32 v7, s13, v26
	v_mov_b32_e32 v24, v6
	v_xor_b32_e32 v25, vcc_lo, v25
	v_mov_b32_e32 v26, v4
	v_lshl_add_u32 v31, v1, 2, 32
	s_delay_alu instid0(VALU_DEP_3) | instskip(NEXT) | instid1(VALU_DEP_1)
	v_dual_mov_b32 v25, v5 :: v_dual_and_b32 v0, v0, v25
	v_and_b32_e32 v0, v0, v7
	s_delay_alu instid0(VALU_DEP_1) | instskip(SKIP_1) | instid1(VALU_DEP_2)
	v_mbcnt_lo_u32_b32 v30, v0, 0
	v_cmp_ne_u32_e64 s13, 0, v0
	v_cmp_eq_u32_e32 vcc_lo, 0, v30
	s_delay_alu instid0(VALU_DEP_2) | instskip(NEXT) | instid1(SALU_CYCLE_1)
	s_and_b32 s17, s13, vcc_lo
	s_and_saveexec_b32 s13, s17
	s_cbranch_execz .LBB222_6
; %bb.5:                                ;   in Loop: Header=BB222_4 Depth=2
	v_bcnt_u32_b32 v0, v0, 0
	ds_store_b32 v31, v0
.LBB222_6:                              ;   in Loop: Header=BB222_4 Depth=2
	s_or_b32 exec_lo, exec_lo, s13
	v_bfe_u32 v0, v29, s16, 1
	v_lshrrev_b32_e32 v1, s16, v29
	; wave barrier
	s_delay_alu instid0(VALU_DEP_2) | instskip(NEXT) | instid1(VALU_DEP_1)
	v_add_co_u32 v0, s13, v0, -1
	v_cndmask_b32_e64 v2, 0, 1, s13
	s_delay_alu instid0(VALU_DEP_3)
	v_lshlrev_b32_e32 v3, 30, v1
	v_lshlrev_b32_e32 v4, 29, v1
	;; [unrolled: 1-line block ×4, first 2 shown]
	v_cmp_ne_u32_e32 vcc_lo, 0, v2
	v_not_b32_e32 v2, v3
	v_cmp_gt_i32_e64 s13, 0, v3
	v_not_b32_e32 v3, v4
	v_lshlrev_b32_e32 v7, 26, v1
	v_xor_b32_e32 v0, vcc_lo, v0
	v_ashrrev_i32_e32 v2, 31, v2
	v_cmp_gt_i32_e32 vcc_lo, 0, v4
	v_not_b32_e32 v4, v5
	v_ashrrev_i32_e32 v3, 31, v3
	v_and_b32_e32 v0, exec_lo, v0
	v_xor_b32_e32 v2, s13, v2
	v_cmp_gt_i32_e64 s13, 0, v5
	v_not_b32_e32 v5, v6
	v_ashrrev_i32_e32 v4, 31, v4
	v_xor_b32_e32 v3, vcc_lo, v3
	v_and_b32_e32 v0, v0, v2
	v_cmp_gt_i32_e32 vcc_lo, 0, v6
	v_not_b32_e32 v2, v7
	v_ashrrev_i32_e32 v5, 31, v5
	v_xor_b32_e32 v4, s13, v4
	v_and_b32_e32 v0, v0, v3
	v_lshlrev_b32_e32 v3, 25, v1
	v_cmp_gt_i32_e64 s13, 0, v7
	v_ashrrev_i32_e32 v2, 31, v2
	v_xor_b32_e32 v5, vcc_lo, v5
	v_and_b32_e32 v0, v0, v4
	v_not_b32_e32 v6, v3
	v_lshlrev_b32_e32 v1, 24, v1
	v_bfe_u32 v4, v29, s16, 8
	v_xor_b32_e32 v2, s13, v2
	v_and_b32_e32 v0, v0, v5
	v_cmp_gt_i32_e32 vcc_lo, 0, v3
	v_ashrrev_i32_e32 v3, 31, v6
	v_not_b32_e32 v5, v1
	v_lshlrev_b32_e32 v4, 3, v4
	v_and_b32_e32 v0, v0, v2
	s_delay_alu instid0(VALU_DEP_4) | instskip(SKIP_3) | instid1(VALU_DEP_4)
	v_xor_b32_e32 v2, vcc_lo, v3
	v_cmp_gt_i32_e32 vcc_lo, 0, v1
	v_ashrrev_i32_e32 v1, 31, v5
	v_add_lshl_u32 v3, v4, v18, 2
	v_and_b32_e32 v0, v0, v2
	s_delay_alu instid0(VALU_DEP_3) | instskip(SKIP_3) | instid1(VALU_DEP_1)
	v_xor_b32_e32 v1, vcc_lo, v1
	ds_load_b32 v32, v3 offset:32
	v_add_nc_u32_e32 v34, 32, v3
	; wave barrier
	v_and_b32_e32 v0, v0, v1
	v_mbcnt_lo_u32_b32 v33, v0, 0
	v_cmp_ne_u32_e64 s13, 0, v0
	s_delay_alu instid0(VALU_DEP_2) | instskip(NEXT) | instid1(VALU_DEP_2)
	v_cmp_eq_u32_e32 vcc_lo, 0, v33
	s_and_b32 s17, s13, vcc_lo
	s_delay_alu instid0(SALU_CYCLE_1)
	s_and_saveexec_b32 s13, s17
	s_cbranch_execz .LBB222_8
; %bb.7:                                ;   in Loop: Header=BB222_4 Depth=2
	s_waitcnt lgkmcnt(0)
	v_bcnt_u32_b32 v0, v0, v32
	ds_store_b32 v34, v0
.LBB222_8:                              ;   in Loop: Header=BB222_4 Depth=2
	s_or_b32 exec_lo, exec_lo, s13
	v_bfe_u32 v0, v28, s16, 1
	v_lshrrev_b32_e32 v1, s16, v28
	; wave barrier
	s_delay_alu instid0(VALU_DEP_2) | instskip(NEXT) | instid1(VALU_DEP_1)
	v_add_co_u32 v0, s13, v0, -1
	v_cndmask_b32_e64 v2, 0, 1, s13
	s_delay_alu instid0(VALU_DEP_3)
	v_lshlrev_b32_e32 v3, 30, v1
	v_lshlrev_b32_e32 v4, 29, v1
	;; [unrolled: 1-line block ×4, first 2 shown]
	v_cmp_ne_u32_e32 vcc_lo, 0, v2
	v_not_b32_e32 v2, v3
	v_cmp_gt_i32_e64 s13, 0, v3
	v_not_b32_e32 v3, v4
	v_lshlrev_b32_e32 v7, 26, v1
	v_xor_b32_e32 v0, vcc_lo, v0
	v_ashrrev_i32_e32 v2, 31, v2
	v_cmp_gt_i32_e32 vcc_lo, 0, v4
	v_not_b32_e32 v4, v5
	v_ashrrev_i32_e32 v3, 31, v3
	v_and_b32_e32 v0, exec_lo, v0
	v_xor_b32_e32 v2, s13, v2
	v_cmp_gt_i32_e64 s13, 0, v5
	v_not_b32_e32 v5, v6
	v_ashrrev_i32_e32 v4, 31, v4
	v_xor_b32_e32 v3, vcc_lo, v3
	v_and_b32_e32 v0, v0, v2
	v_cmp_gt_i32_e32 vcc_lo, 0, v6
	v_not_b32_e32 v2, v7
	v_ashrrev_i32_e32 v5, 31, v5
	v_xor_b32_e32 v4, s13, v4
	v_and_b32_e32 v0, v0, v3
	v_lshlrev_b32_e32 v3, 25, v1
	v_cmp_gt_i32_e64 s13, 0, v7
	v_ashrrev_i32_e32 v2, 31, v2
	v_xor_b32_e32 v5, vcc_lo, v5
	v_and_b32_e32 v0, v0, v4
	v_not_b32_e32 v6, v3
	v_lshlrev_b32_e32 v1, 24, v1
	v_bfe_u32 v4, v28, s16, 8
	v_xor_b32_e32 v2, s13, v2
	v_and_b32_e32 v0, v0, v5
	v_cmp_gt_i32_e32 vcc_lo, 0, v3
	v_ashrrev_i32_e32 v3, 31, v6
	v_not_b32_e32 v5, v1
	v_lshlrev_b32_e32 v4, 3, v4
	v_and_b32_e32 v0, v0, v2
	s_delay_alu instid0(VALU_DEP_4) | instskip(SKIP_3) | instid1(VALU_DEP_4)
	v_xor_b32_e32 v2, vcc_lo, v3
	v_cmp_gt_i32_e32 vcc_lo, 0, v1
	v_ashrrev_i32_e32 v1, 31, v5
	v_add_lshl_u32 v3, v4, v18, 2
	v_and_b32_e32 v0, v0, v2
	s_delay_alu instid0(VALU_DEP_3) | instskip(SKIP_3) | instid1(VALU_DEP_1)
	v_xor_b32_e32 v1, vcc_lo, v1
	ds_load_b32 v35, v3 offset:32
	v_add_nc_u32_e32 v37, 32, v3
	; wave barrier
	v_and_b32_e32 v0, v0, v1
	v_mbcnt_lo_u32_b32 v36, v0, 0
	v_cmp_ne_u32_e64 s13, 0, v0
	s_delay_alu instid0(VALU_DEP_2) | instskip(NEXT) | instid1(VALU_DEP_2)
	v_cmp_eq_u32_e32 vcc_lo, 0, v36
	s_and_b32 s17, s13, vcc_lo
	s_delay_alu instid0(SALU_CYCLE_1)
	s_and_saveexec_b32 s13, s17
	s_cbranch_execz .LBB222_10
; %bb.9:                                ;   in Loop: Header=BB222_4 Depth=2
	s_waitcnt lgkmcnt(0)
	v_bcnt_u32_b32 v0, v0, v35
	ds_store_b32 v37, v0
.LBB222_10:                             ;   in Loop: Header=BB222_4 Depth=2
	s_or_b32 exec_lo, exec_lo, s13
	v_bfe_u32 v0, v27, s16, 1
	v_lshrrev_b32_e32 v1, s16, v27
	; wave barrier
	s_delay_alu instid0(VALU_DEP_2) | instskip(NEXT) | instid1(VALU_DEP_1)
	v_add_co_u32 v0, s13, v0, -1
	v_cndmask_b32_e64 v2, 0, 1, s13
	s_delay_alu instid0(VALU_DEP_3)
	v_lshlrev_b32_e32 v3, 30, v1
	v_lshlrev_b32_e32 v4, 29, v1
	;; [unrolled: 1-line block ×4, first 2 shown]
	v_cmp_ne_u32_e32 vcc_lo, 0, v2
	v_not_b32_e32 v2, v3
	v_cmp_gt_i32_e64 s13, 0, v3
	v_not_b32_e32 v3, v4
	v_lshlrev_b32_e32 v7, 26, v1
	v_xor_b32_e32 v0, vcc_lo, v0
	v_ashrrev_i32_e32 v2, 31, v2
	v_cmp_gt_i32_e32 vcc_lo, 0, v4
	v_not_b32_e32 v4, v5
	v_ashrrev_i32_e32 v3, 31, v3
	v_and_b32_e32 v0, exec_lo, v0
	v_xor_b32_e32 v2, s13, v2
	v_cmp_gt_i32_e64 s13, 0, v5
	v_not_b32_e32 v5, v6
	v_ashrrev_i32_e32 v4, 31, v4
	v_xor_b32_e32 v3, vcc_lo, v3
	v_and_b32_e32 v0, v0, v2
	v_cmp_gt_i32_e32 vcc_lo, 0, v6
	v_not_b32_e32 v2, v7
	v_ashrrev_i32_e32 v5, 31, v5
	v_xor_b32_e32 v4, s13, v4
	v_and_b32_e32 v0, v0, v3
	v_lshlrev_b32_e32 v3, 25, v1
	v_cmp_gt_i32_e64 s13, 0, v7
	v_ashrrev_i32_e32 v2, 31, v2
	v_xor_b32_e32 v5, vcc_lo, v5
	v_and_b32_e32 v0, v0, v4
	v_not_b32_e32 v6, v3
	v_lshlrev_b32_e32 v1, 24, v1
	v_bfe_u32 v4, v27, s16, 8
	v_xor_b32_e32 v2, s13, v2
	v_and_b32_e32 v0, v0, v5
	v_cmp_gt_i32_e32 vcc_lo, 0, v3
	v_ashrrev_i32_e32 v3, 31, v6
	v_not_b32_e32 v5, v1
	v_lshlrev_b32_e32 v4, 3, v4
	v_and_b32_e32 v0, v0, v2
	s_delay_alu instid0(VALU_DEP_4) | instskip(SKIP_3) | instid1(VALU_DEP_4)
	v_xor_b32_e32 v2, vcc_lo, v3
	v_cmp_gt_i32_e32 vcc_lo, 0, v1
	v_ashrrev_i32_e32 v1, 31, v5
	v_add_lshl_u32 v3, v4, v18, 2
	v_and_b32_e32 v0, v0, v2
	s_delay_alu instid0(VALU_DEP_3) | instskip(SKIP_3) | instid1(VALU_DEP_1)
	v_xor_b32_e32 v1, vcc_lo, v1
	ds_load_b32 v38, v3 offset:32
	v_add_nc_u32_e32 v40, 32, v3
	; wave barrier
	v_and_b32_e32 v0, v0, v1
	v_mbcnt_lo_u32_b32 v39, v0, 0
	v_cmp_ne_u32_e64 s13, 0, v0
	s_delay_alu instid0(VALU_DEP_2) | instskip(NEXT) | instid1(VALU_DEP_2)
	v_cmp_eq_u32_e32 vcc_lo, 0, v39
	s_and_b32 s17, s13, vcc_lo
	s_delay_alu instid0(SALU_CYCLE_1)
	s_and_saveexec_b32 s13, s17
	s_cbranch_execz .LBB222_12
; %bb.11:                               ;   in Loop: Header=BB222_4 Depth=2
	s_waitcnt lgkmcnt(0)
	v_bcnt_u32_b32 v0, v0, v38
	ds_store_b32 v40, v0
.LBB222_12:                             ;   in Loop: Header=BB222_4 Depth=2
	s_or_b32 exec_lo, exec_lo, s13
	v_bfe_u32 v0, v26, s16, 1
	v_lshrrev_b32_e32 v1, s16, v26
	; wave barrier
	s_delay_alu instid0(VALU_DEP_2) | instskip(NEXT) | instid1(VALU_DEP_1)
	v_add_co_u32 v0, s13, v0, -1
	v_cndmask_b32_e64 v2, 0, 1, s13
	s_delay_alu instid0(VALU_DEP_3)
	v_lshlrev_b32_e32 v3, 30, v1
	v_lshlrev_b32_e32 v4, 29, v1
	v_lshlrev_b32_e32 v5, 28, v1
	v_lshlrev_b32_e32 v6, 27, v1
	v_cmp_ne_u32_e32 vcc_lo, 0, v2
	v_not_b32_e32 v2, v3
	v_cmp_gt_i32_e64 s13, 0, v3
	v_not_b32_e32 v3, v4
	v_lshlrev_b32_e32 v7, 26, v1
	v_xor_b32_e32 v0, vcc_lo, v0
	v_ashrrev_i32_e32 v2, 31, v2
	v_cmp_gt_i32_e32 vcc_lo, 0, v4
	v_not_b32_e32 v4, v5
	v_ashrrev_i32_e32 v3, 31, v3
	v_and_b32_e32 v0, exec_lo, v0
	v_xor_b32_e32 v2, s13, v2
	v_cmp_gt_i32_e64 s13, 0, v5
	v_not_b32_e32 v5, v6
	v_ashrrev_i32_e32 v4, 31, v4
	v_xor_b32_e32 v3, vcc_lo, v3
	v_and_b32_e32 v0, v0, v2
	v_cmp_gt_i32_e32 vcc_lo, 0, v6
	v_not_b32_e32 v2, v7
	v_ashrrev_i32_e32 v5, 31, v5
	v_xor_b32_e32 v4, s13, v4
	v_and_b32_e32 v0, v0, v3
	v_lshlrev_b32_e32 v3, 25, v1
	v_cmp_gt_i32_e64 s13, 0, v7
	v_ashrrev_i32_e32 v2, 31, v2
	v_xor_b32_e32 v5, vcc_lo, v5
	v_and_b32_e32 v0, v0, v4
	v_not_b32_e32 v6, v3
	v_lshlrev_b32_e32 v1, 24, v1
	v_bfe_u32 v4, v26, s16, 8
	v_xor_b32_e32 v2, s13, v2
	v_and_b32_e32 v0, v0, v5
	v_cmp_gt_i32_e32 vcc_lo, 0, v3
	v_ashrrev_i32_e32 v3, 31, v6
	v_not_b32_e32 v5, v1
	v_lshlrev_b32_e32 v4, 3, v4
	v_and_b32_e32 v0, v0, v2
	s_delay_alu instid0(VALU_DEP_4) | instskip(SKIP_3) | instid1(VALU_DEP_4)
	v_xor_b32_e32 v2, vcc_lo, v3
	v_cmp_gt_i32_e32 vcc_lo, 0, v1
	v_ashrrev_i32_e32 v1, 31, v5
	v_add_lshl_u32 v3, v4, v18, 2
	v_and_b32_e32 v0, v0, v2
	s_delay_alu instid0(VALU_DEP_3) | instskip(SKIP_3) | instid1(VALU_DEP_1)
	v_xor_b32_e32 v1, vcc_lo, v1
	ds_load_b32 v41, v3 offset:32
	v_add_nc_u32_e32 v43, 32, v3
	; wave barrier
	v_and_b32_e32 v0, v0, v1
	v_mbcnt_lo_u32_b32 v42, v0, 0
	v_cmp_ne_u32_e64 s13, 0, v0
	s_delay_alu instid0(VALU_DEP_2) | instskip(NEXT) | instid1(VALU_DEP_2)
	v_cmp_eq_u32_e32 vcc_lo, 0, v42
	s_and_b32 s17, s13, vcc_lo
	s_delay_alu instid0(SALU_CYCLE_1)
	s_and_saveexec_b32 s13, s17
	s_cbranch_execz .LBB222_14
; %bb.13:                               ;   in Loop: Header=BB222_4 Depth=2
	s_waitcnt lgkmcnt(0)
	v_bcnt_u32_b32 v0, v0, v41
	ds_store_b32 v43, v0
.LBB222_14:                             ;   in Loop: Header=BB222_4 Depth=2
	s_or_b32 exec_lo, exec_lo, s13
	v_bfe_u32 v0, v25, s16, 1
	v_lshrrev_b32_e32 v1, s16, v25
	; wave barrier
	s_delay_alu instid0(VALU_DEP_2) | instskip(NEXT) | instid1(VALU_DEP_1)
	v_add_co_u32 v0, s13, v0, -1
	v_cndmask_b32_e64 v2, 0, 1, s13
	s_delay_alu instid0(VALU_DEP_3)
	v_lshlrev_b32_e32 v3, 30, v1
	v_lshlrev_b32_e32 v4, 29, v1
	;; [unrolled: 1-line block ×4, first 2 shown]
	v_cmp_ne_u32_e32 vcc_lo, 0, v2
	v_not_b32_e32 v2, v3
	v_cmp_gt_i32_e64 s13, 0, v3
	v_not_b32_e32 v3, v4
	v_lshlrev_b32_e32 v7, 26, v1
	v_xor_b32_e32 v0, vcc_lo, v0
	v_ashrrev_i32_e32 v2, 31, v2
	v_cmp_gt_i32_e32 vcc_lo, 0, v4
	v_not_b32_e32 v4, v5
	v_ashrrev_i32_e32 v3, 31, v3
	v_and_b32_e32 v0, exec_lo, v0
	v_xor_b32_e32 v2, s13, v2
	v_cmp_gt_i32_e64 s13, 0, v5
	v_not_b32_e32 v5, v6
	v_ashrrev_i32_e32 v4, 31, v4
	v_xor_b32_e32 v3, vcc_lo, v3
	v_and_b32_e32 v0, v0, v2
	v_cmp_gt_i32_e32 vcc_lo, 0, v6
	v_not_b32_e32 v2, v7
	v_ashrrev_i32_e32 v5, 31, v5
	v_xor_b32_e32 v4, s13, v4
	v_and_b32_e32 v0, v0, v3
	v_lshlrev_b32_e32 v3, 25, v1
	v_cmp_gt_i32_e64 s13, 0, v7
	v_ashrrev_i32_e32 v2, 31, v2
	v_xor_b32_e32 v5, vcc_lo, v5
	v_and_b32_e32 v0, v0, v4
	v_not_b32_e32 v6, v3
	v_lshlrev_b32_e32 v1, 24, v1
	v_bfe_u32 v4, v25, s16, 8
	v_xor_b32_e32 v2, s13, v2
	v_and_b32_e32 v0, v0, v5
	v_cmp_gt_i32_e32 vcc_lo, 0, v3
	v_ashrrev_i32_e32 v3, 31, v6
	v_not_b32_e32 v5, v1
	v_lshlrev_b32_e32 v4, 3, v4
	v_and_b32_e32 v0, v0, v2
	s_delay_alu instid0(VALU_DEP_4) | instskip(SKIP_3) | instid1(VALU_DEP_4)
	v_xor_b32_e32 v2, vcc_lo, v3
	v_cmp_gt_i32_e32 vcc_lo, 0, v1
	v_ashrrev_i32_e32 v1, 31, v5
	v_add_lshl_u32 v3, v4, v18, 2
	v_and_b32_e32 v0, v0, v2
	s_delay_alu instid0(VALU_DEP_3) | instskip(SKIP_3) | instid1(VALU_DEP_1)
	v_xor_b32_e32 v1, vcc_lo, v1
	ds_load_b32 v44, v3 offset:32
	v_add_nc_u32_e32 v46, 32, v3
	; wave barrier
	v_and_b32_e32 v0, v0, v1
	v_mbcnt_lo_u32_b32 v45, v0, 0
	v_cmp_ne_u32_e64 s13, 0, v0
	s_delay_alu instid0(VALU_DEP_2) | instskip(NEXT) | instid1(VALU_DEP_2)
	v_cmp_eq_u32_e32 vcc_lo, 0, v45
	s_and_b32 s17, s13, vcc_lo
	s_delay_alu instid0(SALU_CYCLE_1)
	s_and_saveexec_b32 s13, s17
	s_cbranch_execz .LBB222_16
; %bb.15:                               ;   in Loop: Header=BB222_4 Depth=2
	s_waitcnt lgkmcnt(0)
	v_bcnt_u32_b32 v0, v0, v44
	ds_store_b32 v46, v0
.LBB222_16:                             ;   in Loop: Header=BB222_4 Depth=2
	s_or_b32 exec_lo, exec_lo, s13
	v_bfe_u32 v0, v24, s16, 1
	v_lshrrev_b32_e32 v1, s16, v24
	; wave barrier
	s_delay_alu instid0(VALU_DEP_2) | instskip(NEXT) | instid1(VALU_DEP_1)
	v_add_co_u32 v0, s13, v0, -1
	v_cndmask_b32_e64 v2, 0, 1, s13
	s_delay_alu instid0(VALU_DEP_3)
	v_lshlrev_b32_e32 v3, 30, v1
	v_lshlrev_b32_e32 v4, 29, v1
	;; [unrolled: 1-line block ×4, first 2 shown]
	v_cmp_ne_u32_e32 vcc_lo, 0, v2
	v_not_b32_e32 v2, v3
	v_cmp_gt_i32_e64 s13, 0, v3
	v_not_b32_e32 v3, v4
	v_lshlrev_b32_e32 v7, 26, v1
	v_xor_b32_e32 v0, vcc_lo, v0
	v_ashrrev_i32_e32 v2, 31, v2
	v_cmp_gt_i32_e32 vcc_lo, 0, v4
	v_not_b32_e32 v4, v5
	v_ashrrev_i32_e32 v3, 31, v3
	v_and_b32_e32 v0, exec_lo, v0
	v_xor_b32_e32 v2, s13, v2
	v_cmp_gt_i32_e64 s13, 0, v5
	v_not_b32_e32 v5, v6
	v_ashrrev_i32_e32 v4, 31, v4
	v_xor_b32_e32 v3, vcc_lo, v3
	v_and_b32_e32 v0, v0, v2
	v_cmp_gt_i32_e32 vcc_lo, 0, v6
	v_not_b32_e32 v2, v7
	v_ashrrev_i32_e32 v5, 31, v5
	v_xor_b32_e32 v4, s13, v4
	v_and_b32_e32 v0, v0, v3
	v_lshlrev_b32_e32 v3, 25, v1
	v_cmp_gt_i32_e64 s13, 0, v7
	v_ashrrev_i32_e32 v2, 31, v2
	v_xor_b32_e32 v5, vcc_lo, v5
	v_and_b32_e32 v0, v0, v4
	v_not_b32_e32 v6, v3
	v_lshlrev_b32_e32 v1, 24, v1
	v_bfe_u32 v4, v24, s16, 8
	v_xor_b32_e32 v2, s13, v2
	v_and_b32_e32 v0, v0, v5
	v_cmp_gt_i32_e32 vcc_lo, 0, v3
	v_ashrrev_i32_e32 v3, 31, v6
	v_not_b32_e32 v5, v1
	v_lshlrev_b32_e32 v4, 3, v4
	v_and_b32_e32 v0, v0, v2
	s_delay_alu instid0(VALU_DEP_4) | instskip(SKIP_3) | instid1(VALU_DEP_4)
	v_xor_b32_e32 v2, vcc_lo, v3
	v_cmp_gt_i32_e32 vcc_lo, 0, v1
	v_ashrrev_i32_e32 v1, 31, v5
	v_add_lshl_u32 v3, v4, v18, 2
	v_and_b32_e32 v0, v0, v2
	s_delay_alu instid0(VALU_DEP_3) | instskip(SKIP_3) | instid1(VALU_DEP_1)
	v_xor_b32_e32 v1, vcc_lo, v1
	ds_load_b32 v47, v3 offset:32
	v_add_nc_u32_e32 v49, 32, v3
	; wave barrier
	v_and_b32_e32 v0, v0, v1
	v_mbcnt_lo_u32_b32 v48, v0, 0
	v_cmp_ne_u32_e64 s13, 0, v0
	s_delay_alu instid0(VALU_DEP_2) | instskip(NEXT) | instid1(VALU_DEP_2)
	v_cmp_eq_u32_e32 vcc_lo, 0, v48
	s_and_b32 s17, s13, vcc_lo
	s_delay_alu instid0(SALU_CYCLE_1)
	s_and_saveexec_b32 s13, s17
	s_cbranch_execz .LBB222_18
; %bb.17:                               ;   in Loop: Header=BB222_4 Depth=2
	s_waitcnt lgkmcnt(0)
	v_bcnt_u32_b32 v0, v0, v47
	ds_store_b32 v49, v0
.LBB222_18:                             ;   in Loop: Header=BB222_4 Depth=2
	s_or_b32 exec_lo, exec_lo, s13
	v_bfe_u32 v0, v23, s16, 1
	v_lshrrev_b32_e32 v1, s16, v23
	; wave barrier
	s_delay_alu instid0(VALU_DEP_2) | instskip(NEXT) | instid1(VALU_DEP_1)
	v_add_co_u32 v0, s13, v0, -1
	v_cndmask_b32_e64 v2, 0, 1, s13
	s_delay_alu instid0(VALU_DEP_3)
	v_lshlrev_b32_e32 v3, 30, v1
	v_lshlrev_b32_e32 v4, 29, v1
	;; [unrolled: 1-line block ×4, first 2 shown]
	v_cmp_ne_u32_e32 vcc_lo, 0, v2
	v_not_b32_e32 v2, v3
	v_cmp_gt_i32_e64 s13, 0, v3
	v_not_b32_e32 v3, v4
	v_lshlrev_b32_e32 v7, 26, v1
	v_xor_b32_e32 v0, vcc_lo, v0
	v_ashrrev_i32_e32 v2, 31, v2
	v_cmp_gt_i32_e32 vcc_lo, 0, v4
	v_not_b32_e32 v4, v5
	v_ashrrev_i32_e32 v3, 31, v3
	v_and_b32_e32 v0, exec_lo, v0
	v_xor_b32_e32 v2, s13, v2
	v_cmp_gt_i32_e64 s13, 0, v5
	v_not_b32_e32 v5, v6
	v_ashrrev_i32_e32 v4, 31, v4
	v_xor_b32_e32 v3, vcc_lo, v3
	v_and_b32_e32 v0, v0, v2
	v_cmp_gt_i32_e32 vcc_lo, 0, v6
	v_not_b32_e32 v2, v7
	v_ashrrev_i32_e32 v5, 31, v5
	v_xor_b32_e32 v4, s13, v4
	v_and_b32_e32 v0, v0, v3
	v_lshlrev_b32_e32 v3, 25, v1
	v_cmp_gt_i32_e64 s13, 0, v7
	v_ashrrev_i32_e32 v2, 31, v2
	v_xor_b32_e32 v5, vcc_lo, v5
	v_and_b32_e32 v0, v0, v4
	v_not_b32_e32 v6, v3
	v_lshlrev_b32_e32 v1, 24, v1
	v_bfe_u32 v4, v23, s16, 8
	v_xor_b32_e32 v2, s13, v2
	v_and_b32_e32 v0, v0, v5
	v_cmp_gt_i32_e32 vcc_lo, 0, v3
	v_ashrrev_i32_e32 v3, 31, v6
	v_not_b32_e32 v5, v1
	v_lshlrev_b32_e32 v4, 3, v4
	v_and_b32_e32 v0, v0, v2
	s_delay_alu instid0(VALU_DEP_4) | instskip(SKIP_3) | instid1(VALU_DEP_4)
	v_xor_b32_e32 v2, vcc_lo, v3
	v_cmp_gt_i32_e32 vcc_lo, 0, v1
	v_ashrrev_i32_e32 v1, 31, v5
	v_add_lshl_u32 v3, v4, v18, 2
	v_and_b32_e32 v0, v0, v2
	s_delay_alu instid0(VALU_DEP_3) | instskip(SKIP_3) | instid1(VALU_DEP_1)
	v_xor_b32_e32 v1, vcc_lo, v1
	ds_load_b32 v50, v3 offset:32
	v_add_nc_u32_e32 v52, 32, v3
	; wave barrier
	v_and_b32_e32 v0, v0, v1
	v_mbcnt_lo_u32_b32 v51, v0, 0
	v_cmp_ne_u32_e64 s13, 0, v0
	s_delay_alu instid0(VALU_DEP_2) | instskip(NEXT) | instid1(VALU_DEP_2)
	v_cmp_eq_u32_e32 vcc_lo, 0, v51
	s_and_b32 s17, s13, vcc_lo
	s_delay_alu instid0(SALU_CYCLE_1)
	s_and_saveexec_b32 s13, s17
	s_cbranch_execz .LBB222_20
; %bb.19:                               ;   in Loop: Header=BB222_4 Depth=2
	s_waitcnt lgkmcnt(0)
	v_bcnt_u32_b32 v0, v0, v50
	ds_store_b32 v52, v0
.LBB222_20:                             ;   in Loop: Header=BB222_4 Depth=2
	s_or_b32 exec_lo, exec_lo, s13
	; wave barrier
	s_waitcnt lgkmcnt(0)
	s_barrier
	buffer_gl0_inv
	ds_load_2addr_b64 v[4:7], v14 offset0:4 offset1:5
	ds_load_2addr_b64 v[0:3], v17 offset0:2 offset1:3
	s_waitcnt lgkmcnt(1)
	v_add_nc_u32_e32 v53, v5, v4
	s_delay_alu instid0(VALU_DEP_1) | instskip(SKIP_1) | instid1(VALU_DEP_1)
	v_add3_u32 v53, v53, v6, v7
	s_waitcnt lgkmcnt(0)
	v_add3_u32 v53, v53, v0, v1
	s_delay_alu instid0(VALU_DEP_1) | instskip(NEXT) | instid1(VALU_DEP_1)
	v_add3_u32 v3, v53, v2, v3
	v_mov_b32_dpp v53, v3 row_shr:1 row_mask:0xf bank_mask:0xf
	s_delay_alu instid0(VALU_DEP_1) | instskip(NEXT) | instid1(VALU_DEP_1)
	v_cndmask_b32_e64 v53, v53, 0, s0
	v_add_nc_u32_e32 v3, v53, v3
	s_delay_alu instid0(VALU_DEP_1) | instskip(NEXT) | instid1(VALU_DEP_1)
	v_mov_b32_dpp v53, v3 row_shr:2 row_mask:0xf bank_mask:0xf
	v_cndmask_b32_e64 v53, 0, v53, s1
	s_delay_alu instid0(VALU_DEP_1) | instskip(NEXT) | instid1(VALU_DEP_1)
	v_add_nc_u32_e32 v3, v3, v53
	v_mov_b32_dpp v53, v3 row_shr:4 row_mask:0xf bank_mask:0xf
	s_delay_alu instid0(VALU_DEP_1) | instskip(NEXT) | instid1(VALU_DEP_1)
	v_cndmask_b32_e64 v53, 0, v53, s2
	v_add_nc_u32_e32 v3, v3, v53
	s_delay_alu instid0(VALU_DEP_1) | instskip(NEXT) | instid1(VALU_DEP_1)
	v_mov_b32_dpp v53, v3 row_shr:8 row_mask:0xf bank_mask:0xf
	v_cndmask_b32_e64 v53, 0, v53, s3
	s_delay_alu instid0(VALU_DEP_1) | instskip(SKIP_3) | instid1(VALU_DEP_1)
	v_add_nc_u32_e32 v3, v3, v53
	ds_swizzle_b32 v53, v3 offset:swizzle(BROADCAST,32,15)
	s_waitcnt lgkmcnt(0)
	v_cndmask_b32_e64 v53, v53, 0, s4
	v_add_nc_u32_e32 v3, v3, v53
	s_and_saveexec_b32 s13, s5
	s_cbranch_execz .LBB222_22
; %bb.21:                               ;   in Loop: Header=BB222_4 Depth=2
	ds_store_b32 v20, v3
.LBB222_22:                             ;   in Loop: Header=BB222_4 Depth=2
	s_or_b32 exec_lo, exec_lo, s13
	s_waitcnt lgkmcnt(0)
	s_barrier
	buffer_gl0_inv
	s_and_saveexec_b32 s13, s6
	s_cbranch_execz .LBB222_24
; %bb.23:                               ;   in Loop: Header=BB222_4 Depth=2
	v_add_nc_u32_e32 v53, v14, v21
	ds_load_b32 v54, v53
	s_waitcnt lgkmcnt(0)
	v_mov_b32_dpp v55, v54 row_shr:1 row_mask:0xf bank_mask:0xf
	s_delay_alu instid0(VALU_DEP_1) | instskip(NEXT) | instid1(VALU_DEP_1)
	v_cndmask_b32_e64 v55, v55, 0, s10
	v_add_nc_u32_e32 v54, v55, v54
	s_delay_alu instid0(VALU_DEP_1) | instskip(NEXT) | instid1(VALU_DEP_1)
	v_mov_b32_dpp v55, v54 row_shr:2 row_mask:0xf bank_mask:0xf
	v_cndmask_b32_e64 v55, 0, v55, s11
	s_delay_alu instid0(VALU_DEP_1) | instskip(NEXT) | instid1(VALU_DEP_1)
	v_add_nc_u32_e32 v54, v54, v55
	v_mov_b32_dpp v55, v54 row_shr:4 row_mask:0xf bank_mask:0xf
	s_delay_alu instid0(VALU_DEP_1) | instskip(NEXT) | instid1(VALU_DEP_1)
	v_cndmask_b32_e64 v55, 0, v55, s12
	v_add_nc_u32_e32 v54, v54, v55
	ds_store_b32 v53, v54
.LBB222_24:                             ;   in Loop: Header=BB222_4 Depth=2
	s_or_b32 exec_lo, exec_lo, s13
	v_mov_b32_e32 v53, 0
	s_waitcnt lgkmcnt(0)
	s_barrier
	buffer_gl0_inv
	s_and_saveexec_b32 s13, s7
	s_cbranch_execz .LBB222_26
; %bb.25:                               ;   in Loop: Header=BB222_4 Depth=2
	ds_load_b32 v53, v22
.LBB222_26:                             ;   in Loop: Header=BB222_4 Depth=2
	s_or_b32 exec_lo, exec_lo, s13
	s_waitcnt lgkmcnt(0)
	v_add_nc_u32_e32 v3, v53, v3
	s_cmp_gt_u32 s16, 23
	ds_bpermute_b32 v3, v19, v3
	s_waitcnt lgkmcnt(0)
	v_cndmask_b32_e64 v3, v3, v53, s8
	s_delay_alu instid0(VALU_DEP_1) | instskip(NEXT) | instid1(VALU_DEP_1)
	v_cndmask_b32_e64 v3, v3, 0, s9
	v_add_nc_u32_e32 v4, v3, v4
	s_delay_alu instid0(VALU_DEP_1) | instskip(NEXT) | instid1(VALU_DEP_1)
	v_add_nc_u32_e32 v5, v4, v5
	v_add_nc_u32_e32 v6, v5, v6
	s_delay_alu instid0(VALU_DEP_1) | instskip(NEXT) | instid1(VALU_DEP_1)
	v_add_nc_u32_e32 v53, v6, v7
	;; [unrolled: 3-line block ×3, first 2 shown]
	v_add_nc_u32_e32 v1, v0, v2
	ds_store_2addr_b64 v14, v[3:4], v[5:6] offset0:4 offset1:5
	ds_store_2addr_b64 v17, v[53:54], v[0:1] offset0:2 offset1:3
	s_waitcnt lgkmcnt(0)
	s_barrier
	buffer_gl0_inv
	ds_load_b32 v0, v31
	ds_load_b32 v1, v34
	;; [unrolled: 1-line block ×8, first 2 shown]
	s_waitcnt lgkmcnt(7)
	v_add_nc_u32_e32 v40, v0, v30
	s_waitcnt lgkmcnt(6)
	v_add3_u32 v37, v33, v32, v1
	s_waitcnt lgkmcnt(5)
	v_add3_u32 v35, v36, v35, v2
	;; [unrolled: 2-line block ×7, first 2 shown]
	s_cbranch_scc0 .LBB222_3
; %bb.27:                               ;   in Loop: Header=BB222_2 Depth=1
                                        ; implicit-def: $vgpr7
                                        ; implicit-def: $vgpr5
                                        ; implicit-def: $vgpr3
                                        ; implicit-def: $vgpr1
                                        ; implicit-def: $sgpr16
	s_branch .LBB222_1
.LBB222_28:
	v_lshlrev_b32_e32 v0, 2, v9
	s_add_u32 s0, s18, s14
	s_addc_u32 s1, s19, s15
	s_delay_alu instid0(VALU_DEP_1) | instskip(NEXT) | instid1(VALU_DEP_1)
	v_add_co_u32 v9, s2, s0, v0
	v_add_co_ci_u32_e64 v10, null, s1, 0, s2
	s_delay_alu instid0(VALU_DEP_2) | instskip(NEXT) | instid1(VALU_DEP_2)
	v_add_co_u32 v9, vcc_lo, 0x1000, v9
	v_add_co_ci_u32_e32 v10, vcc_lo, 0, v10, vcc_lo
	s_clause 0x7
	global_store_b32 v0, v5, s[0:1]
	global_store_b32 v0, v6, s[0:1] offset:1024
	global_store_b32 v0, v7, s[0:1] offset:2048
	;; [unrolled: 1-line block ×3, first 2 shown]
	global_store_b32 v[9:10], v1, off
	global_store_b32 v[9:10], v2, off offset:1024
	global_store_b32 v[9:10], v3, off offset:2048
	;; [unrolled: 1-line block ×3, first 2 shown]
	s_nop 0
	s_sendmsg sendmsg(MSG_DEALLOC_VGPRS)
	s_endpgm
	.section	.rodata,"a",@progbits
	.p2align	6, 0x0
	.amdhsa_kernel _Z16sort_keys_kernelI22helper_blocked_stripediLj256ELj8ELj10EEvPKT0_PS1_
		.amdhsa_group_segment_fixed_size 8224
		.amdhsa_private_segment_fixed_size 0
		.amdhsa_kernarg_size 272
		.amdhsa_user_sgpr_count 15
		.amdhsa_user_sgpr_dispatch_ptr 0
		.amdhsa_user_sgpr_queue_ptr 0
		.amdhsa_user_sgpr_kernarg_segment_ptr 1
		.amdhsa_user_sgpr_dispatch_id 0
		.amdhsa_user_sgpr_private_segment_size 0
		.amdhsa_wavefront_size32 1
		.amdhsa_uses_dynamic_stack 0
		.amdhsa_enable_private_segment 0
		.amdhsa_system_sgpr_workgroup_id_x 1
		.amdhsa_system_sgpr_workgroup_id_y 0
		.amdhsa_system_sgpr_workgroup_id_z 0
		.amdhsa_system_sgpr_workgroup_info 0
		.amdhsa_system_vgpr_workitem_id 2
		.amdhsa_next_free_vgpr 56
		.amdhsa_next_free_sgpr 22
		.amdhsa_reserve_vcc 1
		.amdhsa_float_round_mode_32 0
		.amdhsa_float_round_mode_16_64 0
		.amdhsa_float_denorm_mode_32 3
		.amdhsa_float_denorm_mode_16_64 3
		.amdhsa_dx10_clamp 1
		.amdhsa_ieee_mode 1
		.amdhsa_fp16_overflow 0
		.amdhsa_workgroup_processor_mode 1
		.amdhsa_memory_ordered 1
		.amdhsa_forward_progress 0
		.amdhsa_shared_vgpr_count 0
		.amdhsa_exception_fp_ieee_invalid_op 0
		.amdhsa_exception_fp_denorm_src 0
		.amdhsa_exception_fp_ieee_div_zero 0
		.amdhsa_exception_fp_ieee_overflow 0
		.amdhsa_exception_fp_ieee_underflow 0
		.amdhsa_exception_fp_ieee_inexact 0
		.amdhsa_exception_int_div_zero 0
	.end_amdhsa_kernel
	.section	.text._Z16sort_keys_kernelI22helper_blocked_stripediLj256ELj8ELj10EEvPKT0_PS1_,"axG",@progbits,_Z16sort_keys_kernelI22helper_blocked_stripediLj256ELj8ELj10EEvPKT0_PS1_,comdat
.Lfunc_end222:
	.size	_Z16sort_keys_kernelI22helper_blocked_stripediLj256ELj8ELj10EEvPKT0_PS1_, .Lfunc_end222-_Z16sort_keys_kernelI22helper_blocked_stripediLj256ELj8ELj10EEvPKT0_PS1_
                                        ; -- End function
	.section	.AMDGPU.csdata,"",@progbits
; Kernel info:
; codeLenInByte = 4480
; NumSgprs: 24
; NumVgprs: 56
; ScratchSize: 0
; MemoryBound: 0
; FloatMode: 240
; IeeeMode: 1
; LDSByteSize: 8224 bytes/workgroup (compile time only)
; SGPRBlocks: 2
; VGPRBlocks: 6
; NumSGPRsForWavesPerEU: 24
; NumVGPRsForWavesPerEU: 56
; Occupancy: 16
; WaveLimiterHint : 1
; COMPUTE_PGM_RSRC2:SCRATCH_EN: 0
; COMPUTE_PGM_RSRC2:USER_SGPR: 15
; COMPUTE_PGM_RSRC2:TRAP_HANDLER: 0
; COMPUTE_PGM_RSRC2:TGID_X_EN: 1
; COMPUTE_PGM_RSRC2:TGID_Y_EN: 0
; COMPUTE_PGM_RSRC2:TGID_Z_EN: 0
; COMPUTE_PGM_RSRC2:TIDIG_COMP_CNT: 2
	.section	.text._Z17sort_pairs_kernelI22helper_blocked_stripediLj256ELj8ELj10EEvPKT0_PS1_,"axG",@progbits,_Z17sort_pairs_kernelI22helper_blocked_stripediLj256ELj8ELj10EEvPKT0_PS1_,comdat
	.protected	_Z17sort_pairs_kernelI22helper_blocked_stripediLj256ELj8ELj10EEvPKT0_PS1_ ; -- Begin function _Z17sort_pairs_kernelI22helper_blocked_stripediLj256ELj8ELj10EEvPKT0_PS1_
	.globl	_Z17sort_pairs_kernelI22helper_blocked_stripediLj256ELj8ELj10EEvPKT0_PS1_
	.p2align	8
	.type	_Z17sort_pairs_kernelI22helper_blocked_stripediLj256ELj8ELj10EEvPKT0_PS1_,@function
_Z17sort_pairs_kernelI22helper_blocked_stripediLj256ELj8ELj10EEvPKT0_PS1_: ; @_Z17sort_pairs_kernelI22helper_blocked_stripediLj256ELj8ELj10EEvPKT0_PS1_
; %bb.0:
	s_clause 0x1
	s_load_b128 s[16:19], s[0:1], 0x0
	s_load_b32 s12, s[0:1], 0x1c
	s_mov_b32 s21, 0
	s_lshl_b32 s20, s15, 11
	v_mbcnt_lo_u32_b32 v12, -1, 0
	s_lshl_b64 s[14:15], s[20:21], 2
	s_mov_b32 s20, s21
	s_delay_alu instid0(SALU_CYCLE_1) | instskip(SKIP_3) | instid1(VALU_DEP_4)
	v_dual_mov_b32 v10, s20 :: v_dual_and_b32 v9, 0x3ff, v0
	v_mov_b32_e32 v11, s21
	v_bfe_u32 v13, v0, 10, 10
	v_bfe_u32 v0, v0, 20, 10
	v_lshlrev_b32_e32 v26, 5, v9
	v_add_nc_u32_e32 v16, -1, v12
	v_and_b32_e32 v17, 7, v12
	v_lshlrev_b32_e32 v18, 3, v9
	v_cmp_gt_u32_e64 s6, 8, v9
	v_cmp_lt_u32_e64 s7, 31, v9
	v_cmp_gt_i32_e32 vcc_lo, 0, v16
	v_and_b32_e32 v19, 0xe0, v9
	s_waitcnt lgkmcnt(0)
	s_add_u32 s0, s16, s14
	s_addc_u32 s1, s17, s15
	s_lshr_b32 s13, s12, 16
	s_clause 0x1
	global_load_b128 v[5:8], v26, s[0:1]
	global_load_b128 v[1:4], v26, s[0:1] offset:16
	s_mov_b32 s16, s21
	s_mov_b32 s17, s21
	v_and_b32_e32 v14, 15, v12
	v_mad_u32_u24 v0, v0, s13, v13
	s_and_b32 s12, s12, 0xffff
	v_and_b32_e32 v15, 16, v12
	v_cmp_eq_u32_e64 s0, 0, v12
	v_cmp_eq_u32_e64 s1, 0, v14
	v_cmp_lt_u32_e64 s2, 1, v14
	v_cmp_lt_u32_e64 s3, 3, v14
	;; [unrolled: 1-line block ×3, first 2 shown]
	v_cndmask_b32_e32 v14, v16, v12, vcc_lo
	v_cmp_eq_u32_e64 s9, 0, v17
	v_cmp_lt_u32_e64 s10, 1, v17
	v_cmp_lt_u32_e64 s11, 3, v17
	v_or_b32_e32 v16, v12, v19
	v_and_or_b32 v17, 0x700, v18, v12
	v_mad_u64_u32 v[12:13], null, v0, s12, v[9:10]
	v_or_b32_e32 v0, 31, v19
	v_cmp_eq_u32_e64 s8, 0, v9
	v_mul_i32_i24_e32 v27, 0xffffffe4, v9
	v_add_nc_u32_e32 v28, 32, v26
	v_lshlrev_b32_e32 v30, 2, v14
	v_lshlrev_b32_e32 v31, 5, v16
	v_lshrrev_b32_e32 v34, 5, v12
	v_mov_b32_e32 v12, s16
	v_cmp_eq_u32_e64 s5, 0, v15
	v_lshrrev_b32_e32 v15, 3, v9
	v_lshlrev_b32_e32 v32, 2, v17
	v_cmp_eq_u32_e64 s12, v0, v9
	v_mov_b32_e32 v13, s17
	s_delay_alu instid0(VALU_DEP_4) | instskip(NEXT) | instid1(VALU_DEP_1)
	v_and_b32_e32 v29, 28, v15
	v_add_nc_u32_e32 v33, -4, v29
	s_waitcnt vmcnt(1)
	v_add_nc_u32_e32 v22, 1, v5
	v_add_nc_u32_e32 v23, 1, v6
	;; [unrolled: 1-line block ×4, first 2 shown]
	s_waitcnt vmcnt(0)
	v_add_nc_u32_e32 v16, 1, v1
	v_add_nc_u32_e32 v17, 1, v2
	;; [unrolled: 1-line block ×4, first 2 shown]
	s_branch .LBB223_2
.LBB223_1:                              ;   in Loop: Header=BB223_2 Depth=1
	v_lshlrev_b32_e32 v4, 2, v58
	v_lshlrev_b32_e32 v6, 2, v54
	;; [unrolled: 1-line block ×4, first 2 shown]
	s_barrier
	buffer_gl0_inv
	ds_store_b32 v4, v23
	ds_store_b32 v5, v45
	;; [unrolled: 1-line block ×3, first 2 shown]
	v_lshlrev_b32_e32 v14, 2, v49
	ds_store_b32 v7, v43
	v_lshlrev_b32_e32 v17, 2, v46
	v_add_nc_u32_e32 v43, v26, v27
	v_lshlrev_b32_e32 v15, 2, v48
	v_lshlrev_b32_e32 v16, 2, v47
	ds_store_b32 v14, v25
	ds_store_b32 v15, v24
	;; [unrolled: 1-line block ×4, first 2 shown]
	s_waitcnt lgkmcnt(0)
	s_barrier
	buffer_gl0_inv
	ds_load_2addr_stride64_b32 v[0:1], v43 offset1:4
	ds_load_2addr_stride64_b32 v[2:3], v43 offset0:8 offset1:12
	ds_load_2addr_stride64_b32 v[18:19], v43 offset0:16 offset1:20
	;; [unrolled: 1-line block ×3, first 2 shown]
	s_waitcnt lgkmcnt(0)
	s_barrier
	buffer_gl0_inv
	ds_store_b32 v4, v42
	ds_store_b32 v5, v41
	;; [unrolled: 1-line block ×8, first 2 shown]
	s_waitcnt lgkmcnt(0)
	s_barrier
	buffer_gl0_inv
	ds_load_2addr_stride64_b32 v[22:23], v43 offset1:4
	ds_load_2addr_stride64_b32 v[24:25], v43 offset0:8 offset1:12
	ds_load_2addr_stride64_b32 v[16:17], v43 offset0:16 offset1:20
	;; [unrolled: 1-line block ×3, first 2 shown]
	s_add_i32 s21, s21, 1
	s_delay_alu instid0(SALU_CYCLE_1)
	s_cmp_eq_u32 s21, 10
	v_xor_b32_e32 v5, 0x80000000, v0
	v_xor_b32_e32 v6, 0x80000000, v1
	;; [unrolled: 1-line block ×8, first 2 shown]
	s_cbranch_scc1 .LBB223_28
.LBB223_2:                              ; =>This Loop Header: Depth=1
                                        ;     Child Loop BB223_4 Depth 2
	v_xor_b32_e32 v5, 0x80000000, v5
	v_xor_b32_e32 v6, 0x80000000, v6
	v_xor_b32_e32 v7, 0x80000000, v7
	v_xor_b32_e32 v8, 0x80000000, v8
	v_xor_b32_e32 v0, 0x80000000, v1
	v_xor_b32_e32 v1, 0x80000000, v2
	v_xor_b32_e32 v2, 0x80000000, v3
	v_xor_b32_e32 v3, 0x80000000, v4
	ds_store_2addr_b64 v31, v[5:6], v[7:8] offset1:1
	ds_store_2addr_b64 v31, v[0:1], v[2:3] offset0:2 offset1:3
	; wave barrier
	ds_load_2addr_b32 v[0:1], v32 offset1:32
	ds_load_2addr_b32 v[2:3], v32 offset0:64 offset1:96
	ds_load_2addr_b32 v[18:19], v32 offset0:128 offset1:160
	;; [unrolled: 1-line block ×3, first 2 shown]
	; wave barrier
	s_waitcnt lgkmcnt(8)
	ds_store_2addr_b64 v31, v[22:23], v[24:25] offset1:1
	s_waitcnt lgkmcnt(7)
	ds_store_2addr_b64 v31, v[16:17], v[14:15] offset0:2 offset1:3
	; wave barrier
	ds_load_2addr_b32 v[4:5], v32 offset1:32
	ds_load_2addr_b32 v[6:7], v32 offset0:64 offset1:96
	ds_load_2addr_b32 v[14:15], v32 offset0:128 offset1:160
	;; [unrolled: 1-line block ×3, first 2 shown]
	s_mov_b32 s16, 0
	s_waitcnt lgkmcnt(0)
	s_barrier
	s_branch .LBB223_4
.LBB223_3:                              ;   in Loop: Header=BB223_4 Depth=2
	v_lshlrev_b32_e32 v4, 2, v58
	v_lshlrev_b32_e32 v7, 2, v51
	;; [unrolled: 1-line block ×8, first 2 shown]
	s_barrier
	buffer_gl0_inv
	ds_store_b32 v4, v23
	ds_store_b32 v5, v45
	;; [unrolled: 1-line block ×8, first 2 shown]
	s_waitcnt lgkmcnt(0)
	s_barrier
	buffer_gl0_inv
	ds_load_2addr_b32 v[0:1], v32 offset1:32
	ds_load_2addr_b32 v[2:3], v32 offset0:64 offset1:96
	ds_load_2addr_b32 v[18:19], v32 offset0:128 offset1:160
	ds_load_2addr_b32 v[20:21], v32 offset0:192 offset1:224
	s_waitcnt lgkmcnt(0)
	s_barrier
	buffer_gl0_inv
	ds_store_b32 v4, v42
	ds_store_b32 v5, v41
	;; [unrolled: 1-line block ×8, first 2 shown]
	s_waitcnt lgkmcnt(0)
	s_barrier
	buffer_gl0_inv
	ds_load_2addr_b32 v[4:5], v32 offset1:32
	ds_load_2addr_b32 v[6:7], v32 offset0:64 offset1:96
	ds_load_2addr_b32 v[14:15], v32 offset0:128 offset1:160
	;; [unrolled: 1-line block ×3, first 2 shown]
	s_add_i32 s16, s16, 8
	s_waitcnt lgkmcnt(0)
	s_barrier
	s_cbranch_execz .LBB223_1
.LBB223_4:                              ;   Parent Loop BB223_2 Depth=1
                                        ; =>  This Inner Loop Header: Depth=2
	v_dual_mov_b32 v23, v0 :: v_dual_mov_b32 v8, v21
	v_mov_b32_e32 v24, v19
	v_dual_mov_b32 v22, v20 :: v_dual_mov_b32 v25, v18
	s_delay_alu instid0(VALU_DEP_3)
	v_bfe_u32 v0, v23, s16, 1
	v_lshrrev_b32_e32 v19, s16, v23
	v_mov_b32_e32 v40, v6
	v_mov_b32_e32 v42, v4
	buffer_gl0_inv
	v_add_co_u32 v0, s13, v0, -1
	s_delay_alu instid0(VALU_DEP_1) | instskip(SKIP_3) | instid1(VALU_DEP_4)
	v_cndmask_b32_e64 v18, 0, 1, s13
	v_dual_mov_b32 v43, v3 :: v_dual_lshlrev_b32 v20, 30, v19
	v_lshlrev_b32_e32 v21, 29, v19
	v_dual_mov_b32 v44, v2 :: v_dual_lshlrev_b32 v35, 28, v19
	v_cmp_ne_u32_e32 vcc_lo, 0, v18
	s_delay_alu instid0(VALU_DEP_4)
	v_not_b32_e32 v18, v20
	v_cmp_gt_i32_e64 s13, 0, v20
	v_not_b32_e32 v20, v21
	v_dual_mov_b32 v45, v1 :: v_dual_lshlrev_b32 v36, 27, v19
	v_xor_b32_e32 v0, vcc_lo, v0
	v_ashrrev_i32_e32 v18, 31, v18
	v_cmp_gt_i32_e32 vcc_lo, 0, v21
	v_not_b32_e32 v21, v35
	v_ashrrev_i32_e32 v20, 31, v20
	v_and_b32_e32 v0, exec_lo, v0
	v_xor_b32_e32 v18, s13, v18
	v_lshlrev_b32_e32 v37, 26, v19
	v_cmp_gt_i32_e64 s13, 0, v35
	v_not_b32_e32 v35, v36
	v_ashrrev_i32_e32 v21, 31, v21
	v_xor_b32_e32 v20, vcc_lo, v20
	v_and_b32_e32 v0, v0, v18
	v_cmp_gt_i32_e32 vcc_lo, 0, v36
	v_ashrrev_i32_e32 v35, 31, v35
	v_xor_b32_e32 v21, s13, v21
	v_mov_b32_e32 v36, v16
	v_not_b32_e32 v18, v37
	v_cmp_gt_i32_e64 s13, 0, v37
	v_dual_mov_b32 v37, v15 :: v_dual_and_b32 v0, v0, v20
	v_dual_mov_b32 v39, v7 :: v_dual_lshlrev_b32 v20, 25, v19
	v_mov_b32_e32 v41, v5
	v_ashrrev_i32_e32 v18, 31, v18
	v_xor_b32_e32 v35, vcc_lo, v35
	v_and_b32_e32 v0, v0, v21
	v_not_b32_e32 v21, v20
	v_dual_mov_b32 v38, v14 :: v_dual_lshlrev_b32 v19, 24, v19
	v_cmp_gt_i32_e32 vcc_lo, 0, v20
	v_xor_b32_e32 v18, s13, v18
	v_and_b32_e32 v0, v0, v35
	v_ashrrev_i32_e32 v20, 31, v21
	v_not_b32_e32 v3, v19
	v_mov_b32_e32 v35, v17
	ds_store_2addr_b64 v26, v[10:11], v[12:13] offset0:4 offset1:5
	ds_store_2addr_b64 v28, v[10:11], v[12:13] offset0:2 offset1:3
	v_and_b32_e32 v0, v0, v18
	v_xor_b32_e32 v2, vcc_lo, v20
	v_cmp_gt_i32_e32 vcc_lo, 0, v19
	v_ashrrev_i32_e32 v3, 31, v3
	s_waitcnt lgkmcnt(0)
	s_barrier
	v_and_b32_e32 v0, v0, v2
	buffer_gl0_inv
	v_xor_b32_e32 v1, vcc_lo, v3
	; wave barrier
	s_delay_alu instid0(VALU_DEP_1) | instskip(SKIP_1) | instid1(VALU_DEP_2)
	v_and_b32_e32 v0, v0, v1
	v_bfe_u32 v1, v23, s16, 8
	v_mbcnt_lo_u32_b32 v14, v0, 0
	s_delay_alu instid0(VALU_DEP_2) | instskip(SKIP_1) | instid1(VALU_DEP_3)
	v_lshl_add_u32 v1, v1, 3, v34
	v_cmp_ne_u32_e64 s13, 0, v0
	v_cmp_eq_u32_e32 vcc_lo, 0, v14
	s_delay_alu instid0(VALU_DEP_3) | instskip(NEXT) | instid1(VALU_DEP_3)
	v_lshl_add_u32 v15, v1, 2, 32
	s_and_b32 s17, s13, vcc_lo
	s_delay_alu instid0(SALU_CYCLE_1)
	s_and_saveexec_b32 s13, s17
	s_cbranch_execz .LBB223_6
; %bb.5:                                ;   in Loop: Header=BB223_4 Depth=2
	v_bcnt_u32_b32 v0, v0, 0
	ds_store_b32 v15, v0
.LBB223_6:                              ;   in Loop: Header=BB223_4 Depth=2
	s_or_b32 exec_lo, exec_lo, s13
	v_bfe_u32 v0, v45, s16, 1
	v_lshrrev_b32_e32 v1, s16, v45
	; wave barrier
	s_delay_alu instid0(VALU_DEP_2) | instskip(NEXT) | instid1(VALU_DEP_1)
	v_add_co_u32 v0, s13, v0, -1
	v_cndmask_b32_e64 v2, 0, 1, s13
	s_delay_alu instid0(VALU_DEP_3)
	v_lshlrev_b32_e32 v3, 30, v1
	v_lshlrev_b32_e32 v4, 29, v1
	;; [unrolled: 1-line block ×4, first 2 shown]
	v_cmp_ne_u32_e32 vcc_lo, 0, v2
	v_not_b32_e32 v2, v3
	v_cmp_gt_i32_e64 s13, 0, v3
	v_not_b32_e32 v3, v4
	v_lshlrev_b32_e32 v7, 26, v1
	v_xor_b32_e32 v0, vcc_lo, v0
	v_ashrrev_i32_e32 v2, 31, v2
	v_cmp_gt_i32_e32 vcc_lo, 0, v4
	v_not_b32_e32 v4, v5
	v_ashrrev_i32_e32 v3, 31, v3
	v_and_b32_e32 v0, exec_lo, v0
	v_xor_b32_e32 v2, s13, v2
	v_cmp_gt_i32_e64 s13, 0, v5
	v_not_b32_e32 v5, v6
	v_ashrrev_i32_e32 v4, 31, v4
	v_xor_b32_e32 v3, vcc_lo, v3
	v_and_b32_e32 v0, v0, v2
	v_cmp_gt_i32_e32 vcc_lo, 0, v6
	v_not_b32_e32 v2, v7
	v_ashrrev_i32_e32 v5, 31, v5
	v_xor_b32_e32 v4, s13, v4
	v_and_b32_e32 v0, v0, v3
	v_lshlrev_b32_e32 v3, 25, v1
	v_cmp_gt_i32_e64 s13, 0, v7
	v_ashrrev_i32_e32 v2, 31, v2
	v_xor_b32_e32 v5, vcc_lo, v5
	v_and_b32_e32 v0, v0, v4
	v_not_b32_e32 v6, v3
	v_lshlrev_b32_e32 v1, 24, v1
	v_bfe_u32 v4, v45, s16, 8
	v_xor_b32_e32 v2, s13, v2
	v_and_b32_e32 v0, v0, v5
	v_cmp_gt_i32_e32 vcc_lo, 0, v3
	v_ashrrev_i32_e32 v3, 31, v6
	v_not_b32_e32 v5, v1
	v_lshlrev_b32_e32 v4, 3, v4
	v_and_b32_e32 v0, v0, v2
	s_delay_alu instid0(VALU_DEP_4) | instskip(SKIP_3) | instid1(VALU_DEP_4)
	v_xor_b32_e32 v2, vcc_lo, v3
	v_cmp_gt_i32_e32 vcc_lo, 0, v1
	v_ashrrev_i32_e32 v1, 31, v5
	v_add_lshl_u32 v3, v4, v34, 2
	v_and_b32_e32 v0, v0, v2
	s_delay_alu instid0(VALU_DEP_3) | instskip(SKIP_3) | instid1(VALU_DEP_1)
	v_xor_b32_e32 v1, vcc_lo, v1
	ds_load_b32 v16, v3 offset:32
	v_add_nc_u32_e32 v18, 32, v3
	; wave barrier
	v_and_b32_e32 v0, v0, v1
	v_mbcnt_lo_u32_b32 v17, v0, 0
	v_cmp_ne_u32_e64 s13, 0, v0
	s_delay_alu instid0(VALU_DEP_2) | instskip(NEXT) | instid1(VALU_DEP_2)
	v_cmp_eq_u32_e32 vcc_lo, 0, v17
	s_and_b32 s17, s13, vcc_lo
	s_delay_alu instid0(SALU_CYCLE_1)
	s_and_saveexec_b32 s13, s17
	s_cbranch_execz .LBB223_8
; %bb.7:                                ;   in Loop: Header=BB223_4 Depth=2
	s_waitcnt lgkmcnt(0)
	v_bcnt_u32_b32 v0, v0, v16
	ds_store_b32 v18, v0
.LBB223_8:                              ;   in Loop: Header=BB223_4 Depth=2
	s_or_b32 exec_lo, exec_lo, s13
	v_bfe_u32 v0, v44, s16, 1
	v_lshrrev_b32_e32 v1, s16, v44
	; wave barrier
	s_delay_alu instid0(VALU_DEP_2) | instskip(NEXT) | instid1(VALU_DEP_1)
	v_add_co_u32 v0, s13, v0, -1
	v_cndmask_b32_e64 v2, 0, 1, s13
	s_delay_alu instid0(VALU_DEP_3)
	v_lshlrev_b32_e32 v3, 30, v1
	v_lshlrev_b32_e32 v4, 29, v1
	;; [unrolled: 1-line block ×4, first 2 shown]
	v_cmp_ne_u32_e32 vcc_lo, 0, v2
	v_not_b32_e32 v2, v3
	v_cmp_gt_i32_e64 s13, 0, v3
	v_not_b32_e32 v3, v4
	v_lshlrev_b32_e32 v7, 26, v1
	v_xor_b32_e32 v0, vcc_lo, v0
	v_ashrrev_i32_e32 v2, 31, v2
	v_cmp_gt_i32_e32 vcc_lo, 0, v4
	v_not_b32_e32 v4, v5
	v_ashrrev_i32_e32 v3, 31, v3
	v_and_b32_e32 v0, exec_lo, v0
	v_xor_b32_e32 v2, s13, v2
	v_cmp_gt_i32_e64 s13, 0, v5
	v_not_b32_e32 v5, v6
	v_ashrrev_i32_e32 v4, 31, v4
	v_xor_b32_e32 v3, vcc_lo, v3
	v_and_b32_e32 v0, v0, v2
	v_cmp_gt_i32_e32 vcc_lo, 0, v6
	v_not_b32_e32 v2, v7
	v_ashrrev_i32_e32 v5, 31, v5
	v_xor_b32_e32 v4, s13, v4
	v_and_b32_e32 v0, v0, v3
	v_lshlrev_b32_e32 v3, 25, v1
	v_cmp_gt_i32_e64 s13, 0, v7
	v_ashrrev_i32_e32 v2, 31, v2
	v_xor_b32_e32 v5, vcc_lo, v5
	v_and_b32_e32 v0, v0, v4
	v_not_b32_e32 v6, v3
	v_lshlrev_b32_e32 v1, 24, v1
	v_bfe_u32 v4, v44, s16, 8
	v_xor_b32_e32 v2, s13, v2
	v_and_b32_e32 v0, v0, v5
	v_cmp_gt_i32_e32 vcc_lo, 0, v3
	v_ashrrev_i32_e32 v3, 31, v6
	v_not_b32_e32 v5, v1
	v_lshlrev_b32_e32 v4, 3, v4
	v_and_b32_e32 v0, v0, v2
	s_delay_alu instid0(VALU_DEP_4) | instskip(SKIP_3) | instid1(VALU_DEP_4)
	v_xor_b32_e32 v2, vcc_lo, v3
	v_cmp_gt_i32_e32 vcc_lo, 0, v1
	v_ashrrev_i32_e32 v1, 31, v5
	v_add_lshl_u32 v3, v4, v34, 2
	v_and_b32_e32 v0, v0, v2
	s_delay_alu instid0(VALU_DEP_3) | instskip(SKIP_3) | instid1(VALU_DEP_1)
	v_xor_b32_e32 v1, vcc_lo, v1
	ds_load_b32 v19, v3 offset:32
	v_add_nc_u32_e32 v21, 32, v3
	; wave barrier
	v_and_b32_e32 v0, v0, v1
	v_mbcnt_lo_u32_b32 v20, v0, 0
	v_cmp_ne_u32_e64 s13, 0, v0
	s_delay_alu instid0(VALU_DEP_2) | instskip(NEXT) | instid1(VALU_DEP_2)
	v_cmp_eq_u32_e32 vcc_lo, 0, v20
	s_and_b32 s17, s13, vcc_lo
	s_delay_alu instid0(SALU_CYCLE_1)
	s_and_saveexec_b32 s13, s17
	s_cbranch_execz .LBB223_10
; %bb.9:                                ;   in Loop: Header=BB223_4 Depth=2
	s_waitcnt lgkmcnt(0)
	v_bcnt_u32_b32 v0, v0, v19
	ds_store_b32 v21, v0
.LBB223_10:                             ;   in Loop: Header=BB223_4 Depth=2
	s_or_b32 exec_lo, exec_lo, s13
	v_bfe_u32 v0, v43, s16, 1
	v_lshrrev_b32_e32 v1, s16, v43
	; wave barrier
	s_delay_alu instid0(VALU_DEP_2) | instskip(NEXT) | instid1(VALU_DEP_1)
	v_add_co_u32 v0, s13, v0, -1
	v_cndmask_b32_e64 v2, 0, 1, s13
	s_delay_alu instid0(VALU_DEP_3)
	v_lshlrev_b32_e32 v3, 30, v1
	v_lshlrev_b32_e32 v4, 29, v1
	;; [unrolled: 1-line block ×4, first 2 shown]
	v_cmp_ne_u32_e32 vcc_lo, 0, v2
	v_not_b32_e32 v2, v3
	v_cmp_gt_i32_e64 s13, 0, v3
	v_not_b32_e32 v3, v4
	v_lshlrev_b32_e32 v7, 26, v1
	v_xor_b32_e32 v0, vcc_lo, v0
	v_ashrrev_i32_e32 v2, 31, v2
	v_cmp_gt_i32_e32 vcc_lo, 0, v4
	v_not_b32_e32 v4, v5
	v_ashrrev_i32_e32 v3, 31, v3
	v_and_b32_e32 v0, exec_lo, v0
	v_xor_b32_e32 v2, s13, v2
	v_cmp_gt_i32_e64 s13, 0, v5
	v_not_b32_e32 v5, v6
	v_ashrrev_i32_e32 v4, 31, v4
	v_xor_b32_e32 v3, vcc_lo, v3
	v_and_b32_e32 v0, v0, v2
	v_cmp_gt_i32_e32 vcc_lo, 0, v6
	v_not_b32_e32 v2, v7
	v_ashrrev_i32_e32 v5, 31, v5
	v_xor_b32_e32 v4, s13, v4
	v_and_b32_e32 v0, v0, v3
	v_lshlrev_b32_e32 v3, 25, v1
	v_cmp_gt_i32_e64 s13, 0, v7
	v_ashrrev_i32_e32 v2, 31, v2
	v_xor_b32_e32 v5, vcc_lo, v5
	v_and_b32_e32 v0, v0, v4
	v_not_b32_e32 v6, v3
	v_lshlrev_b32_e32 v1, 24, v1
	v_bfe_u32 v4, v43, s16, 8
	v_xor_b32_e32 v2, s13, v2
	v_and_b32_e32 v0, v0, v5
	v_cmp_gt_i32_e32 vcc_lo, 0, v3
	v_ashrrev_i32_e32 v3, 31, v6
	v_not_b32_e32 v5, v1
	v_lshlrev_b32_e32 v4, 3, v4
	v_and_b32_e32 v0, v0, v2
	s_delay_alu instid0(VALU_DEP_4) | instskip(SKIP_3) | instid1(VALU_DEP_4)
	v_xor_b32_e32 v2, vcc_lo, v3
	v_cmp_gt_i32_e32 vcc_lo, 0, v1
	v_ashrrev_i32_e32 v1, 31, v5
	v_add_lshl_u32 v3, v4, v34, 2
	v_and_b32_e32 v0, v0, v2
	s_delay_alu instid0(VALU_DEP_3) | instskip(SKIP_3) | instid1(VALU_DEP_1)
	v_xor_b32_e32 v1, vcc_lo, v1
	ds_load_b32 v46, v3 offset:32
	v_add_nc_u32_e32 v48, 32, v3
	; wave barrier
	v_and_b32_e32 v0, v0, v1
	v_mbcnt_lo_u32_b32 v47, v0, 0
	v_cmp_ne_u32_e64 s13, 0, v0
	s_delay_alu instid0(VALU_DEP_2) | instskip(NEXT) | instid1(VALU_DEP_2)
	v_cmp_eq_u32_e32 vcc_lo, 0, v47
	s_and_b32 s17, s13, vcc_lo
	s_delay_alu instid0(SALU_CYCLE_1)
	s_and_saveexec_b32 s13, s17
	s_cbranch_execz .LBB223_12
; %bb.11:                               ;   in Loop: Header=BB223_4 Depth=2
	s_waitcnt lgkmcnt(0)
	v_bcnt_u32_b32 v0, v0, v46
	ds_store_b32 v48, v0
.LBB223_12:                             ;   in Loop: Header=BB223_4 Depth=2
	s_or_b32 exec_lo, exec_lo, s13
	v_bfe_u32 v0, v25, s16, 1
	v_lshrrev_b32_e32 v1, s16, v25
	; wave barrier
	s_delay_alu instid0(VALU_DEP_2) | instskip(NEXT) | instid1(VALU_DEP_1)
	v_add_co_u32 v0, s13, v0, -1
	v_cndmask_b32_e64 v2, 0, 1, s13
	s_delay_alu instid0(VALU_DEP_3)
	v_lshlrev_b32_e32 v3, 30, v1
	v_lshlrev_b32_e32 v4, 29, v1
	;; [unrolled: 1-line block ×4, first 2 shown]
	v_cmp_ne_u32_e32 vcc_lo, 0, v2
	v_not_b32_e32 v2, v3
	v_cmp_gt_i32_e64 s13, 0, v3
	v_not_b32_e32 v3, v4
	v_lshlrev_b32_e32 v7, 26, v1
	v_xor_b32_e32 v0, vcc_lo, v0
	v_ashrrev_i32_e32 v2, 31, v2
	v_cmp_gt_i32_e32 vcc_lo, 0, v4
	v_not_b32_e32 v4, v5
	v_ashrrev_i32_e32 v3, 31, v3
	v_and_b32_e32 v0, exec_lo, v0
	v_xor_b32_e32 v2, s13, v2
	v_cmp_gt_i32_e64 s13, 0, v5
	v_not_b32_e32 v5, v6
	v_ashrrev_i32_e32 v4, 31, v4
	v_xor_b32_e32 v3, vcc_lo, v3
	v_and_b32_e32 v0, v0, v2
	v_cmp_gt_i32_e32 vcc_lo, 0, v6
	v_not_b32_e32 v2, v7
	v_ashrrev_i32_e32 v5, 31, v5
	v_xor_b32_e32 v4, s13, v4
	v_and_b32_e32 v0, v0, v3
	v_lshlrev_b32_e32 v3, 25, v1
	v_cmp_gt_i32_e64 s13, 0, v7
	v_ashrrev_i32_e32 v2, 31, v2
	v_xor_b32_e32 v5, vcc_lo, v5
	v_and_b32_e32 v0, v0, v4
	v_not_b32_e32 v6, v3
	v_lshlrev_b32_e32 v1, 24, v1
	v_bfe_u32 v4, v25, s16, 8
	v_xor_b32_e32 v2, s13, v2
	v_and_b32_e32 v0, v0, v5
	v_cmp_gt_i32_e32 vcc_lo, 0, v3
	v_ashrrev_i32_e32 v3, 31, v6
	v_not_b32_e32 v5, v1
	v_lshlrev_b32_e32 v4, 3, v4
	v_and_b32_e32 v0, v0, v2
	s_delay_alu instid0(VALU_DEP_4) | instskip(SKIP_3) | instid1(VALU_DEP_4)
	v_xor_b32_e32 v2, vcc_lo, v3
	v_cmp_gt_i32_e32 vcc_lo, 0, v1
	v_ashrrev_i32_e32 v1, 31, v5
	v_add_lshl_u32 v3, v4, v34, 2
	v_and_b32_e32 v0, v0, v2
	s_delay_alu instid0(VALU_DEP_3) | instskip(SKIP_3) | instid1(VALU_DEP_1)
	v_xor_b32_e32 v1, vcc_lo, v1
	ds_load_b32 v49, v3 offset:32
	v_add_nc_u32_e32 v51, 32, v3
	; wave barrier
	v_and_b32_e32 v0, v0, v1
	v_mbcnt_lo_u32_b32 v50, v0, 0
	v_cmp_ne_u32_e64 s13, 0, v0
	s_delay_alu instid0(VALU_DEP_2) | instskip(NEXT) | instid1(VALU_DEP_2)
	v_cmp_eq_u32_e32 vcc_lo, 0, v50
	s_and_b32 s17, s13, vcc_lo
	s_delay_alu instid0(SALU_CYCLE_1)
	s_and_saveexec_b32 s13, s17
	s_cbranch_execz .LBB223_14
; %bb.13:                               ;   in Loop: Header=BB223_4 Depth=2
	s_waitcnt lgkmcnt(0)
	v_bcnt_u32_b32 v0, v0, v49
	ds_store_b32 v51, v0
.LBB223_14:                             ;   in Loop: Header=BB223_4 Depth=2
	s_or_b32 exec_lo, exec_lo, s13
	v_bfe_u32 v0, v24, s16, 1
	v_lshrrev_b32_e32 v1, s16, v24
	; wave barrier
	s_delay_alu instid0(VALU_DEP_2) | instskip(NEXT) | instid1(VALU_DEP_1)
	v_add_co_u32 v0, s13, v0, -1
	v_cndmask_b32_e64 v2, 0, 1, s13
	s_delay_alu instid0(VALU_DEP_3)
	v_lshlrev_b32_e32 v3, 30, v1
	v_lshlrev_b32_e32 v4, 29, v1
	v_lshlrev_b32_e32 v5, 28, v1
	v_lshlrev_b32_e32 v6, 27, v1
	v_cmp_ne_u32_e32 vcc_lo, 0, v2
	v_not_b32_e32 v2, v3
	v_cmp_gt_i32_e64 s13, 0, v3
	v_not_b32_e32 v3, v4
	v_lshlrev_b32_e32 v7, 26, v1
	v_xor_b32_e32 v0, vcc_lo, v0
	v_ashrrev_i32_e32 v2, 31, v2
	v_cmp_gt_i32_e32 vcc_lo, 0, v4
	v_not_b32_e32 v4, v5
	v_ashrrev_i32_e32 v3, 31, v3
	v_and_b32_e32 v0, exec_lo, v0
	v_xor_b32_e32 v2, s13, v2
	v_cmp_gt_i32_e64 s13, 0, v5
	v_not_b32_e32 v5, v6
	v_ashrrev_i32_e32 v4, 31, v4
	v_xor_b32_e32 v3, vcc_lo, v3
	v_and_b32_e32 v0, v0, v2
	v_cmp_gt_i32_e32 vcc_lo, 0, v6
	v_not_b32_e32 v2, v7
	v_ashrrev_i32_e32 v5, 31, v5
	v_xor_b32_e32 v4, s13, v4
	v_and_b32_e32 v0, v0, v3
	v_lshlrev_b32_e32 v3, 25, v1
	v_cmp_gt_i32_e64 s13, 0, v7
	v_ashrrev_i32_e32 v2, 31, v2
	v_xor_b32_e32 v5, vcc_lo, v5
	v_and_b32_e32 v0, v0, v4
	v_not_b32_e32 v6, v3
	v_lshlrev_b32_e32 v1, 24, v1
	v_bfe_u32 v4, v24, s16, 8
	v_xor_b32_e32 v2, s13, v2
	v_and_b32_e32 v0, v0, v5
	v_cmp_gt_i32_e32 vcc_lo, 0, v3
	v_ashrrev_i32_e32 v3, 31, v6
	v_not_b32_e32 v5, v1
	v_lshlrev_b32_e32 v4, 3, v4
	v_and_b32_e32 v0, v0, v2
	s_delay_alu instid0(VALU_DEP_4) | instskip(SKIP_3) | instid1(VALU_DEP_4)
	v_xor_b32_e32 v2, vcc_lo, v3
	v_cmp_gt_i32_e32 vcc_lo, 0, v1
	v_ashrrev_i32_e32 v1, 31, v5
	v_add_lshl_u32 v3, v4, v34, 2
	v_and_b32_e32 v0, v0, v2
	s_delay_alu instid0(VALU_DEP_3) | instskip(SKIP_3) | instid1(VALU_DEP_1)
	v_xor_b32_e32 v1, vcc_lo, v1
	ds_load_b32 v52, v3 offset:32
	v_add_nc_u32_e32 v54, 32, v3
	; wave barrier
	v_and_b32_e32 v0, v0, v1
	v_mbcnt_lo_u32_b32 v53, v0, 0
	v_cmp_ne_u32_e64 s13, 0, v0
	s_delay_alu instid0(VALU_DEP_2) | instskip(NEXT) | instid1(VALU_DEP_2)
	v_cmp_eq_u32_e32 vcc_lo, 0, v53
	s_and_b32 s17, s13, vcc_lo
	s_delay_alu instid0(SALU_CYCLE_1)
	s_and_saveexec_b32 s13, s17
	s_cbranch_execz .LBB223_16
; %bb.15:                               ;   in Loop: Header=BB223_4 Depth=2
	s_waitcnt lgkmcnt(0)
	v_bcnt_u32_b32 v0, v0, v52
	ds_store_b32 v54, v0
.LBB223_16:                             ;   in Loop: Header=BB223_4 Depth=2
	s_or_b32 exec_lo, exec_lo, s13
	v_bfe_u32 v0, v22, s16, 1
	v_lshrrev_b32_e32 v1, s16, v22
	; wave barrier
	s_delay_alu instid0(VALU_DEP_2) | instskip(NEXT) | instid1(VALU_DEP_1)
	v_add_co_u32 v0, s13, v0, -1
	v_cndmask_b32_e64 v2, 0, 1, s13
	s_delay_alu instid0(VALU_DEP_3)
	v_lshlrev_b32_e32 v3, 30, v1
	v_lshlrev_b32_e32 v4, 29, v1
	;; [unrolled: 1-line block ×4, first 2 shown]
	v_cmp_ne_u32_e32 vcc_lo, 0, v2
	v_not_b32_e32 v2, v3
	v_cmp_gt_i32_e64 s13, 0, v3
	v_not_b32_e32 v3, v4
	v_lshlrev_b32_e32 v7, 26, v1
	v_xor_b32_e32 v0, vcc_lo, v0
	v_ashrrev_i32_e32 v2, 31, v2
	v_cmp_gt_i32_e32 vcc_lo, 0, v4
	v_not_b32_e32 v4, v5
	v_ashrrev_i32_e32 v3, 31, v3
	v_and_b32_e32 v0, exec_lo, v0
	v_xor_b32_e32 v2, s13, v2
	v_cmp_gt_i32_e64 s13, 0, v5
	v_not_b32_e32 v5, v6
	v_ashrrev_i32_e32 v4, 31, v4
	v_xor_b32_e32 v3, vcc_lo, v3
	v_and_b32_e32 v0, v0, v2
	v_cmp_gt_i32_e32 vcc_lo, 0, v6
	v_not_b32_e32 v2, v7
	v_ashrrev_i32_e32 v5, 31, v5
	v_xor_b32_e32 v4, s13, v4
	v_and_b32_e32 v0, v0, v3
	v_lshlrev_b32_e32 v3, 25, v1
	v_cmp_gt_i32_e64 s13, 0, v7
	v_ashrrev_i32_e32 v2, 31, v2
	v_xor_b32_e32 v5, vcc_lo, v5
	v_and_b32_e32 v0, v0, v4
	v_not_b32_e32 v6, v3
	v_lshlrev_b32_e32 v1, 24, v1
	v_bfe_u32 v4, v22, s16, 8
	v_xor_b32_e32 v2, s13, v2
	v_and_b32_e32 v0, v0, v5
	v_cmp_gt_i32_e32 vcc_lo, 0, v3
	v_ashrrev_i32_e32 v3, 31, v6
	v_not_b32_e32 v5, v1
	v_lshlrev_b32_e32 v4, 3, v4
	v_and_b32_e32 v0, v0, v2
	s_delay_alu instid0(VALU_DEP_4) | instskip(SKIP_3) | instid1(VALU_DEP_4)
	v_xor_b32_e32 v2, vcc_lo, v3
	v_cmp_gt_i32_e32 vcc_lo, 0, v1
	v_ashrrev_i32_e32 v1, 31, v5
	v_add_lshl_u32 v3, v4, v34, 2
	v_and_b32_e32 v0, v0, v2
	s_delay_alu instid0(VALU_DEP_3) | instskip(SKIP_3) | instid1(VALU_DEP_1)
	v_xor_b32_e32 v1, vcc_lo, v1
	ds_load_b32 v55, v3 offset:32
	v_add_nc_u32_e32 v57, 32, v3
	; wave barrier
	v_and_b32_e32 v0, v0, v1
	v_mbcnt_lo_u32_b32 v56, v0, 0
	v_cmp_ne_u32_e64 s13, 0, v0
	s_delay_alu instid0(VALU_DEP_2) | instskip(NEXT) | instid1(VALU_DEP_2)
	v_cmp_eq_u32_e32 vcc_lo, 0, v56
	s_and_b32 s17, s13, vcc_lo
	s_delay_alu instid0(SALU_CYCLE_1)
	s_and_saveexec_b32 s13, s17
	s_cbranch_execz .LBB223_18
; %bb.17:                               ;   in Loop: Header=BB223_4 Depth=2
	s_waitcnt lgkmcnt(0)
	v_bcnt_u32_b32 v0, v0, v55
	ds_store_b32 v57, v0
.LBB223_18:                             ;   in Loop: Header=BB223_4 Depth=2
	s_or_b32 exec_lo, exec_lo, s13
	v_bfe_u32 v0, v8, s16, 1
	v_lshrrev_b32_e32 v1, s16, v8
	; wave barrier
	s_delay_alu instid0(VALU_DEP_2) | instskip(NEXT) | instid1(VALU_DEP_1)
	v_add_co_u32 v0, s13, v0, -1
	v_cndmask_b32_e64 v2, 0, 1, s13
	s_delay_alu instid0(VALU_DEP_3)
	v_lshlrev_b32_e32 v3, 30, v1
	v_lshlrev_b32_e32 v4, 29, v1
	;; [unrolled: 1-line block ×4, first 2 shown]
	v_cmp_ne_u32_e32 vcc_lo, 0, v2
	v_not_b32_e32 v2, v3
	v_cmp_gt_i32_e64 s13, 0, v3
	v_not_b32_e32 v3, v4
	v_lshlrev_b32_e32 v7, 26, v1
	v_xor_b32_e32 v0, vcc_lo, v0
	v_ashrrev_i32_e32 v2, 31, v2
	v_cmp_gt_i32_e32 vcc_lo, 0, v4
	v_not_b32_e32 v4, v5
	v_ashrrev_i32_e32 v3, 31, v3
	v_and_b32_e32 v0, exec_lo, v0
	v_xor_b32_e32 v2, s13, v2
	v_cmp_gt_i32_e64 s13, 0, v5
	v_not_b32_e32 v5, v6
	v_ashrrev_i32_e32 v4, 31, v4
	v_xor_b32_e32 v3, vcc_lo, v3
	v_and_b32_e32 v0, v0, v2
	v_cmp_gt_i32_e32 vcc_lo, 0, v6
	v_not_b32_e32 v2, v7
	v_ashrrev_i32_e32 v5, 31, v5
	v_xor_b32_e32 v4, s13, v4
	v_and_b32_e32 v0, v0, v3
	v_lshlrev_b32_e32 v3, 25, v1
	v_cmp_gt_i32_e64 s13, 0, v7
	v_ashrrev_i32_e32 v2, 31, v2
	v_xor_b32_e32 v5, vcc_lo, v5
	v_and_b32_e32 v0, v0, v4
	v_not_b32_e32 v6, v3
	v_lshlrev_b32_e32 v1, 24, v1
	v_bfe_u32 v4, v8, s16, 8
	v_xor_b32_e32 v2, s13, v2
	v_and_b32_e32 v0, v0, v5
	v_cmp_gt_i32_e32 vcc_lo, 0, v3
	v_ashrrev_i32_e32 v3, 31, v6
	v_not_b32_e32 v5, v1
	v_lshlrev_b32_e32 v4, 3, v4
	v_and_b32_e32 v0, v0, v2
	s_delay_alu instid0(VALU_DEP_4) | instskip(SKIP_3) | instid1(VALU_DEP_4)
	v_xor_b32_e32 v2, vcc_lo, v3
	v_cmp_gt_i32_e32 vcc_lo, 0, v1
	v_ashrrev_i32_e32 v1, 31, v5
	v_add_lshl_u32 v3, v4, v34, 2
	v_and_b32_e32 v0, v0, v2
	s_delay_alu instid0(VALU_DEP_3) | instskip(SKIP_3) | instid1(VALU_DEP_1)
	v_xor_b32_e32 v1, vcc_lo, v1
	ds_load_b32 v59, v3 offset:32
	v_add_nc_u32_e32 v58, 32, v3
	; wave barrier
	v_and_b32_e32 v0, v0, v1
	v_mbcnt_lo_u32_b32 v60, v0, 0
	v_cmp_ne_u32_e64 s13, 0, v0
	s_delay_alu instid0(VALU_DEP_2) | instskip(NEXT) | instid1(VALU_DEP_2)
	v_cmp_eq_u32_e32 vcc_lo, 0, v60
	s_and_b32 s17, s13, vcc_lo
	s_delay_alu instid0(SALU_CYCLE_1)
	s_and_saveexec_b32 s13, s17
	s_cbranch_execz .LBB223_20
; %bb.19:                               ;   in Loop: Header=BB223_4 Depth=2
	s_waitcnt lgkmcnt(0)
	v_bcnt_u32_b32 v0, v0, v59
	ds_store_b32 v58, v0
.LBB223_20:                             ;   in Loop: Header=BB223_4 Depth=2
	s_or_b32 exec_lo, exec_lo, s13
	; wave barrier
	s_waitcnt lgkmcnt(0)
	s_barrier
	buffer_gl0_inv
	ds_load_2addr_b64 v[4:7], v26 offset0:4 offset1:5
	ds_load_2addr_b64 v[0:3], v28 offset0:2 offset1:3
	s_waitcnt lgkmcnt(1)
	v_add_nc_u32_e32 v61, v5, v4
	s_delay_alu instid0(VALU_DEP_1) | instskip(SKIP_1) | instid1(VALU_DEP_1)
	v_add3_u32 v61, v61, v6, v7
	s_waitcnt lgkmcnt(0)
	v_add3_u32 v61, v61, v0, v1
	s_delay_alu instid0(VALU_DEP_1) | instskip(NEXT) | instid1(VALU_DEP_1)
	v_add3_u32 v3, v61, v2, v3
	v_mov_b32_dpp v61, v3 row_shr:1 row_mask:0xf bank_mask:0xf
	s_delay_alu instid0(VALU_DEP_1) | instskip(NEXT) | instid1(VALU_DEP_1)
	v_cndmask_b32_e64 v61, v61, 0, s1
	v_add_nc_u32_e32 v3, v61, v3
	s_delay_alu instid0(VALU_DEP_1) | instskip(NEXT) | instid1(VALU_DEP_1)
	v_mov_b32_dpp v61, v3 row_shr:2 row_mask:0xf bank_mask:0xf
	v_cndmask_b32_e64 v61, 0, v61, s2
	s_delay_alu instid0(VALU_DEP_1) | instskip(NEXT) | instid1(VALU_DEP_1)
	v_add_nc_u32_e32 v3, v3, v61
	v_mov_b32_dpp v61, v3 row_shr:4 row_mask:0xf bank_mask:0xf
	s_delay_alu instid0(VALU_DEP_1) | instskip(NEXT) | instid1(VALU_DEP_1)
	v_cndmask_b32_e64 v61, 0, v61, s3
	v_add_nc_u32_e32 v3, v3, v61
	s_delay_alu instid0(VALU_DEP_1) | instskip(NEXT) | instid1(VALU_DEP_1)
	v_mov_b32_dpp v61, v3 row_shr:8 row_mask:0xf bank_mask:0xf
	v_cndmask_b32_e64 v61, 0, v61, s4
	s_delay_alu instid0(VALU_DEP_1) | instskip(SKIP_3) | instid1(VALU_DEP_1)
	v_add_nc_u32_e32 v3, v3, v61
	ds_swizzle_b32 v61, v3 offset:swizzle(BROADCAST,32,15)
	s_waitcnt lgkmcnt(0)
	v_cndmask_b32_e64 v61, v61, 0, s5
	v_add_nc_u32_e32 v3, v3, v61
	s_and_saveexec_b32 s13, s12
	s_cbranch_execz .LBB223_22
; %bb.21:                               ;   in Loop: Header=BB223_4 Depth=2
	ds_store_b32 v29, v3
.LBB223_22:                             ;   in Loop: Header=BB223_4 Depth=2
	s_or_b32 exec_lo, exec_lo, s13
	s_waitcnt lgkmcnt(0)
	s_barrier
	buffer_gl0_inv
	s_and_saveexec_b32 s13, s6
	s_cbranch_execz .LBB223_24
; %bb.23:                               ;   in Loop: Header=BB223_4 Depth=2
	v_add_nc_u32_e32 v61, v26, v27
	ds_load_b32 v62, v61
	s_waitcnt lgkmcnt(0)
	v_mov_b32_dpp v63, v62 row_shr:1 row_mask:0xf bank_mask:0xf
	s_delay_alu instid0(VALU_DEP_1) | instskip(NEXT) | instid1(VALU_DEP_1)
	v_cndmask_b32_e64 v63, v63, 0, s9
	v_add_nc_u32_e32 v62, v63, v62
	s_delay_alu instid0(VALU_DEP_1) | instskip(NEXT) | instid1(VALU_DEP_1)
	v_mov_b32_dpp v63, v62 row_shr:2 row_mask:0xf bank_mask:0xf
	v_cndmask_b32_e64 v63, 0, v63, s10
	s_delay_alu instid0(VALU_DEP_1) | instskip(NEXT) | instid1(VALU_DEP_1)
	v_add_nc_u32_e32 v62, v62, v63
	v_mov_b32_dpp v63, v62 row_shr:4 row_mask:0xf bank_mask:0xf
	s_delay_alu instid0(VALU_DEP_1) | instskip(NEXT) | instid1(VALU_DEP_1)
	v_cndmask_b32_e64 v63, 0, v63, s11
	v_add_nc_u32_e32 v62, v62, v63
	ds_store_b32 v61, v62
.LBB223_24:                             ;   in Loop: Header=BB223_4 Depth=2
	s_or_b32 exec_lo, exec_lo, s13
	v_mov_b32_e32 v61, 0
	s_waitcnt lgkmcnt(0)
	s_barrier
	buffer_gl0_inv
	s_and_saveexec_b32 s13, s7
	s_cbranch_execz .LBB223_26
; %bb.25:                               ;   in Loop: Header=BB223_4 Depth=2
	ds_load_b32 v61, v33
.LBB223_26:                             ;   in Loop: Header=BB223_4 Depth=2
	s_or_b32 exec_lo, exec_lo, s13
	s_waitcnt lgkmcnt(0)
	v_add_nc_u32_e32 v3, v61, v3
	s_cmp_gt_u32 s16, 23
	ds_bpermute_b32 v3, v30, v3
	s_waitcnt lgkmcnt(0)
	v_cndmask_b32_e64 v3, v3, v61, s0
	s_delay_alu instid0(VALU_DEP_1) | instskip(NEXT) | instid1(VALU_DEP_1)
	v_cndmask_b32_e64 v3, v3, 0, s8
	v_add_nc_u32_e32 v4, v3, v4
	s_delay_alu instid0(VALU_DEP_1) | instskip(NEXT) | instid1(VALU_DEP_1)
	v_add_nc_u32_e32 v5, v4, v5
	v_add_nc_u32_e32 v6, v5, v6
	s_delay_alu instid0(VALU_DEP_1) | instskip(NEXT) | instid1(VALU_DEP_1)
	v_add_nc_u32_e32 v61, v6, v7
	;; [unrolled: 3-line block ×3, first 2 shown]
	v_add_nc_u32_e32 v1, v0, v2
	ds_store_2addr_b64 v26, v[3:4], v[5:6] offset0:4 offset1:5
	ds_store_2addr_b64 v28, v[61:62], v[0:1] offset0:2 offset1:3
	s_waitcnt lgkmcnt(0)
	s_barrier
	buffer_gl0_inv
	ds_load_b32 v0, v15
	ds_load_b32 v1, v18
	;; [unrolled: 1-line block ×8, first 2 shown]
	s_waitcnt lgkmcnt(7)
	v_add_nc_u32_e32 v58, v0, v14
	s_waitcnt lgkmcnt(6)
	v_add3_u32 v57, v17, v16, v1
	s_waitcnt lgkmcnt(5)
	v_add3_u32 v54, v20, v19, v2
	;; [unrolled: 2-line block ×7, first 2 shown]
	s_cbranch_scc0 .LBB223_3
; %bb.27:                               ;   in Loop: Header=BB223_2 Depth=1
                                        ; implicit-def: $vgpr21
                                        ; implicit-def: $vgpr19
                                        ; implicit-def: $vgpr3
                                        ; implicit-def: $vgpr1
                                        ; implicit-def: $vgpr17
                                        ; implicit-def: $vgpr15
                                        ; implicit-def: $vgpr7
                                        ; implicit-def: $vgpr5
                                        ; implicit-def: $sgpr16
	s_branch .LBB223_1
.LBB223_28:
	v_lshlrev_b32_e32 v9, 2, v9
	s_add_u32 s0, s18, s14
	s_addc_u32 s1, s19, s15
	s_waitcnt lgkmcnt(1)
	v_add_nc_u32_e32 v10, v1, v16
	v_add_nc_u32_e32 v5, v5, v22
	v_add_co_u32 v0, s2, s0, v9
	s_delay_alu instid0(VALU_DEP_1) | instskip(SKIP_2) | instid1(VALU_DEP_4)
	v_add_co_ci_u32_e64 v1, null, s1, 0, s2
	v_add_nc_u32_e32 v6, v6, v23
	v_add_nc_u32_e32 v7, v7, v24
	v_add_co_u32 v0, vcc_lo, 0x1000, v0
	v_add_nc_u32_e32 v8, v8, v25
	v_add_co_ci_u32_e32 v1, vcc_lo, 0, v1, vcc_lo
	v_add_nc_u32_e32 v2, v2, v17
	s_waitcnt lgkmcnt(0)
	v_add_nc_u32_e32 v3, v3, v14
	v_add_nc_u32_e32 v4, v4, v15
	s_clause 0x7
	global_store_b32 v9, v5, s[0:1]
	global_store_b32 v9, v6, s[0:1] offset:1024
	global_store_b32 v9, v7, s[0:1] offset:2048
	;; [unrolled: 1-line block ×3, first 2 shown]
	global_store_b32 v[0:1], v10, off
	global_store_b32 v[0:1], v2, off offset:1024
	global_store_b32 v[0:1], v3, off offset:2048
	;; [unrolled: 1-line block ×3, first 2 shown]
	s_nop 0
	s_sendmsg sendmsg(MSG_DEALLOC_VGPRS)
	s_endpgm
	.section	.rodata,"a",@progbits
	.p2align	6, 0x0
	.amdhsa_kernel _Z17sort_pairs_kernelI22helper_blocked_stripediLj256ELj8ELj10EEvPKT0_PS1_
		.amdhsa_group_segment_fixed_size 8224
		.amdhsa_private_segment_fixed_size 0
		.amdhsa_kernarg_size 272
		.amdhsa_user_sgpr_count 15
		.amdhsa_user_sgpr_dispatch_ptr 0
		.amdhsa_user_sgpr_queue_ptr 0
		.amdhsa_user_sgpr_kernarg_segment_ptr 1
		.amdhsa_user_sgpr_dispatch_id 0
		.amdhsa_user_sgpr_private_segment_size 0
		.amdhsa_wavefront_size32 1
		.amdhsa_uses_dynamic_stack 0
		.amdhsa_enable_private_segment 0
		.amdhsa_system_sgpr_workgroup_id_x 1
		.amdhsa_system_sgpr_workgroup_id_y 0
		.amdhsa_system_sgpr_workgroup_id_z 0
		.amdhsa_system_sgpr_workgroup_info 0
		.amdhsa_system_vgpr_workitem_id 2
		.amdhsa_next_free_vgpr 64
		.amdhsa_next_free_sgpr 22
		.amdhsa_reserve_vcc 1
		.amdhsa_float_round_mode_32 0
		.amdhsa_float_round_mode_16_64 0
		.amdhsa_float_denorm_mode_32 3
		.amdhsa_float_denorm_mode_16_64 3
		.amdhsa_dx10_clamp 1
		.amdhsa_ieee_mode 1
		.amdhsa_fp16_overflow 0
		.amdhsa_workgroup_processor_mode 1
		.amdhsa_memory_ordered 1
		.amdhsa_forward_progress 0
		.amdhsa_shared_vgpr_count 0
		.amdhsa_exception_fp_ieee_invalid_op 0
		.amdhsa_exception_fp_denorm_src 0
		.amdhsa_exception_fp_ieee_div_zero 0
		.amdhsa_exception_fp_ieee_overflow 0
		.amdhsa_exception_fp_ieee_underflow 0
		.amdhsa_exception_fp_ieee_inexact 0
		.amdhsa_exception_int_div_zero 0
	.end_amdhsa_kernel
	.section	.text._Z17sort_pairs_kernelI22helper_blocked_stripediLj256ELj8ELj10EEvPKT0_PS1_,"axG",@progbits,_Z17sort_pairs_kernelI22helper_blocked_stripediLj256ELj8ELj10EEvPKT0_PS1_,comdat
.Lfunc_end223:
	.size	_Z17sort_pairs_kernelI22helper_blocked_stripediLj256ELj8ELj10EEvPKT0_PS1_, .Lfunc_end223-_Z17sort_pairs_kernelI22helper_blocked_stripediLj256ELj8ELj10EEvPKT0_PS1_
                                        ; -- End function
	.section	.AMDGPU.csdata,"",@progbits
; Kernel info:
; codeLenInByte = 4852
; NumSgprs: 24
; NumVgprs: 64
; ScratchSize: 0
; MemoryBound: 0
; FloatMode: 240
; IeeeMode: 1
; LDSByteSize: 8224 bytes/workgroup (compile time only)
; SGPRBlocks: 2
; VGPRBlocks: 7
; NumSGPRsForWavesPerEU: 24
; NumVGPRsForWavesPerEU: 64
; Occupancy: 16
; WaveLimiterHint : 1
; COMPUTE_PGM_RSRC2:SCRATCH_EN: 0
; COMPUTE_PGM_RSRC2:USER_SGPR: 15
; COMPUTE_PGM_RSRC2:TRAP_HANDLER: 0
; COMPUTE_PGM_RSRC2:TGID_X_EN: 1
; COMPUTE_PGM_RSRC2:TGID_Y_EN: 0
; COMPUTE_PGM_RSRC2:TGID_Z_EN: 0
; COMPUTE_PGM_RSRC2:TIDIG_COMP_CNT: 2
	.section	.text._Z16sort_keys_kernelI22helper_blocked_stripediLj320ELj1ELj10EEvPKT0_PS1_,"axG",@progbits,_Z16sort_keys_kernelI22helper_blocked_stripediLj320ELj1ELj10EEvPKT0_PS1_,comdat
	.protected	_Z16sort_keys_kernelI22helper_blocked_stripediLj320ELj1ELj10EEvPKT0_PS1_ ; -- Begin function _Z16sort_keys_kernelI22helper_blocked_stripediLj320ELj1ELj10EEvPKT0_PS1_
	.globl	_Z16sort_keys_kernelI22helper_blocked_stripediLj320ELj1ELj10EEvPKT0_PS1_
	.p2align	8
	.type	_Z16sort_keys_kernelI22helper_blocked_stripediLj320ELj1ELj10EEvPKT0_PS1_,@function
_Z16sort_keys_kernelI22helper_blocked_stripediLj320ELj1ELj10EEvPKT0_PS1_: ; @_Z16sort_keys_kernelI22helper_blocked_stripediLj320ELj1ELj10EEvPKT0_PS1_
; %bb.0:
	s_clause 0x1
	s_load_b128 s[16:19], s[0:1], 0x0
	s_load_b32 s8, s[0:1], 0x1c
	s_mov_b32 s21, 0
	s_mul_i32 s20, s15, 0x140
	s_mov_b32 s14, s21
	s_mov_b32 s15, s21
	v_dual_mov_b32 v9, s14 :: v_dual_and_b32 v8, 0x3ff, v0
	s_lshl_b64 s[12:13], s[20:21], 2
	v_mov_b32_e32 v10, s15
	v_mbcnt_lo_u32_b32 v3, -1, 0
	s_delay_alu instid0(VALU_DEP_3) | instskip(SKIP_2) | instid1(VALU_DEP_3)
	v_lshlrev_b32_e32 v1, 2, v8
	s_mov_b32 s20, s21
	v_lshlrev_b32_e32 v13, 5, v8
	v_dual_mov_b32 v11, s20 :: v_dual_and_b32 v4, 15, v3
	v_add_nc_u32_e32 v6, -1, v3
	v_dual_mov_b32 v12, s21 :: v_dual_and_b32 v5, 16, v3
	v_cmp_eq_u32_e32 vcc_lo, 0, v3
	s_waitcnt lgkmcnt(0)
	s_add_u32 s0, s16, s12
	s_addc_u32 s1, s17, s13
	v_cmp_lt_u32_e64 s2, 3, v4
	global_load_b32 v2, v1, s[0:1]
	v_bfe_u32 v1, v0, 10, 10
	v_bfe_u32 v0, v0, 20, 10
	v_cmp_eq_u32_e64 s0, 0, v4
	v_cmp_lt_u32_e64 s1, 1, v4
	v_cmp_lt_u32_e64 s3, 7, v4
	v_and_b32_e32 v4, 0x1e0, v8
	v_cmp_gt_i32_e64 s7, 0, v6
	s_lshr_b32 s9, s8, 16
	v_cmp_eq_u32_e64 s4, 0, v5
	v_mad_u32_u24 v15, v0, s9, v1
	v_min_u32_e32 v16, 0x120, v4
	v_cndmask_b32_e64 v5, v6, v3, s7
	v_lshrrev_b32_e32 v6, 3, v8
	s_and_b32 s8, s8, 0xffff
	v_mul_i32_i24_e32 v7, 0xffffffe4, v8
	v_mad_u64_u32 v[0:1], null, v15, s8, v[8:9]
	s_delay_alu instid0(VALU_DEP_3)
	v_and_b32_e32 v14, 60, v6
	v_or_b32_e32 v1, v3, v4
	v_or_b32_e32 v3, 31, v16
	v_cmp_gt_u32_e64 s5, 10, v8
	v_cmp_lt_u32_e64 s6, 31, v8
	v_cmp_eq_u32_e64 s7, 0, v8
	v_add_nc_u32_e32 v15, 40, v13
	v_lshlrev_b32_e32 v16, 2, v5
	v_add_nc_u32_e32 v17, -4, v14
	v_lshlrev_b32_e32 v18, 2, v1
	v_cmp_eq_u32_e64 s8, v3, v8
	v_lshrrev_b32_e32 v19, 5, v0
	v_add_nc_u32_e32 v20, v13, v7
	s_mov_b32 s16, 10
	s_waitcnt vmcnt(0)
	v_xor_b32_e32 v21, 0x80000000, v2
	s_branch .LBB224_2
.LBB224_1:                              ;   in Loop: Header=BB224_2 Depth=1
	s_or_b32 exec_lo, exec_lo, s9
	s_waitcnt lgkmcnt(0)
	v_add_nc_u32_e32 v3, v24, v3
	s_add_i32 s16, s16, -1
	s_delay_alu instid0(SALU_CYCLE_1) | instskip(SKIP_3) | instid1(VALU_DEP_1)
	s_cmp_eq_u32 s16, 0
	ds_bpermute_b32 v3, v16, v3
	s_waitcnt lgkmcnt(0)
	v_cndmask_b32_e32 v3, v3, v24, vcc_lo
	v_cndmask_b32_e64 v3, v3, 0, s7
	s_delay_alu instid0(VALU_DEP_1) | instskip(NEXT) | instid1(VALU_DEP_1)
	v_add_nc_u32_e32 v4, v3, v4
	v_add_nc_u32_e32 v5, v4, v5
	s_delay_alu instid0(VALU_DEP_1) | instskip(NEXT) | instid1(VALU_DEP_1)
	v_add_nc_u32_e32 v6, v5, v6
	v_add_nc_u32_e32 v24, v6, v7
	;; [unrolled: 3-line block ×3, first 2 shown]
	s_delay_alu instid0(VALU_DEP_1)
	v_add_nc_u32_e32 v1, v0, v2
	ds_store_2addr_b64 v13, v[3:4], v[5:6] offset0:5 offset1:6
	ds_store_2addr_b64 v15, v[24:25], v[0:1] offset0:2 offset1:3
	s_waitcnt lgkmcnt(0)
	s_barrier
	buffer_gl0_inv
	ds_load_b32 v0, v23
	v_lshlrev_b32_e32 v1, 2, v22
	s_waitcnt lgkmcnt(0)
	s_barrier
	buffer_gl0_inv
	v_lshl_add_u32 v0, v0, 2, v1
	ds_store_b32 v0, v21
	s_waitcnt lgkmcnt(0)
	s_barrier
	buffer_gl0_inv
	ds_load_b32 v21, v20
	s_cbranch_scc1 .LBB224_34
.LBB224_2:                              ; =>This Inner Loop Header: Depth=1
	s_waitcnt lgkmcnt(0)
	s_delay_alu instid0(VALU_DEP_1)
	v_and_b32_e32 v0, 1, v21
	v_lshlrev_b32_e32 v1, 30, v21
	v_lshlrev_b32_e32 v2, 29, v21
	;; [unrolled: 1-line block ×4, first 2 shown]
	v_add_co_u32 v0, s9, v0, -1
	s_delay_alu instid0(VALU_DEP_1)
	v_cndmask_b32_e64 v3, 0, 1, s9
	v_not_b32_e32 v7, v1
	v_cmp_gt_i32_e64 s10, 0, v1
	v_not_b32_e32 v1, v2
	v_lshlrev_b32_e32 v6, 26, v21
	v_cmp_ne_u32_e64 s9, 0, v3
	v_ashrrev_i32_e32 v7, 31, v7
	v_lshlrev_b32_e32 v3, 25, v21
	v_ashrrev_i32_e32 v1, 31, v1
	v_cmp_gt_i32_e64 s11, 0, v5
	v_xor_b32_e32 v0, s9, v0
	v_cmp_gt_i32_e64 s9, 0, v2
	v_not_b32_e32 v2, v4
	v_xor_b32_e32 v7, s10, v7
	v_cmp_gt_i32_e64 s10, 0, v4
	v_and_b32_e32 v0, exec_lo, v0
	v_xor_b32_e32 v1, s9, v1
	v_ashrrev_i32_e32 v2, 31, v2
	v_not_b32_e32 v4, v5
	v_not_b32_e32 v5, v6
	v_and_b32_e32 v0, v0, v7
	v_cmp_gt_i32_e64 s9, 0, v6
	v_xor_b32_e32 v2, s10, v2
	v_not_b32_e32 v6, v3
	ds_store_2addr_b64 v13, v[11:12], v[9:10] offset0:5 offset1:6
	ds_store_2addr_b64 v15, v[11:12], v[9:10] offset0:2 offset1:3
	v_and_b32_e32 v0, v0, v1
	v_ashrrev_i32_e32 v1, 31, v4
	v_ashrrev_i32_e32 v4, 31, v5
	v_lshlrev_b32_e32 v5, 24, v21
	s_waitcnt lgkmcnt(0)
	v_and_b32_e32 v0, v0, v2
	v_xor_b32_e32 v1, s11, v1
	v_xor_b32_e32 v2, s9, v4
	v_cmp_gt_i32_e64 s9, 0, v3
	v_not_b32_e32 v3, v5
	v_ashrrev_i32_e32 v4, 31, v6
	v_and_b32_e32 v0, v0, v1
	v_cmp_gt_i32_e64 s10, 0, v5
	s_barrier
	v_ashrrev_i32_e32 v1, 31, v3
	v_xor_b32_e32 v3, s9, v4
	v_and_b32_e32 v0, v0, v2
	buffer_gl0_inv
	v_xor_b32_e32 v1, s10, v1
	; wave barrier
	v_and_b32_e32 v0, v0, v3
	s_delay_alu instid0(VALU_DEP_1) | instskip(SKIP_1) | instid1(VALU_DEP_2)
	v_and_b32_e32 v0, v0, v1
	v_and_b32_e32 v1, 0xff, v21
	v_mbcnt_lo_u32_b32 v22, v0, 0
	s_delay_alu instid0(VALU_DEP_2) | instskip(SKIP_1) | instid1(VALU_DEP_3)
	v_mad_u32_u24 v1, v1, 10, v19
	v_cmp_ne_u32_e64 s10, 0, v0
	v_cmp_eq_u32_e64 s9, 0, v22
	s_delay_alu instid0(VALU_DEP_3) | instskip(NEXT) | instid1(VALU_DEP_2)
	v_lshl_add_u32 v23, v1, 2, 40
	s_and_b32 s10, s10, s9
	s_delay_alu instid0(SALU_CYCLE_1)
	s_and_saveexec_b32 s9, s10
	s_cbranch_execz .LBB224_4
; %bb.3:                                ;   in Loop: Header=BB224_2 Depth=1
	v_bcnt_u32_b32 v0, v0, 0
	ds_store_b32 v23, v0
.LBB224_4:                              ;   in Loop: Header=BB224_2 Depth=1
	s_or_b32 exec_lo, exec_lo, s9
	; wave barrier
	s_waitcnt lgkmcnt(0)
	s_barrier
	buffer_gl0_inv
	ds_load_2addr_b64 v[4:7], v13 offset0:5 offset1:6
	ds_load_2addr_b64 v[0:3], v15 offset0:2 offset1:3
	s_waitcnt lgkmcnt(1)
	v_add_nc_u32_e32 v24, v5, v4
	s_delay_alu instid0(VALU_DEP_1) | instskip(SKIP_1) | instid1(VALU_DEP_1)
	v_add3_u32 v24, v24, v6, v7
	s_waitcnt lgkmcnt(0)
	v_add3_u32 v24, v24, v0, v1
	s_delay_alu instid0(VALU_DEP_1) | instskip(NEXT) | instid1(VALU_DEP_1)
	v_add3_u32 v3, v24, v2, v3
	v_mov_b32_dpp v24, v3 row_shr:1 row_mask:0xf bank_mask:0xf
	s_delay_alu instid0(VALU_DEP_1) | instskip(NEXT) | instid1(VALU_DEP_1)
	v_cndmask_b32_e64 v24, v24, 0, s0
	v_add_nc_u32_e32 v3, v24, v3
	s_delay_alu instid0(VALU_DEP_1) | instskip(NEXT) | instid1(VALU_DEP_1)
	v_mov_b32_dpp v24, v3 row_shr:2 row_mask:0xf bank_mask:0xf
	v_cndmask_b32_e64 v24, 0, v24, s1
	s_delay_alu instid0(VALU_DEP_1) | instskip(NEXT) | instid1(VALU_DEP_1)
	v_add_nc_u32_e32 v3, v3, v24
	v_mov_b32_dpp v24, v3 row_shr:4 row_mask:0xf bank_mask:0xf
	s_delay_alu instid0(VALU_DEP_1) | instskip(NEXT) | instid1(VALU_DEP_1)
	v_cndmask_b32_e64 v24, 0, v24, s2
	v_add_nc_u32_e32 v3, v3, v24
	s_delay_alu instid0(VALU_DEP_1) | instskip(NEXT) | instid1(VALU_DEP_1)
	v_mov_b32_dpp v24, v3 row_shr:8 row_mask:0xf bank_mask:0xf
	v_cndmask_b32_e64 v24, 0, v24, s3
	s_delay_alu instid0(VALU_DEP_1) | instskip(SKIP_3) | instid1(VALU_DEP_1)
	v_add_nc_u32_e32 v3, v3, v24
	ds_swizzle_b32 v24, v3 offset:swizzle(BROADCAST,32,15)
	s_waitcnt lgkmcnt(0)
	v_cndmask_b32_e64 v24, v24, 0, s4
	v_add_nc_u32_e32 v3, v3, v24
	s_and_saveexec_b32 s9, s8
	s_cbranch_execz .LBB224_6
; %bb.5:                                ;   in Loop: Header=BB224_2 Depth=1
	ds_store_b32 v14, v3
.LBB224_6:                              ;   in Loop: Header=BB224_2 Depth=1
	s_or_b32 exec_lo, exec_lo, s9
	s_waitcnt lgkmcnt(0)
	s_barrier
	buffer_gl0_inv
	s_and_saveexec_b32 s9, s5
	s_cbranch_execz .LBB224_8
; %bb.7:                                ;   in Loop: Header=BB224_2 Depth=1
	ds_load_b32 v24, v20
	s_waitcnt lgkmcnt(0)
	v_mov_b32_dpp v25, v24 row_shr:1 row_mask:0xf bank_mask:0xf
	s_delay_alu instid0(VALU_DEP_1) | instskip(NEXT) | instid1(VALU_DEP_1)
	v_cndmask_b32_e64 v25, v25, 0, s0
	v_add_nc_u32_e32 v24, v25, v24
	s_delay_alu instid0(VALU_DEP_1) | instskip(NEXT) | instid1(VALU_DEP_1)
	v_mov_b32_dpp v25, v24 row_shr:2 row_mask:0xf bank_mask:0xf
	v_cndmask_b32_e64 v25, 0, v25, s1
	s_delay_alu instid0(VALU_DEP_1) | instskip(NEXT) | instid1(VALU_DEP_1)
	v_add_nc_u32_e32 v24, v24, v25
	v_mov_b32_dpp v25, v24 row_shr:4 row_mask:0xf bank_mask:0xf
	s_delay_alu instid0(VALU_DEP_1) | instskip(NEXT) | instid1(VALU_DEP_1)
	v_cndmask_b32_e64 v25, 0, v25, s2
	v_add_nc_u32_e32 v24, v24, v25
	s_delay_alu instid0(VALU_DEP_1) | instskip(NEXT) | instid1(VALU_DEP_1)
	v_mov_b32_dpp v25, v24 row_shr:8 row_mask:0xf bank_mask:0xf
	v_cndmask_b32_e64 v25, 0, v25, s3
	s_delay_alu instid0(VALU_DEP_1)
	v_add_nc_u32_e32 v24, v24, v25
	ds_store_b32 v20, v24
.LBB224_8:                              ;   in Loop: Header=BB224_2 Depth=1
	s_or_b32 exec_lo, exec_lo, s9
	v_mov_b32_e32 v24, 0
	s_waitcnt lgkmcnt(0)
	s_barrier
	buffer_gl0_inv
	s_and_saveexec_b32 s9, s6
	s_cbranch_execz .LBB224_10
; %bb.9:                                ;   in Loop: Header=BB224_2 Depth=1
	ds_load_b32 v24, v17
.LBB224_10:                             ;   in Loop: Header=BB224_2 Depth=1
	s_or_b32 exec_lo, exec_lo, s9
	s_waitcnt lgkmcnt(0)
	v_add_nc_u32_e32 v3, v24, v3
	ds_bpermute_b32 v3, v16, v3
	s_waitcnt lgkmcnt(0)
	v_cndmask_b32_e32 v3, v3, v24, vcc_lo
	s_delay_alu instid0(VALU_DEP_1) | instskip(NEXT) | instid1(VALU_DEP_1)
	v_cndmask_b32_e64 v3, v3, 0, s7
	v_add_nc_u32_e32 v4, v3, v4
	s_delay_alu instid0(VALU_DEP_1) | instskip(NEXT) | instid1(VALU_DEP_1)
	v_add_nc_u32_e32 v5, v4, v5
	v_add_nc_u32_e32 v6, v5, v6
	s_delay_alu instid0(VALU_DEP_1) | instskip(NEXT) | instid1(VALU_DEP_1)
	v_add_nc_u32_e32 v24, v6, v7
	;; [unrolled: 3-line block ×3, first 2 shown]
	v_add_nc_u32_e32 v1, v0, v2
	ds_store_2addr_b64 v13, v[3:4], v[5:6] offset0:5 offset1:6
	ds_store_2addr_b64 v15, v[24:25], v[0:1] offset0:2 offset1:3
	s_waitcnt lgkmcnt(0)
	s_barrier
	buffer_gl0_inv
	ds_load_b32 v0, v23
	v_lshlrev_b32_e32 v1, 2, v22
	s_waitcnt lgkmcnt(0)
	s_barrier
	buffer_gl0_inv
	v_lshl_add_u32 v0, v0, 2, v1
	ds_store_b32 v0, v21
	s_waitcnt lgkmcnt(0)
	s_barrier
	buffer_gl0_inv
	ds_load_b32 v21, v18
	s_waitcnt lgkmcnt(0)
	s_barrier
	buffer_gl0_inv
	ds_store_2addr_b64 v13, v[11:12], v[9:10] offset0:5 offset1:6
	ds_store_2addr_b64 v15, v[11:12], v[9:10] offset0:2 offset1:3
	s_waitcnt lgkmcnt(0)
	s_barrier
	buffer_gl0_inv
	; wave barrier
	v_bfe_u32 v0, v21, 8, 1
	v_lshrrev_b32_e32 v1, 8, v21
	s_delay_alu instid0(VALU_DEP_2) | instskip(NEXT) | instid1(VALU_DEP_1)
	v_add_co_u32 v0, s9, v0, -1
	v_cndmask_b32_e64 v2, 0, 1, s9
	s_delay_alu instid0(VALU_DEP_3)
	v_lshlrev_b32_e32 v3, 30, v1
	v_lshlrev_b32_e32 v4, 29, v1
	;; [unrolled: 1-line block ×4, first 2 shown]
	v_cmp_ne_u32_e64 s9, 0, v2
	v_not_b32_e32 v2, v3
	v_cmp_gt_i32_e64 s10, 0, v3
	v_not_b32_e32 v3, v4
	v_lshlrev_b32_e32 v7, 26, v1
	v_xor_b32_e32 v0, s9, v0
	v_ashrrev_i32_e32 v2, 31, v2
	v_cmp_gt_i32_e64 s9, 0, v4
	v_not_b32_e32 v4, v5
	v_ashrrev_i32_e32 v3, 31, v3
	v_and_b32_e32 v0, exec_lo, v0
	v_xor_b32_e32 v2, s10, v2
	v_cmp_gt_i32_e64 s10, 0, v5
	v_not_b32_e32 v5, v6
	v_ashrrev_i32_e32 v4, 31, v4
	v_xor_b32_e32 v3, s9, v3
	v_and_b32_e32 v0, v0, v2
	v_lshlrev_b32_e32 v22, 25, v1
	v_cmp_gt_i32_e64 s9, 0, v6
	v_not_b32_e32 v2, v7
	v_ashrrev_i32_e32 v5, 31, v5
	v_xor_b32_e32 v4, s10, v4
	v_and_b32_e32 v0, v0, v3
	v_lshlrev_b32_e32 v1, 24, v1
	v_cmp_gt_i32_e64 s10, 0, v7
	v_not_b32_e32 v3, v22
	v_ashrrev_i32_e32 v2, 31, v2
	v_xor_b32_e32 v5, s9, v5
	v_and_b32_e32 v0, v0, v4
	v_cmp_gt_i32_e64 s9, 0, v22
	v_not_b32_e32 v4, v1
	v_ashrrev_i32_e32 v3, 31, v3
	v_xor_b32_e32 v2, s10, v2
	v_and_b32_e32 v0, v0, v5
	v_cmp_gt_i32_e64 s10, 0, v1
	v_ashrrev_i32_e32 v1, 31, v4
	v_xor_b32_e32 v3, s9, v3
	s_delay_alu instid0(VALU_DEP_4) | instskip(NEXT) | instid1(VALU_DEP_3)
	v_and_b32_e32 v0, v0, v2
	v_xor_b32_e32 v1, s10, v1
	s_delay_alu instid0(VALU_DEP_2) | instskip(NEXT) | instid1(VALU_DEP_1)
	v_and_b32_e32 v0, v0, v3
	v_and_b32_e32 v0, v0, v1
	v_bfe_u32 v1, v21, 8, 8
	s_delay_alu instid0(VALU_DEP_2) | instskip(NEXT) | instid1(VALU_DEP_2)
	v_mbcnt_lo_u32_b32 v22, v0, 0
	v_mad_u32_u24 v1, v1, 10, v19
	v_cmp_ne_u32_e64 s10, 0, v0
	s_delay_alu instid0(VALU_DEP_3) | instskip(NEXT) | instid1(VALU_DEP_3)
	v_cmp_eq_u32_e64 s9, 0, v22
	v_lshl_add_u32 v23, v1, 2, 40
	s_delay_alu instid0(VALU_DEP_2) | instskip(NEXT) | instid1(SALU_CYCLE_1)
	s_and_b32 s10, s10, s9
	s_and_saveexec_b32 s9, s10
	s_cbranch_execz .LBB224_12
; %bb.11:                               ;   in Loop: Header=BB224_2 Depth=1
	v_bcnt_u32_b32 v0, v0, 0
	ds_store_b32 v23, v0
.LBB224_12:                             ;   in Loop: Header=BB224_2 Depth=1
	s_or_b32 exec_lo, exec_lo, s9
	; wave barrier
	s_waitcnt lgkmcnt(0)
	s_barrier
	buffer_gl0_inv
	ds_load_2addr_b64 v[4:7], v13 offset0:5 offset1:6
	ds_load_2addr_b64 v[0:3], v15 offset0:2 offset1:3
	s_waitcnt lgkmcnt(1)
	v_add_nc_u32_e32 v24, v5, v4
	s_delay_alu instid0(VALU_DEP_1) | instskip(SKIP_1) | instid1(VALU_DEP_1)
	v_add3_u32 v24, v24, v6, v7
	s_waitcnt lgkmcnt(0)
	v_add3_u32 v24, v24, v0, v1
	s_delay_alu instid0(VALU_DEP_1) | instskip(NEXT) | instid1(VALU_DEP_1)
	v_add3_u32 v3, v24, v2, v3
	v_mov_b32_dpp v24, v3 row_shr:1 row_mask:0xf bank_mask:0xf
	s_delay_alu instid0(VALU_DEP_1) | instskip(NEXT) | instid1(VALU_DEP_1)
	v_cndmask_b32_e64 v24, v24, 0, s0
	v_add_nc_u32_e32 v3, v24, v3
	s_delay_alu instid0(VALU_DEP_1) | instskip(NEXT) | instid1(VALU_DEP_1)
	v_mov_b32_dpp v24, v3 row_shr:2 row_mask:0xf bank_mask:0xf
	v_cndmask_b32_e64 v24, 0, v24, s1
	s_delay_alu instid0(VALU_DEP_1) | instskip(NEXT) | instid1(VALU_DEP_1)
	v_add_nc_u32_e32 v3, v3, v24
	v_mov_b32_dpp v24, v3 row_shr:4 row_mask:0xf bank_mask:0xf
	s_delay_alu instid0(VALU_DEP_1) | instskip(NEXT) | instid1(VALU_DEP_1)
	v_cndmask_b32_e64 v24, 0, v24, s2
	v_add_nc_u32_e32 v3, v3, v24
	s_delay_alu instid0(VALU_DEP_1) | instskip(NEXT) | instid1(VALU_DEP_1)
	v_mov_b32_dpp v24, v3 row_shr:8 row_mask:0xf bank_mask:0xf
	v_cndmask_b32_e64 v24, 0, v24, s3
	s_delay_alu instid0(VALU_DEP_1) | instskip(SKIP_3) | instid1(VALU_DEP_1)
	v_add_nc_u32_e32 v3, v3, v24
	ds_swizzle_b32 v24, v3 offset:swizzle(BROADCAST,32,15)
	s_waitcnt lgkmcnt(0)
	v_cndmask_b32_e64 v24, v24, 0, s4
	v_add_nc_u32_e32 v3, v3, v24
	s_and_saveexec_b32 s9, s8
	s_cbranch_execz .LBB224_14
; %bb.13:                               ;   in Loop: Header=BB224_2 Depth=1
	ds_store_b32 v14, v3
.LBB224_14:                             ;   in Loop: Header=BB224_2 Depth=1
	s_or_b32 exec_lo, exec_lo, s9
	s_waitcnt lgkmcnt(0)
	s_barrier
	buffer_gl0_inv
	s_and_saveexec_b32 s9, s5
	s_cbranch_execz .LBB224_16
; %bb.15:                               ;   in Loop: Header=BB224_2 Depth=1
	ds_load_b32 v24, v20
	s_waitcnt lgkmcnt(0)
	v_mov_b32_dpp v25, v24 row_shr:1 row_mask:0xf bank_mask:0xf
	s_delay_alu instid0(VALU_DEP_1) | instskip(NEXT) | instid1(VALU_DEP_1)
	v_cndmask_b32_e64 v25, v25, 0, s0
	v_add_nc_u32_e32 v24, v25, v24
	s_delay_alu instid0(VALU_DEP_1) | instskip(NEXT) | instid1(VALU_DEP_1)
	v_mov_b32_dpp v25, v24 row_shr:2 row_mask:0xf bank_mask:0xf
	v_cndmask_b32_e64 v25, 0, v25, s1
	s_delay_alu instid0(VALU_DEP_1) | instskip(NEXT) | instid1(VALU_DEP_1)
	v_add_nc_u32_e32 v24, v24, v25
	v_mov_b32_dpp v25, v24 row_shr:4 row_mask:0xf bank_mask:0xf
	s_delay_alu instid0(VALU_DEP_1) | instskip(NEXT) | instid1(VALU_DEP_1)
	v_cndmask_b32_e64 v25, 0, v25, s2
	v_add_nc_u32_e32 v24, v24, v25
	s_delay_alu instid0(VALU_DEP_1) | instskip(NEXT) | instid1(VALU_DEP_1)
	v_mov_b32_dpp v25, v24 row_shr:8 row_mask:0xf bank_mask:0xf
	v_cndmask_b32_e64 v25, 0, v25, s3
	s_delay_alu instid0(VALU_DEP_1)
	v_add_nc_u32_e32 v24, v24, v25
	ds_store_b32 v20, v24
.LBB224_16:                             ;   in Loop: Header=BB224_2 Depth=1
	s_or_b32 exec_lo, exec_lo, s9
	v_mov_b32_e32 v24, 0
	s_waitcnt lgkmcnt(0)
	s_barrier
	buffer_gl0_inv
	s_and_saveexec_b32 s9, s6
	s_cbranch_execz .LBB224_18
; %bb.17:                               ;   in Loop: Header=BB224_2 Depth=1
	ds_load_b32 v24, v17
.LBB224_18:                             ;   in Loop: Header=BB224_2 Depth=1
	s_or_b32 exec_lo, exec_lo, s9
	s_waitcnt lgkmcnt(0)
	v_add_nc_u32_e32 v3, v24, v3
	ds_bpermute_b32 v3, v16, v3
	s_waitcnt lgkmcnt(0)
	v_cndmask_b32_e32 v3, v3, v24, vcc_lo
	s_delay_alu instid0(VALU_DEP_1) | instskip(NEXT) | instid1(VALU_DEP_1)
	v_cndmask_b32_e64 v3, v3, 0, s7
	v_add_nc_u32_e32 v4, v3, v4
	s_delay_alu instid0(VALU_DEP_1) | instskip(NEXT) | instid1(VALU_DEP_1)
	v_add_nc_u32_e32 v5, v4, v5
	v_add_nc_u32_e32 v6, v5, v6
	s_delay_alu instid0(VALU_DEP_1) | instskip(NEXT) | instid1(VALU_DEP_1)
	v_add_nc_u32_e32 v24, v6, v7
	;; [unrolled: 3-line block ×3, first 2 shown]
	v_add_nc_u32_e32 v1, v0, v2
	ds_store_2addr_b64 v13, v[3:4], v[5:6] offset0:5 offset1:6
	ds_store_2addr_b64 v15, v[24:25], v[0:1] offset0:2 offset1:3
	s_waitcnt lgkmcnt(0)
	s_barrier
	buffer_gl0_inv
	ds_load_b32 v0, v23
	v_lshlrev_b32_e32 v1, 2, v22
	s_waitcnt lgkmcnt(0)
	s_barrier
	buffer_gl0_inv
	v_lshl_add_u32 v0, v0, 2, v1
	ds_store_b32 v0, v21
	s_waitcnt lgkmcnt(0)
	s_barrier
	buffer_gl0_inv
	ds_load_b32 v21, v18
	s_waitcnt lgkmcnt(0)
	s_barrier
	buffer_gl0_inv
	v_bfe_u32 v0, v21, 16, 1
	v_lshrrev_b32_e32 v1, 16, v21
	s_delay_alu instid0(VALU_DEP_2) | instskip(NEXT) | instid1(VALU_DEP_1)
	v_add_co_u32 v0, s9, v0, -1
	v_cndmask_b32_e64 v2, 0, 1, s9
	s_delay_alu instid0(VALU_DEP_3)
	v_lshlrev_b32_e32 v3, 30, v1
	v_lshlrev_b32_e32 v4, 29, v1
	;; [unrolled: 1-line block ×4, first 2 shown]
	v_cmp_ne_u32_e64 s9, 0, v2
	v_not_b32_e32 v2, v3
	v_cmp_gt_i32_e64 s10, 0, v3
	v_not_b32_e32 v3, v4
	v_lshlrev_b32_e32 v7, 26, v1
	v_xor_b32_e32 v0, s9, v0
	v_ashrrev_i32_e32 v2, 31, v2
	v_cmp_gt_i32_e64 s9, 0, v4
	v_not_b32_e32 v4, v5
	v_ashrrev_i32_e32 v3, 31, v3
	v_and_b32_e32 v0, exec_lo, v0
	v_xor_b32_e32 v2, s10, v2
	v_cmp_gt_i32_e64 s10, 0, v5
	v_not_b32_e32 v5, v6
	v_ashrrev_i32_e32 v4, 31, v4
	v_xor_b32_e32 v3, s9, v3
	v_and_b32_e32 v0, v0, v2
	v_lshlrev_b32_e32 v22, 25, v1
	v_cmp_gt_i32_e64 s9, 0, v6
	v_not_b32_e32 v2, v7
	v_ashrrev_i32_e32 v5, 31, v5
	v_xor_b32_e32 v4, s10, v4
	v_and_b32_e32 v0, v0, v3
	v_lshlrev_b32_e32 v1, 24, v1
	v_cmp_gt_i32_e64 s10, 0, v7
	v_not_b32_e32 v3, v22
	v_ashrrev_i32_e32 v2, 31, v2
	v_xor_b32_e32 v5, s9, v5
	v_and_b32_e32 v0, v0, v4
	v_cmp_gt_i32_e64 s9, 0, v22
	v_not_b32_e32 v4, v1
	v_ashrrev_i32_e32 v3, 31, v3
	v_xor_b32_e32 v2, s10, v2
	v_and_b32_e32 v0, v0, v5
	v_cmp_gt_i32_e64 s10, 0, v1
	v_ashrrev_i32_e32 v1, 31, v4
	v_xor_b32_e32 v3, s9, v3
	s_delay_alu instid0(VALU_DEP_4) | instskip(NEXT) | instid1(VALU_DEP_3)
	v_and_b32_e32 v0, v0, v2
	v_xor_b32_e32 v5, s10, v1
	v_dual_mov_b32 v1, s20 :: v_dual_mov_b32 v2, s21
	s_delay_alu instid0(VALU_DEP_3)
	v_dual_mov_b32 v3, s14 :: v_dual_and_b32 v0, v0, v3
	v_mov_b32_e32 v4, s15
	ds_store_2addr_b64 v13, v[1:2], v[3:4] offset0:5 offset1:6
	ds_store_2addr_b64 v15, v[1:2], v[3:4] offset0:2 offset1:3
	v_and_b32_e32 v0, v0, v5
	v_bfe_u32 v5, v21, 16, 8
	s_waitcnt lgkmcnt(0)
	s_barrier
	buffer_gl0_inv
	v_mbcnt_lo_u32_b32 v22, v0, 0
	v_mad_u32_u24 v1, v5, 10, v19
	v_cmp_ne_u32_e64 s10, 0, v0
	; wave barrier
	s_delay_alu instid0(VALU_DEP_3) | instskip(NEXT) | instid1(VALU_DEP_3)
	v_cmp_eq_u32_e64 s9, 0, v22
	v_lshl_add_u32 v23, v1, 2, 40
	s_delay_alu instid0(VALU_DEP_2) | instskip(NEXT) | instid1(SALU_CYCLE_1)
	s_and_b32 s10, s10, s9
	s_and_saveexec_b32 s9, s10
	s_cbranch_execz .LBB224_20
; %bb.19:                               ;   in Loop: Header=BB224_2 Depth=1
	v_bcnt_u32_b32 v0, v0, 0
	ds_store_b32 v23, v0
.LBB224_20:                             ;   in Loop: Header=BB224_2 Depth=1
	s_or_b32 exec_lo, exec_lo, s9
	; wave barrier
	s_waitcnt lgkmcnt(0)
	s_barrier
	buffer_gl0_inv
	ds_load_2addr_b64 v[4:7], v13 offset0:5 offset1:6
	ds_load_2addr_b64 v[0:3], v15 offset0:2 offset1:3
	s_waitcnt lgkmcnt(1)
	v_add_nc_u32_e32 v24, v5, v4
	s_delay_alu instid0(VALU_DEP_1) | instskip(SKIP_1) | instid1(VALU_DEP_1)
	v_add3_u32 v24, v24, v6, v7
	s_waitcnt lgkmcnt(0)
	v_add3_u32 v24, v24, v0, v1
	s_delay_alu instid0(VALU_DEP_1) | instskip(NEXT) | instid1(VALU_DEP_1)
	v_add3_u32 v3, v24, v2, v3
	v_mov_b32_dpp v24, v3 row_shr:1 row_mask:0xf bank_mask:0xf
	s_delay_alu instid0(VALU_DEP_1) | instskip(NEXT) | instid1(VALU_DEP_1)
	v_cndmask_b32_e64 v24, v24, 0, s0
	v_add_nc_u32_e32 v3, v24, v3
	s_delay_alu instid0(VALU_DEP_1) | instskip(NEXT) | instid1(VALU_DEP_1)
	v_mov_b32_dpp v24, v3 row_shr:2 row_mask:0xf bank_mask:0xf
	v_cndmask_b32_e64 v24, 0, v24, s1
	s_delay_alu instid0(VALU_DEP_1) | instskip(NEXT) | instid1(VALU_DEP_1)
	v_add_nc_u32_e32 v3, v3, v24
	v_mov_b32_dpp v24, v3 row_shr:4 row_mask:0xf bank_mask:0xf
	s_delay_alu instid0(VALU_DEP_1) | instskip(NEXT) | instid1(VALU_DEP_1)
	v_cndmask_b32_e64 v24, 0, v24, s2
	v_add_nc_u32_e32 v3, v3, v24
	s_delay_alu instid0(VALU_DEP_1) | instskip(NEXT) | instid1(VALU_DEP_1)
	v_mov_b32_dpp v24, v3 row_shr:8 row_mask:0xf bank_mask:0xf
	v_cndmask_b32_e64 v24, 0, v24, s3
	s_delay_alu instid0(VALU_DEP_1) | instskip(SKIP_3) | instid1(VALU_DEP_1)
	v_add_nc_u32_e32 v3, v3, v24
	ds_swizzle_b32 v24, v3 offset:swizzle(BROADCAST,32,15)
	s_waitcnt lgkmcnt(0)
	v_cndmask_b32_e64 v24, v24, 0, s4
	v_add_nc_u32_e32 v3, v3, v24
	s_and_saveexec_b32 s9, s8
	s_cbranch_execz .LBB224_22
; %bb.21:                               ;   in Loop: Header=BB224_2 Depth=1
	ds_store_b32 v14, v3
.LBB224_22:                             ;   in Loop: Header=BB224_2 Depth=1
	s_or_b32 exec_lo, exec_lo, s9
	s_waitcnt lgkmcnt(0)
	s_barrier
	buffer_gl0_inv
	s_and_saveexec_b32 s9, s5
	s_cbranch_execz .LBB224_24
; %bb.23:                               ;   in Loop: Header=BB224_2 Depth=1
	ds_load_b32 v24, v20
	s_waitcnt lgkmcnt(0)
	v_mov_b32_dpp v25, v24 row_shr:1 row_mask:0xf bank_mask:0xf
	s_delay_alu instid0(VALU_DEP_1) | instskip(NEXT) | instid1(VALU_DEP_1)
	v_cndmask_b32_e64 v25, v25, 0, s0
	v_add_nc_u32_e32 v24, v25, v24
	s_delay_alu instid0(VALU_DEP_1) | instskip(NEXT) | instid1(VALU_DEP_1)
	v_mov_b32_dpp v25, v24 row_shr:2 row_mask:0xf bank_mask:0xf
	v_cndmask_b32_e64 v25, 0, v25, s1
	s_delay_alu instid0(VALU_DEP_1) | instskip(NEXT) | instid1(VALU_DEP_1)
	v_add_nc_u32_e32 v24, v24, v25
	v_mov_b32_dpp v25, v24 row_shr:4 row_mask:0xf bank_mask:0xf
	s_delay_alu instid0(VALU_DEP_1) | instskip(NEXT) | instid1(VALU_DEP_1)
	v_cndmask_b32_e64 v25, 0, v25, s2
	v_add_nc_u32_e32 v24, v24, v25
	s_delay_alu instid0(VALU_DEP_1) | instskip(NEXT) | instid1(VALU_DEP_1)
	v_mov_b32_dpp v25, v24 row_shr:8 row_mask:0xf bank_mask:0xf
	v_cndmask_b32_e64 v25, 0, v25, s3
	s_delay_alu instid0(VALU_DEP_1)
	v_add_nc_u32_e32 v24, v24, v25
	ds_store_b32 v20, v24
.LBB224_24:                             ;   in Loop: Header=BB224_2 Depth=1
	s_or_b32 exec_lo, exec_lo, s9
	v_mov_b32_e32 v24, 0
	s_waitcnt lgkmcnt(0)
	s_barrier
	buffer_gl0_inv
	s_and_saveexec_b32 s9, s6
	s_cbranch_execz .LBB224_26
; %bb.25:                               ;   in Loop: Header=BB224_2 Depth=1
	ds_load_b32 v24, v17
.LBB224_26:                             ;   in Loop: Header=BB224_2 Depth=1
	s_or_b32 exec_lo, exec_lo, s9
	s_waitcnt lgkmcnt(0)
	v_add_nc_u32_e32 v3, v24, v3
	ds_bpermute_b32 v3, v16, v3
	s_waitcnt lgkmcnt(0)
	v_cndmask_b32_e32 v3, v3, v24, vcc_lo
	s_delay_alu instid0(VALU_DEP_1) | instskip(NEXT) | instid1(VALU_DEP_1)
	v_cndmask_b32_e64 v3, v3, 0, s7
	v_add_nc_u32_e32 v4, v3, v4
	s_delay_alu instid0(VALU_DEP_1) | instskip(NEXT) | instid1(VALU_DEP_1)
	v_add_nc_u32_e32 v5, v4, v5
	v_add_nc_u32_e32 v6, v5, v6
	s_delay_alu instid0(VALU_DEP_1) | instskip(NEXT) | instid1(VALU_DEP_1)
	v_add_nc_u32_e32 v24, v6, v7
	;; [unrolled: 3-line block ×3, first 2 shown]
	v_add_nc_u32_e32 v1, v0, v2
	ds_store_2addr_b64 v13, v[3:4], v[5:6] offset0:5 offset1:6
	ds_store_2addr_b64 v15, v[24:25], v[0:1] offset0:2 offset1:3
	s_waitcnt lgkmcnt(0)
	s_barrier
	buffer_gl0_inv
	ds_load_b32 v0, v23
	v_lshlrev_b32_e32 v1, 2, v22
	s_waitcnt lgkmcnt(0)
	s_barrier
	buffer_gl0_inv
	v_lshl_add_u32 v0, v0, 2, v1
	ds_store_b32 v0, v21
	s_waitcnt lgkmcnt(0)
	s_barrier
	buffer_gl0_inv
	ds_load_b32 v21, v18
	s_waitcnt lgkmcnt(0)
	s_barrier
	buffer_gl0_inv
	v_bfe_u32 v0, v21, 24, 1
	v_lshrrev_b32_e32 v5, 24, v21
	s_delay_alu instid0(VALU_DEP_2) | instskip(NEXT) | instid1(VALU_DEP_1)
	v_add_co_u32 v0, s9, v0, -1
	v_cndmask_b32_e64 v1, 0, 1, s9
	s_delay_alu instid0(VALU_DEP_3)
	v_lshlrev_b32_e32 v2, 30, v5
	v_lshlrev_b32_e32 v3, 29, v5
	;; [unrolled: 1-line block ×4, first 2 shown]
	v_cmp_ne_u32_e64 s9, 0, v1
	v_not_b32_e32 v1, v2
	v_cmp_gt_i32_e64 s10, 0, v2
	v_not_b32_e32 v2, v3
	v_lshlrev_b32_e32 v7, 26, v5
	v_xor_b32_e32 v0, s9, v0
	v_ashrrev_i32_e32 v1, 31, v1
	v_cmp_gt_i32_e64 s9, 0, v3
	v_not_b32_e32 v3, v4
	v_ashrrev_i32_e32 v2, 31, v2
	v_and_b32_e32 v0, exec_lo, v0
	v_xor_b32_e32 v1, s10, v1
	v_cmp_gt_i32_e64 s10, 0, v4
	v_not_b32_e32 v4, v6
	v_ashrrev_i32_e32 v3, 31, v3
	v_xor_b32_e32 v2, s9, v2
	v_and_b32_e32 v0, v0, v1
	v_lshlrev_b32_e32 v22, 25, v5
	v_cmp_gt_i32_e64 s9, 0, v6
	v_not_b32_e32 v1, v7
	v_ashrrev_i32_e32 v4, 31, v4
	v_xor_b32_e32 v3, s10, v3
	v_and_b32_e32 v0, v0, v2
	v_cmp_gt_i32_e64 s10, 0, v7
	v_not_b32_e32 v2, v22
	v_ashrrev_i32_e32 v1, 31, v1
	v_xor_b32_e32 v4, s9, v4
	v_and_b32_e32 v0, v0, v3
	v_not_b32_e32 v3, v21
	v_cmp_gt_i32_e64 s9, 0, v22
	v_ashrrev_i32_e32 v2, 31, v2
	v_xor_b32_e32 v1, s10, v1
	v_and_b32_e32 v0, v0, v4
	v_cmp_gt_i32_e64 s10, 0, v21
	v_ashrrev_i32_e32 v3, 31, v3
	v_xor_b32_e32 v2, s9, v2
	s_delay_alu instid0(VALU_DEP_4) | instskip(NEXT) | instid1(VALU_DEP_3)
	v_and_b32_e32 v0, v0, v1
	v_xor_b32_e32 v3, s10, v3
	s_delay_alu instid0(VALU_DEP_2) | instskip(SKIP_1) | instid1(VALU_DEP_2)
	v_dual_mov_b32 v1, s20 :: v_dual_and_b32 v0, v0, v2
	v_mov_b32_e32 v2, s21
	v_dual_mov_b32 v3, s14 :: v_dual_and_b32 v0, v0, v3
	v_mov_b32_e32 v4, s15
	ds_store_2addr_b64 v13, v[1:2], v[3:4] offset0:5 offset1:6
	ds_store_2addr_b64 v15, v[1:2], v[3:4] offset0:2 offset1:3
	v_mbcnt_lo_u32_b32 v22, v0, 0
	v_mad_u32_u24 v1, v5, 10, v19
	v_cmp_ne_u32_e64 s10, 0, v0
	s_waitcnt lgkmcnt(0)
	s_barrier
	v_cmp_eq_u32_e64 s9, 0, v22
	v_lshl_add_u32 v23, v1, 2, 40
	buffer_gl0_inv
	; wave barrier
	s_and_b32 s10, s10, s9
	s_delay_alu instid0(SALU_CYCLE_1)
	s_and_saveexec_b32 s9, s10
	s_cbranch_execz .LBB224_28
; %bb.27:                               ;   in Loop: Header=BB224_2 Depth=1
	v_bcnt_u32_b32 v0, v0, 0
	ds_store_b32 v23, v0
.LBB224_28:                             ;   in Loop: Header=BB224_2 Depth=1
	s_or_b32 exec_lo, exec_lo, s9
	; wave barrier
	s_waitcnt lgkmcnt(0)
	s_barrier
	buffer_gl0_inv
	ds_load_2addr_b64 v[4:7], v13 offset0:5 offset1:6
	ds_load_2addr_b64 v[0:3], v15 offset0:2 offset1:3
	s_waitcnt lgkmcnt(1)
	v_add_nc_u32_e32 v24, v5, v4
	s_delay_alu instid0(VALU_DEP_1) | instskip(SKIP_1) | instid1(VALU_DEP_1)
	v_add3_u32 v24, v24, v6, v7
	s_waitcnt lgkmcnt(0)
	v_add3_u32 v24, v24, v0, v1
	s_delay_alu instid0(VALU_DEP_1) | instskip(NEXT) | instid1(VALU_DEP_1)
	v_add3_u32 v3, v24, v2, v3
	v_mov_b32_dpp v24, v3 row_shr:1 row_mask:0xf bank_mask:0xf
	s_delay_alu instid0(VALU_DEP_1) | instskip(NEXT) | instid1(VALU_DEP_1)
	v_cndmask_b32_e64 v24, v24, 0, s0
	v_add_nc_u32_e32 v3, v24, v3
	s_delay_alu instid0(VALU_DEP_1) | instskip(NEXT) | instid1(VALU_DEP_1)
	v_mov_b32_dpp v24, v3 row_shr:2 row_mask:0xf bank_mask:0xf
	v_cndmask_b32_e64 v24, 0, v24, s1
	s_delay_alu instid0(VALU_DEP_1) | instskip(NEXT) | instid1(VALU_DEP_1)
	v_add_nc_u32_e32 v3, v3, v24
	v_mov_b32_dpp v24, v3 row_shr:4 row_mask:0xf bank_mask:0xf
	s_delay_alu instid0(VALU_DEP_1) | instskip(NEXT) | instid1(VALU_DEP_1)
	v_cndmask_b32_e64 v24, 0, v24, s2
	v_add_nc_u32_e32 v3, v3, v24
	s_delay_alu instid0(VALU_DEP_1) | instskip(NEXT) | instid1(VALU_DEP_1)
	v_mov_b32_dpp v24, v3 row_shr:8 row_mask:0xf bank_mask:0xf
	v_cndmask_b32_e64 v24, 0, v24, s3
	s_delay_alu instid0(VALU_DEP_1) | instskip(SKIP_3) | instid1(VALU_DEP_1)
	v_add_nc_u32_e32 v3, v3, v24
	ds_swizzle_b32 v24, v3 offset:swizzle(BROADCAST,32,15)
	s_waitcnt lgkmcnt(0)
	v_cndmask_b32_e64 v24, v24, 0, s4
	v_add_nc_u32_e32 v3, v3, v24
	s_and_saveexec_b32 s9, s8
	s_cbranch_execz .LBB224_30
; %bb.29:                               ;   in Loop: Header=BB224_2 Depth=1
	ds_store_b32 v14, v3
.LBB224_30:                             ;   in Loop: Header=BB224_2 Depth=1
	s_or_b32 exec_lo, exec_lo, s9
	s_waitcnt lgkmcnt(0)
	s_barrier
	buffer_gl0_inv
	s_and_saveexec_b32 s9, s5
	s_cbranch_execz .LBB224_32
; %bb.31:                               ;   in Loop: Header=BB224_2 Depth=1
	ds_load_b32 v24, v20
	s_waitcnt lgkmcnt(0)
	v_mov_b32_dpp v25, v24 row_shr:1 row_mask:0xf bank_mask:0xf
	s_delay_alu instid0(VALU_DEP_1) | instskip(NEXT) | instid1(VALU_DEP_1)
	v_cndmask_b32_e64 v25, v25, 0, s0
	v_add_nc_u32_e32 v24, v25, v24
	s_delay_alu instid0(VALU_DEP_1) | instskip(NEXT) | instid1(VALU_DEP_1)
	v_mov_b32_dpp v25, v24 row_shr:2 row_mask:0xf bank_mask:0xf
	v_cndmask_b32_e64 v25, 0, v25, s1
	s_delay_alu instid0(VALU_DEP_1) | instskip(NEXT) | instid1(VALU_DEP_1)
	v_add_nc_u32_e32 v24, v24, v25
	v_mov_b32_dpp v25, v24 row_shr:4 row_mask:0xf bank_mask:0xf
	s_delay_alu instid0(VALU_DEP_1) | instskip(NEXT) | instid1(VALU_DEP_1)
	v_cndmask_b32_e64 v25, 0, v25, s2
	v_add_nc_u32_e32 v24, v24, v25
	s_delay_alu instid0(VALU_DEP_1) | instskip(NEXT) | instid1(VALU_DEP_1)
	v_mov_b32_dpp v25, v24 row_shr:8 row_mask:0xf bank_mask:0xf
	v_cndmask_b32_e64 v25, 0, v25, s3
	s_delay_alu instid0(VALU_DEP_1)
	v_add_nc_u32_e32 v24, v24, v25
	ds_store_b32 v20, v24
.LBB224_32:                             ;   in Loop: Header=BB224_2 Depth=1
	s_or_b32 exec_lo, exec_lo, s9
	v_mov_b32_e32 v24, 0
	s_waitcnt lgkmcnt(0)
	s_barrier
	buffer_gl0_inv
	s_and_saveexec_b32 s9, s6
	s_cbranch_execz .LBB224_1
; %bb.33:                               ;   in Loop: Header=BB224_2 Depth=1
	ds_load_b32 v24, v17
	s_branch .LBB224_1
.LBB224_34:
	s_waitcnt lgkmcnt(0)
	v_xor_b32_e32 v0, 0x80000000, v21
	v_lshlrev_b32_e32 v1, 2, v8
	s_add_u32 s0, s18, s12
	s_addc_u32 s1, s19, s13
	global_store_b32 v1, v0, s[0:1]
	s_nop 0
	s_sendmsg sendmsg(MSG_DEALLOC_VGPRS)
	s_endpgm
	.section	.rodata,"a",@progbits
	.p2align	6, 0x0
	.amdhsa_kernel _Z16sort_keys_kernelI22helper_blocked_stripediLj320ELj1ELj10EEvPKT0_PS1_
		.amdhsa_group_segment_fixed_size 10288
		.amdhsa_private_segment_fixed_size 0
		.amdhsa_kernarg_size 272
		.amdhsa_user_sgpr_count 15
		.amdhsa_user_sgpr_dispatch_ptr 0
		.amdhsa_user_sgpr_queue_ptr 0
		.amdhsa_user_sgpr_kernarg_segment_ptr 1
		.amdhsa_user_sgpr_dispatch_id 0
		.amdhsa_user_sgpr_private_segment_size 0
		.amdhsa_wavefront_size32 1
		.amdhsa_uses_dynamic_stack 0
		.amdhsa_enable_private_segment 0
		.amdhsa_system_sgpr_workgroup_id_x 1
		.amdhsa_system_sgpr_workgroup_id_y 0
		.amdhsa_system_sgpr_workgroup_id_z 0
		.amdhsa_system_sgpr_workgroup_info 0
		.amdhsa_system_vgpr_workitem_id 2
		.amdhsa_next_free_vgpr 26
		.amdhsa_next_free_sgpr 22
		.amdhsa_reserve_vcc 1
		.amdhsa_float_round_mode_32 0
		.amdhsa_float_round_mode_16_64 0
		.amdhsa_float_denorm_mode_32 3
		.amdhsa_float_denorm_mode_16_64 3
		.amdhsa_dx10_clamp 1
		.amdhsa_ieee_mode 1
		.amdhsa_fp16_overflow 0
		.amdhsa_workgroup_processor_mode 1
		.amdhsa_memory_ordered 1
		.amdhsa_forward_progress 0
		.amdhsa_shared_vgpr_count 0
		.amdhsa_exception_fp_ieee_invalid_op 0
		.amdhsa_exception_fp_denorm_src 0
		.amdhsa_exception_fp_ieee_div_zero 0
		.amdhsa_exception_fp_ieee_overflow 0
		.amdhsa_exception_fp_ieee_underflow 0
		.amdhsa_exception_fp_ieee_inexact 0
		.amdhsa_exception_int_div_zero 0
	.end_amdhsa_kernel
	.section	.text._Z16sort_keys_kernelI22helper_blocked_stripediLj320ELj1ELj10EEvPKT0_PS1_,"axG",@progbits,_Z16sort_keys_kernelI22helper_blocked_stripediLj320ELj1ELj10EEvPKT0_PS1_,comdat
.Lfunc_end224:
	.size	_Z16sort_keys_kernelI22helper_blocked_stripediLj320ELj1ELj10EEvPKT0_PS1_, .Lfunc_end224-_Z16sort_keys_kernelI22helper_blocked_stripediLj320ELj1ELj10EEvPKT0_PS1_
                                        ; -- End function
	.section	.AMDGPU.csdata,"",@progbits
; Kernel info:
; codeLenInByte = 4348
; NumSgprs: 24
; NumVgprs: 26
; ScratchSize: 0
; MemoryBound: 0
; FloatMode: 240
; IeeeMode: 1
; LDSByteSize: 10288 bytes/workgroup (compile time only)
; SGPRBlocks: 2
; VGPRBlocks: 3
; NumSGPRsForWavesPerEU: 24
; NumVGPRsForWavesPerEU: 26
; Occupancy: 15
; WaveLimiterHint : 0
; COMPUTE_PGM_RSRC2:SCRATCH_EN: 0
; COMPUTE_PGM_RSRC2:USER_SGPR: 15
; COMPUTE_PGM_RSRC2:TRAP_HANDLER: 0
; COMPUTE_PGM_RSRC2:TGID_X_EN: 1
; COMPUTE_PGM_RSRC2:TGID_Y_EN: 0
; COMPUTE_PGM_RSRC2:TGID_Z_EN: 0
; COMPUTE_PGM_RSRC2:TIDIG_COMP_CNT: 2
	.section	.text._Z17sort_pairs_kernelI22helper_blocked_stripediLj320ELj1ELj10EEvPKT0_PS1_,"axG",@progbits,_Z17sort_pairs_kernelI22helper_blocked_stripediLj320ELj1ELj10EEvPKT0_PS1_,comdat
	.protected	_Z17sort_pairs_kernelI22helper_blocked_stripediLj320ELj1ELj10EEvPKT0_PS1_ ; -- Begin function _Z17sort_pairs_kernelI22helper_blocked_stripediLj320ELj1ELj10EEvPKT0_PS1_
	.globl	_Z17sort_pairs_kernelI22helper_blocked_stripediLj320ELj1ELj10EEvPKT0_PS1_
	.p2align	8
	.type	_Z17sort_pairs_kernelI22helper_blocked_stripediLj320ELj1ELj10EEvPKT0_PS1_,@function
_Z17sort_pairs_kernelI22helper_blocked_stripediLj320ELj1ELj10EEvPKT0_PS1_: ; @_Z17sort_pairs_kernelI22helper_blocked_stripediLj320ELj1ELj10EEvPKT0_PS1_
; %bb.0:
	s_clause 0x1
	s_load_b128 s[16:19], s[0:1], 0x0
	s_load_b32 s8, s[0:1], 0x1c
	s_mov_b32 s21, 0
	s_mul_i32 s20, s15, 0x140
	s_mov_b32 s14, s21
	s_mov_b32 s15, s21
	v_dual_mov_b32 v9, s14 :: v_dual_and_b32 v8, 0x3ff, v0
	s_lshl_b64 s[12:13], s[20:21], 2
	v_mov_b32_e32 v10, s15
	v_mbcnt_lo_u32_b32 v3, -1, 0
	s_delay_alu instid0(VALU_DEP_3) | instskip(SKIP_2) | instid1(VALU_DEP_3)
	v_lshlrev_b32_e32 v1, 2, v8
	s_mov_b32 s20, s21
	v_lshlrev_b32_e32 v13, 5, v8
	v_dual_mov_b32 v11, s20 :: v_dual_and_b32 v4, 15, v3
	v_add_nc_u32_e32 v6, -1, v3
	v_dual_mov_b32 v12, s21 :: v_dual_and_b32 v5, 16, v3
	v_cmp_eq_u32_e32 vcc_lo, 0, v3
	s_waitcnt lgkmcnt(0)
	s_add_u32 s0, s16, s12
	s_addc_u32 s1, s17, s13
	v_cmp_lt_u32_e64 s2, 3, v4
	global_load_b32 v2, v1, s[0:1]
	v_bfe_u32 v1, v0, 10, 10
	v_bfe_u32 v0, v0, 20, 10
	v_cmp_eq_u32_e64 s0, 0, v4
	v_cmp_lt_u32_e64 s1, 1, v4
	v_cmp_lt_u32_e64 s3, 7, v4
	v_and_b32_e32 v4, 0x1e0, v8
	v_cmp_gt_i32_e64 s7, 0, v6
	s_lshr_b32 s9, s8, 16
	v_cmp_eq_u32_e64 s4, 0, v5
	v_mad_u32_u24 v15, v0, s9, v1
	v_min_u32_e32 v16, 0x120, v4
	v_cndmask_b32_e64 v5, v6, v3, s7
	v_lshrrev_b32_e32 v6, 3, v8
	s_and_b32 s8, s8, 0xffff
	v_mul_i32_i24_e32 v7, 0xffffffe4, v8
	v_mad_u64_u32 v[0:1], null, v15, s8, v[8:9]
	s_delay_alu instid0(VALU_DEP_3)
	v_and_b32_e32 v14, 60, v6
	v_or_b32_e32 v1, v3, v4
	v_or_b32_e32 v3, 31, v16
	v_cmp_gt_u32_e64 s5, 10, v8
	v_cmp_lt_u32_e64 s6, 31, v8
	v_cmp_eq_u32_e64 s7, 0, v8
	v_add_nc_u32_e32 v15, 40, v13
	v_lshlrev_b32_e32 v16, 2, v5
	v_add_nc_u32_e32 v17, -4, v14
	v_lshlrev_b32_e32 v18, 2, v1
	v_cmp_eq_u32_e64 s8, v3, v8
	v_lshrrev_b32_e32 v19, 5, v0
	v_add_nc_u32_e32 v20, v13, v7
	s_mov_b32 s16, 10
	s_waitcnt vmcnt(0)
	v_add_nc_u32_e32 v21, 1, v2
	v_xor_b32_e32 v22, 0x80000000, v2
	s_branch .LBB225_2
.LBB225_1:                              ;   in Loop: Header=BB225_2 Depth=1
	s_or_b32 exec_lo, exec_lo, s9
	s_waitcnt lgkmcnt(0)
	v_add_nc_u32_e32 v3, v25, v3
	s_add_i32 s16, s16, -1
	s_delay_alu instid0(SALU_CYCLE_1) | instskip(SKIP_3) | instid1(VALU_DEP_1)
	s_cmp_lg_u32 s16, 0
	ds_bpermute_b32 v3, v16, v3
	s_waitcnt lgkmcnt(0)
	v_cndmask_b32_e32 v3, v3, v25, vcc_lo
	v_cndmask_b32_e64 v3, v3, 0, s7
	s_delay_alu instid0(VALU_DEP_1) | instskip(NEXT) | instid1(VALU_DEP_1)
	v_add_nc_u32_e32 v4, v3, v4
	v_add_nc_u32_e32 v5, v4, v5
	s_delay_alu instid0(VALU_DEP_1) | instskip(NEXT) | instid1(VALU_DEP_1)
	v_add_nc_u32_e32 v6, v5, v6
	v_add_nc_u32_e32 v25, v6, v7
	;; [unrolled: 3-line block ×3, first 2 shown]
	s_delay_alu instid0(VALU_DEP_1)
	v_add_nc_u32_e32 v1, v0, v2
	ds_store_2addr_b64 v13, v[3:4], v[5:6] offset0:5 offset1:6
	ds_store_2addr_b64 v15, v[25:26], v[0:1] offset0:2 offset1:3
	s_waitcnt lgkmcnt(0)
	s_barrier
	buffer_gl0_inv
	ds_load_b32 v0, v24
	v_lshlrev_b32_e32 v1, 2, v22
	s_waitcnt lgkmcnt(0)
	s_barrier
	buffer_gl0_inv
	v_lshl_add_u32 v0, v0, 2, v1
	ds_store_b32 v0, v21
	s_waitcnt lgkmcnt(0)
	s_barrier
	buffer_gl0_inv
	ds_load_b32 v22, v20
	s_waitcnt lgkmcnt(0)
	s_barrier
	buffer_gl0_inv
	ds_store_b32 v0, v23
	s_waitcnt lgkmcnt(0)
	s_barrier
	buffer_gl0_inv
	ds_load_b32 v21, v20
	s_cbranch_scc0 .LBB225_34
.LBB225_2:                              ; =>This Inner Loop Header: Depth=1
	s_delay_alu instid0(VALU_DEP_1)
	v_and_b32_e32 v0, 1, v22
	v_lshlrev_b32_e32 v1, 30, v22
	v_lshlrev_b32_e32 v2, 29, v22
	v_lshlrev_b32_e32 v4, 28, v22
	v_lshlrev_b32_e32 v5, 27, v22
	v_add_co_u32 v0, s9, v0, -1
	s_delay_alu instid0(VALU_DEP_1)
	v_cndmask_b32_e64 v3, 0, 1, s9
	v_not_b32_e32 v7, v1
	v_cmp_gt_i32_e64 s10, 0, v1
	v_not_b32_e32 v1, v2
	v_lshlrev_b32_e32 v6, 26, v22
	v_cmp_ne_u32_e64 s9, 0, v3
	v_ashrrev_i32_e32 v7, 31, v7
	v_lshlrev_b32_e32 v3, 25, v22
	v_ashrrev_i32_e32 v1, 31, v1
	v_cmp_gt_i32_e64 s11, 0, v5
	v_xor_b32_e32 v0, s9, v0
	v_cmp_gt_i32_e64 s9, 0, v2
	v_not_b32_e32 v2, v4
	v_xor_b32_e32 v7, s10, v7
	v_cmp_gt_i32_e64 s10, 0, v4
	v_and_b32_e32 v0, exec_lo, v0
	v_xor_b32_e32 v1, s9, v1
	v_ashrrev_i32_e32 v2, 31, v2
	v_not_b32_e32 v4, v5
	v_not_b32_e32 v5, v6
	v_and_b32_e32 v0, v0, v7
	v_cmp_gt_i32_e64 s9, 0, v6
	v_xor_b32_e32 v2, s10, v2
	v_not_b32_e32 v6, v3
	ds_store_2addr_b64 v13, v[11:12], v[9:10] offset0:5 offset1:6
	ds_store_2addr_b64 v15, v[11:12], v[9:10] offset0:2 offset1:3
	v_and_b32_e32 v0, v0, v1
	v_ashrrev_i32_e32 v1, 31, v4
	v_ashrrev_i32_e32 v4, 31, v5
	v_lshlrev_b32_e32 v5, 24, v22
	s_waitcnt lgkmcnt(0)
	v_and_b32_e32 v0, v0, v2
	v_xor_b32_e32 v1, s11, v1
	v_xor_b32_e32 v2, s9, v4
	v_cmp_gt_i32_e64 s9, 0, v3
	v_not_b32_e32 v3, v5
	v_ashrrev_i32_e32 v4, 31, v6
	v_and_b32_e32 v0, v0, v1
	v_cmp_gt_i32_e64 s10, 0, v5
	s_barrier
	v_ashrrev_i32_e32 v1, 31, v3
	v_xor_b32_e32 v3, s9, v4
	v_and_b32_e32 v0, v0, v2
	buffer_gl0_inv
	v_xor_b32_e32 v1, s10, v1
	; wave barrier
	v_and_b32_e32 v0, v0, v3
	s_delay_alu instid0(VALU_DEP_1) | instskip(SKIP_1) | instid1(VALU_DEP_2)
	v_and_b32_e32 v0, v0, v1
	v_and_b32_e32 v1, 0xff, v22
	v_mbcnt_lo_u32_b32 v23, v0, 0
	s_delay_alu instid0(VALU_DEP_2) | instskip(SKIP_1) | instid1(VALU_DEP_3)
	v_mad_u32_u24 v1, v1, 10, v19
	v_cmp_ne_u32_e64 s10, 0, v0
	v_cmp_eq_u32_e64 s9, 0, v23
	s_delay_alu instid0(VALU_DEP_3) | instskip(NEXT) | instid1(VALU_DEP_2)
	v_lshl_add_u32 v24, v1, 2, 40
	s_and_b32 s10, s10, s9
	s_delay_alu instid0(SALU_CYCLE_1)
	s_and_saveexec_b32 s9, s10
	s_cbranch_execz .LBB225_4
; %bb.3:                                ;   in Loop: Header=BB225_2 Depth=1
	v_bcnt_u32_b32 v0, v0, 0
	ds_store_b32 v24, v0
.LBB225_4:                              ;   in Loop: Header=BB225_2 Depth=1
	s_or_b32 exec_lo, exec_lo, s9
	; wave barrier
	s_waitcnt lgkmcnt(0)
	s_barrier
	buffer_gl0_inv
	ds_load_2addr_b64 v[4:7], v13 offset0:5 offset1:6
	ds_load_2addr_b64 v[0:3], v15 offset0:2 offset1:3
	s_waitcnt lgkmcnt(1)
	v_add_nc_u32_e32 v25, v5, v4
	s_delay_alu instid0(VALU_DEP_1) | instskip(SKIP_1) | instid1(VALU_DEP_1)
	v_add3_u32 v25, v25, v6, v7
	s_waitcnt lgkmcnt(0)
	v_add3_u32 v25, v25, v0, v1
	s_delay_alu instid0(VALU_DEP_1) | instskip(NEXT) | instid1(VALU_DEP_1)
	v_add3_u32 v3, v25, v2, v3
	v_mov_b32_dpp v25, v3 row_shr:1 row_mask:0xf bank_mask:0xf
	s_delay_alu instid0(VALU_DEP_1) | instskip(NEXT) | instid1(VALU_DEP_1)
	v_cndmask_b32_e64 v25, v25, 0, s0
	v_add_nc_u32_e32 v3, v25, v3
	s_delay_alu instid0(VALU_DEP_1) | instskip(NEXT) | instid1(VALU_DEP_1)
	v_mov_b32_dpp v25, v3 row_shr:2 row_mask:0xf bank_mask:0xf
	v_cndmask_b32_e64 v25, 0, v25, s1
	s_delay_alu instid0(VALU_DEP_1) | instskip(NEXT) | instid1(VALU_DEP_1)
	v_add_nc_u32_e32 v3, v3, v25
	v_mov_b32_dpp v25, v3 row_shr:4 row_mask:0xf bank_mask:0xf
	s_delay_alu instid0(VALU_DEP_1) | instskip(NEXT) | instid1(VALU_DEP_1)
	v_cndmask_b32_e64 v25, 0, v25, s2
	v_add_nc_u32_e32 v3, v3, v25
	s_delay_alu instid0(VALU_DEP_1) | instskip(NEXT) | instid1(VALU_DEP_1)
	v_mov_b32_dpp v25, v3 row_shr:8 row_mask:0xf bank_mask:0xf
	v_cndmask_b32_e64 v25, 0, v25, s3
	s_delay_alu instid0(VALU_DEP_1) | instskip(SKIP_3) | instid1(VALU_DEP_1)
	v_add_nc_u32_e32 v3, v3, v25
	ds_swizzle_b32 v25, v3 offset:swizzle(BROADCAST,32,15)
	s_waitcnt lgkmcnt(0)
	v_cndmask_b32_e64 v25, v25, 0, s4
	v_add_nc_u32_e32 v3, v3, v25
	s_and_saveexec_b32 s9, s8
	s_cbranch_execz .LBB225_6
; %bb.5:                                ;   in Loop: Header=BB225_2 Depth=1
	ds_store_b32 v14, v3
.LBB225_6:                              ;   in Loop: Header=BB225_2 Depth=1
	s_or_b32 exec_lo, exec_lo, s9
	s_waitcnt lgkmcnt(0)
	s_barrier
	buffer_gl0_inv
	s_and_saveexec_b32 s9, s5
	s_cbranch_execz .LBB225_8
; %bb.7:                                ;   in Loop: Header=BB225_2 Depth=1
	ds_load_b32 v25, v20
	s_waitcnt lgkmcnt(0)
	v_mov_b32_dpp v26, v25 row_shr:1 row_mask:0xf bank_mask:0xf
	s_delay_alu instid0(VALU_DEP_1) | instskip(NEXT) | instid1(VALU_DEP_1)
	v_cndmask_b32_e64 v26, v26, 0, s0
	v_add_nc_u32_e32 v25, v26, v25
	s_delay_alu instid0(VALU_DEP_1) | instskip(NEXT) | instid1(VALU_DEP_1)
	v_mov_b32_dpp v26, v25 row_shr:2 row_mask:0xf bank_mask:0xf
	v_cndmask_b32_e64 v26, 0, v26, s1
	s_delay_alu instid0(VALU_DEP_1) | instskip(NEXT) | instid1(VALU_DEP_1)
	v_add_nc_u32_e32 v25, v25, v26
	v_mov_b32_dpp v26, v25 row_shr:4 row_mask:0xf bank_mask:0xf
	s_delay_alu instid0(VALU_DEP_1) | instskip(NEXT) | instid1(VALU_DEP_1)
	v_cndmask_b32_e64 v26, 0, v26, s2
	v_add_nc_u32_e32 v25, v25, v26
	s_delay_alu instid0(VALU_DEP_1) | instskip(NEXT) | instid1(VALU_DEP_1)
	v_mov_b32_dpp v26, v25 row_shr:8 row_mask:0xf bank_mask:0xf
	v_cndmask_b32_e64 v26, 0, v26, s3
	s_delay_alu instid0(VALU_DEP_1)
	v_add_nc_u32_e32 v25, v25, v26
	ds_store_b32 v20, v25
.LBB225_8:                              ;   in Loop: Header=BB225_2 Depth=1
	s_or_b32 exec_lo, exec_lo, s9
	v_mov_b32_e32 v25, 0
	s_waitcnt lgkmcnt(0)
	s_barrier
	buffer_gl0_inv
	s_and_saveexec_b32 s9, s6
	s_cbranch_execz .LBB225_10
; %bb.9:                                ;   in Loop: Header=BB225_2 Depth=1
	ds_load_b32 v25, v17
.LBB225_10:                             ;   in Loop: Header=BB225_2 Depth=1
	s_or_b32 exec_lo, exec_lo, s9
	s_waitcnt lgkmcnt(0)
	v_add_nc_u32_e32 v3, v25, v3
	ds_bpermute_b32 v3, v16, v3
	s_waitcnt lgkmcnt(0)
	v_cndmask_b32_e32 v3, v3, v25, vcc_lo
	s_delay_alu instid0(VALU_DEP_1) | instskip(NEXT) | instid1(VALU_DEP_1)
	v_cndmask_b32_e64 v3, v3, 0, s7
	v_add_nc_u32_e32 v4, v3, v4
	s_delay_alu instid0(VALU_DEP_1) | instskip(NEXT) | instid1(VALU_DEP_1)
	v_add_nc_u32_e32 v5, v4, v5
	v_add_nc_u32_e32 v6, v5, v6
	s_delay_alu instid0(VALU_DEP_1) | instskip(NEXT) | instid1(VALU_DEP_1)
	v_add_nc_u32_e32 v25, v6, v7
	;; [unrolled: 3-line block ×3, first 2 shown]
	v_add_nc_u32_e32 v1, v0, v2
	ds_store_2addr_b64 v13, v[3:4], v[5:6] offset0:5 offset1:6
	ds_store_2addr_b64 v15, v[25:26], v[0:1] offset0:2 offset1:3
	s_waitcnt lgkmcnt(0)
	s_barrier
	buffer_gl0_inv
	ds_load_b32 v0, v24
	v_lshlrev_b32_e32 v1, 2, v23
	s_waitcnt lgkmcnt(0)
	s_barrier
	buffer_gl0_inv
	v_lshl_add_u32 v0, v0, 2, v1
	ds_store_b32 v0, v22
	s_waitcnt lgkmcnt(0)
	s_barrier
	buffer_gl0_inv
	ds_load_b32 v23, v18
	s_waitcnt lgkmcnt(0)
	s_barrier
	buffer_gl0_inv
	ds_store_b32 v0, v21
	s_waitcnt lgkmcnt(0)
	s_barrier
	buffer_gl0_inv
	v_bfe_u32 v1, v23, 8, 1
	v_lshrrev_b32_e32 v2, 8, v23
	s_delay_alu instid0(VALU_DEP_2) | instskip(NEXT) | instid1(VALU_DEP_1)
	v_add_co_u32 v1, s9, v1, -1
	v_cndmask_b32_e64 v3, 0, 1, s9
	s_delay_alu instid0(VALU_DEP_3)
	v_lshlrev_b32_e32 v4, 30, v2
	v_lshlrev_b32_e32 v5, 29, v2
	;; [unrolled: 1-line block ×4, first 2 shown]
	v_cmp_ne_u32_e64 s9, 0, v3
	v_not_b32_e32 v3, v4
	v_cmp_gt_i32_e64 s10, 0, v4
	v_not_b32_e32 v4, v5
	v_lshlrev_b32_e32 v22, 26, v2
	v_xor_b32_e32 v1, s9, v1
	v_ashrrev_i32_e32 v3, 31, v3
	v_cmp_gt_i32_e64 s9, 0, v5
	v_not_b32_e32 v5, v6
	v_ashrrev_i32_e32 v4, 31, v4
	v_and_b32_e32 v1, exec_lo, v1
	v_xor_b32_e32 v3, s10, v3
	v_cmp_gt_i32_e64 s10, 0, v6
	v_not_b32_e32 v6, v7
	v_ashrrev_i32_e32 v5, 31, v5
	v_xor_b32_e32 v4, s9, v4
	v_and_b32_e32 v1, v1, v3
	v_lshlrev_b32_e32 v24, 25, v2
	v_cmp_gt_i32_e64 s9, 0, v7
	v_not_b32_e32 v3, v22
	v_ashrrev_i32_e32 v6, 31, v6
	v_xor_b32_e32 v5, s10, v5
	v_and_b32_e32 v1, v1, v4
	v_lshlrev_b32_e32 v2, 24, v2
	v_cmp_gt_i32_e64 s10, 0, v22
	v_not_b32_e32 v4, v24
	v_ashrrev_i32_e32 v3, 31, v3
	v_xor_b32_e32 v6, s9, v6
	v_and_b32_e32 v1, v1, v5
	v_cmp_gt_i32_e64 s9, 0, v24
	v_not_b32_e32 v5, v2
	v_ashrrev_i32_e32 v4, 31, v4
	v_xor_b32_e32 v3, s10, v3
	v_and_b32_e32 v1, v1, v6
	v_cmp_gt_i32_e64 s10, 0, v2
	v_ashrrev_i32_e32 v2, 31, v5
	v_xor_b32_e32 v4, s9, v4
	ds_load_b32 v22, v18
	v_and_b32_e32 v1, v1, v3
	s_waitcnt lgkmcnt(0)
	v_xor_b32_e32 v0, s10, v2
	s_barrier
	buffer_gl0_inv
	v_and_b32_e32 v1, v1, v4
	ds_store_2addr_b64 v13, v[11:12], v[9:10] offset0:5 offset1:6
	ds_store_2addr_b64 v15, v[11:12], v[9:10] offset0:2 offset1:3
	s_waitcnt lgkmcnt(0)
	s_barrier
	buffer_gl0_inv
	v_and_b32_e32 v0, v1, v0
	v_bfe_u32 v1, v23, 8, 8
	; wave barrier
	s_delay_alu instid0(VALU_DEP_2) | instskip(NEXT) | instid1(VALU_DEP_2)
	v_mbcnt_lo_u32_b32 v21, v0, 0
	v_mad_u32_u24 v1, v1, 10, v19
	v_cmp_ne_u32_e64 s10, 0, v0
	s_delay_alu instid0(VALU_DEP_3) | instskip(NEXT) | instid1(VALU_DEP_3)
	v_cmp_eq_u32_e64 s9, 0, v21
	v_lshl_add_u32 v24, v1, 2, 40
	s_delay_alu instid0(VALU_DEP_2) | instskip(NEXT) | instid1(SALU_CYCLE_1)
	s_and_b32 s10, s10, s9
	s_and_saveexec_b32 s9, s10
	s_cbranch_execz .LBB225_12
; %bb.11:                               ;   in Loop: Header=BB225_2 Depth=1
	v_bcnt_u32_b32 v0, v0, 0
	ds_store_b32 v24, v0
.LBB225_12:                             ;   in Loop: Header=BB225_2 Depth=1
	s_or_b32 exec_lo, exec_lo, s9
	; wave barrier
	s_waitcnt lgkmcnt(0)
	s_barrier
	buffer_gl0_inv
	ds_load_2addr_b64 v[4:7], v13 offset0:5 offset1:6
	ds_load_2addr_b64 v[0:3], v15 offset0:2 offset1:3
	s_waitcnt lgkmcnt(1)
	v_add_nc_u32_e32 v25, v5, v4
	s_delay_alu instid0(VALU_DEP_1) | instskip(SKIP_1) | instid1(VALU_DEP_1)
	v_add3_u32 v25, v25, v6, v7
	s_waitcnt lgkmcnt(0)
	v_add3_u32 v25, v25, v0, v1
	s_delay_alu instid0(VALU_DEP_1) | instskip(NEXT) | instid1(VALU_DEP_1)
	v_add3_u32 v3, v25, v2, v3
	v_mov_b32_dpp v25, v3 row_shr:1 row_mask:0xf bank_mask:0xf
	s_delay_alu instid0(VALU_DEP_1) | instskip(NEXT) | instid1(VALU_DEP_1)
	v_cndmask_b32_e64 v25, v25, 0, s0
	v_add_nc_u32_e32 v3, v25, v3
	s_delay_alu instid0(VALU_DEP_1) | instskip(NEXT) | instid1(VALU_DEP_1)
	v_mov_b32_dpp v25, v3 row_shr:2 row_mask:0xf bank_mask:0xf
	v_cndmask_b32_e64 v25, 0, v25, s1
	s_delay_alu instid0(VALU_DEP_1) | instskip(NEXT) | instid1(VALU_DEP_1)
	v_add_nc_u32_e32 v3, v3, v25
	v_mov_b32_dpp v25, v3 row_shr:4 row_mask:0xf bank_mask:0xf
	s_delay_alu instid0(VALU_DEP_1) | instskip(NEXT) | instid1(VALU_DEP_1)
	v_cndmask_b32_e64 v25, 0, v25, s2
	v_add_nc_u32_e32 v3, v3, v25
	s_delay_alu instid0(VALU_DEP_1) | instskip(NEXT) | instid1(VALU_DEP_1)
	v_mov_b32_dpp v25, v3 row_shr:8 row_mask:0xf bank_mask:0xf
	v_cndmask_b32_e64 v25, 0, v25, s3
	s_delay_alu instid0(VALU_DEP_1) | instskip(SKIP_3) | instid1(VALU_DEP_1)
	v_add_nc_u32_e32 v3, v3, v25
	ds_swizzle_b32 v25, v3 offset:swizzle(BROADCAST,32,15)
	s_waitcnt lgkmcnt(0)
	v_cndmask_b32_e64 v25, v25, 0, s4
	v_add_nc_u32_e32 v3, v3, v25
	s_and_saveexec_b32 s9, s8
	s_cbranch_execz .LBB225_14
; %bb.13:                               ;   in Loop: Header=BB225_2 Depth=1
	ds_store_b32 v14, v3
.LBB225_14:                             ;   in Loop: Header=BB225_2 Depth=1
	s_or_b32 exec_lo, exec_lo, s9
	s_waitcnt lgkmcnt(0)
	s_barrier
	buffer_gl0_inv
	s_and_saveexec_b32 s9, s5
	s_cbranch_execz .LBB225_16
; %bb.15:                               ;   in Loop: Header=BB225_2 Depth=1
	ds_load_b32 v25, v20
	s_waitcnt lgkmcnt(0)
	v_mov_b32_dpp v26, v25 row_shr:1 row_mask:0xf bank_mask:0xf
	s_delay_alu instid0(VALU_DEP_1) | instskip(NEXT) | instid1(VALU_DEP_1)
	v_cndmask_b32_e64 v26, v26, 0, s0
	v_add_nc_u32_e32 v25, v26, v25
	s_delay_alu instid0(VALU_DEP_1) | instskip(NEXT) | instid1(VALU_DEP_1)
	v_mov_b32_dpp v26, v25 row_shr:2 row_mask:0xf bank_mask:0xf
	v_cndmask_b32_e64 v26, 0, v26, s1
	s_delay_alu instid0(VALU_DEP_1) | instskip(NEXT) | instid1(VALU_DEP_1)
	v_add_nc_u32_e32 v25, v25, v26
	v_mov_b32_dpp v26, v25 row_shr:4 row_mask:0xf bank_mask:0xf
	s_delay_alu instid0(VALU_DEP_1) | instskip(NEXT) | instid1(VALU_DEP_1)
	v_cndmask_b32_e64 v26, 0, v26, s2
	v_add_nc_u32_e32 v25, v25, v26
	s_delay_alu instid0(VALU_DEP_1) | instskip(NEXT) | instid1(VALU_DEP_1)
	v_mov_b32_dpp v26, v25 row_shr:8 row_mask:0xf bank_mask:0xf
	v_cndmask_b32_e64 v26, 0, v26, s3
	s_delay_alu instid0(VALU_DEP_1)
	v_add_nc_u32_e32 v25, v25, v26
	ds_store_b32 v20, v25
.LBB225_16:                             ;   in Loop: Header=BB225_2 Depth=1
	s_or_b32 exec_lo, exec_lo, s9
	v_mov_b32_e32 v25, 0
	s_waitcnt lgkmcnt(0)
	s_barrier
	buffer_gl0_inv
	s_and_saveexec_b32 s9, s6
	s_cbranch_execz .LBB225_18
; %bb.17:                               ;   in Loop: Header=BB225_2 Depth=1
	ds_load_b32 v25, v17
.LBB225_18:                             ;   in Loop: Header=BB225_2 Depth=1
	s_or_b32 exec_lo, exec_lo, s9
	s_waitcnt lgkmcnt(0)
	v_add_nc_u32_e32 v3, v25, v3
	ds_bpermute_b32 v3, v16, v3
	s_waitcnt lgkmcnt(0)
	v_cndmask_b32_e32 v3, v3, v25, vcc_lo
	s_delay_alu instid0(VALU_DEP_1) | instskip(NEXT) | instid1(VALU_DEP_1)
	v_cndmask_b32_e64 v3, v3, 0, s7
	v_add_nc_u32_e32 v4, v3, v4
	s_delay_alu instid0(VALU_DEP_1) | instskip(NEXT) | instid1(VALU_DEP_1)
	v_add_nc_u32_e32 v5, v4, v5
	v_add_nc_u32_e32 v6, v5, v6
	s_delay_alu instid0(VALU_DEP_1) | instskip(NEXT) | instid1(VALU_DEP_1)
	v_add_nc_u32_e32 v25, v6, v7
	;; [unrolled: 3-line block ×3, first 2 shown]
	v_add_nc_u32_e32 v1, v0, v2
	ds_store_2addr_b64 v13, v[3:4], v[5:6] offset0:5 offset1:6
	ds_store_2addr_b64 v15, v[25:26], v[0:1] offset0:2 offset1:3
	s_waitcnt lgkmcnt(0)
	s_barrier
	buffer_gl0_inv
	ds_load_b32 v0, v24
	v_lshlrev_b32_e32 v1, 2, v21
	s_waitcnt lgkmcnt(0)
	s_barrier
	buffer_gl0_inv
	v_lshl_add_u32 v0, v0, 2, v1
	v_dual_mov_b32 v1, s20 :: v_dual_mov_b32 v2, s21
	ds_store_b32 v0, v23
	s_waitcnt lgkmcnt(0)
	s_barrier
	buffer_gl0_inv
	ds_load_b32 v21, v18
	s_waitcnt lgkmcnt(0)
	s_barrier
	buffer_gl0_inv
	ds_store_b32 v0, v22
	s_waitcnt lgkmcnt(0)
	s_barrier
	buffer_gl0_inv
	ds_load_b32 v22, v18
	s_waitcnt lgkmcnt(0)
	s_barrier
	buffer_gl0_inv
	v_bfe_u32 v3, v21, 16, 1
	v_lshrrev_b32_e32 v4, 16, v21
	s_delay_alu instid0(VALU_DEP_2) | instskip(NEXT) | instid1(VALU_DEP_1)
	v_add_co_u32 v3, s9, v3, -1
	v_cndmask_b32_e64 v5, 0, 1, s9
	s_delay_alu instid0(VALU_DEP_3)
	v_lshlrev_b32_e32 v6, 30, v4
	v_lshlrev_b32_e32 v7, 29, v4
	;; [unrolled: 1-line block ×4, first 2 shown]
	v_cmp_ne_u32_e64 s9, 0, v5
	v_not_b32_e32 v5, v6
	v_cmp_gt_i32_e64 s10, 0, v6
	v_not_b32_e32 v6, v7
	v_lshlrev_b32_e32 v25, 26, v4
	v_xor_b32_e32 v3, s9, v3
	v_ashrrev_i32_e32 v5, 31, v5
	v_cmp_gt_i32_e64 s9, 0, v7
	v_not_b32_e32 v7, v23
	v_ashrrev_i32_e32 v6, 31, v6
	v_and_b32_e32 v3, exec_lo, v3
	v_xor_b32_e32 v5, s10, v5
	v_cmp_gt_i32_e64 s10, 0, v23
	v_not_b32_e32 v23, v24
	v_ashrrev_i32_e32 v7, 31, v7
	v_xor_b32_e32 v6, s9, v6
	v_and_b32_e32 v3, v3, v5
	v_lshlrev_b32_e32 v26, 25, v4
	v_cmp_gt_i32_e64 s9, 0, v24
	v_not_b32_e32 v5, v25
	v_ashrrev_i32_e32 v23, 31, v23
	v_xor_b32_e32 v7, s10, v7
	v_and_b32_e32 v3, v3, v6
	v_lshlrev_b32_e32 v4, 24, v4
	v_cmp_gt_i32_e64 s10, 0, v25
	v_not_b32_e32 v6, v26
	v_ashrrev_i32_e32 v5, 31, v5
	v_xor_b32_e32 v23, s9, v23
	v_and_b32_e32 v3, v3, v7
	v_cmp_gt_i32_e64 s9, 0, v26
	v_not_b32_e32 v7, v4
	v_ashrrev_i32_e32 v6, 31, v6
	v_xor_b32_e32 v5, s10, v5
	v_and_b32_e32 v3, v3, v23
	v_cmp_gt_i32_e64 s10, 0, v4
	v_ashrrev_i32_e32 v4, 31, v7
	v_xor_b32_e32 v6, s9, v6
	s_delay_alu instid0(VALU_DEP_4) | instskip(NEXT) | instid1(VALU_DEP_3)
	v_and_b32_e32 v3, v3, v5
	v_xor_b32_e32 v0, s10, v4
	s_delay_alu instid0(VALU_DEP_2)
	v_and_b32_e32 v5, v3, v6
	v_dual_mov_b32 v3, s14 :: v_dual_mov_b32 v4, s15
	ds_store_2addr_b64 v13, v[1:2], v[3:4] offset0:5 offset1:6
	ds_store_2addr_b64 v15, v[1:2], v[3:4] offset0:2 offset1:3
	v_and_b32_e32 v0, v5, v0
	v_bfe_u32 v5, v21, 16, 8
	s_waitcnt lgkmcnt(0)
	s_barrier
	buffer_gl0_inv
	v_mbcnt_lo_u32_b32 v23, v0, 0
	v_mad_u32_u24 v1, v5, 10, v19
	v_cmp_ne_u32_e64 s10, 0, v0
	; wave barrier
	s_delay_alu instid0(VALU_DEP_3) | instskip(NEXT) | instid1(VALU_DEP_3)
	v_cmp_eq_u32_e64 s9, 0, v23
	v_lshl_add_u32 v24, v1, 2, 40
	s_delay_alu instid0(VALU_DEP_2) | instskip(NEXT) | instid1(SALU_CYCLE_1)
	s_and_b32 s10, s10, s9
	s_and_saveexec_b32 s9, s10
	s_cbranch_execz .LBB225_20
; %bb.19:                               ;   in Loop: Header=BB225_2 Depth=1
	v_bcnt_u32_b32 v0, v0, 0
	ds_store_b32 v24, v0
.LBB225_20:                             ;   in Loop: Header=BB225_2 Depth=1
	s_or_b32 exec_lo, exec_lo, s9
	; wave barrier
	s_waitcnt lgkmcnt(0)
	s_barrier
	buffer_gl0_inv
	ds_load_2addr_b64 v[4:7], v13 offset0:5 offset1:6
	ds_load_2addr_b64 v[0:3], v15 offset0:2 offset1:3
	s_waitcnt lgkmcnt(1)
	v_add_nc_u32_e32 v25, v5, v4
	s_delay_alu instid0(VALU_DEP_1) | instskip(SKIP_1) | instid1(VALU_DEP_1)
	v_add3_u32 v25, v25, v6, v7
	s_waitcnt lgkmcnt(0)
	v_add3_u32 v25, v25, v0, v1
	s_delay_alu instid0(VALU_DEP_1) | instskip(NEXT) | instid1(VALU_DEP_1)
	v_add3_u32 v3, v25, v2, v3
	v_mov_b32_dpp v25, v3 row_shr:1 row_mask:0xf bank_mask:0xf
	s_delay_alu instid0(VALU_DEP_1) | instskip(NEXT) | instid1(VALU_DEP_1)
	v_cndmask_b32_e64 v25, v25, 0, s0
	v_add_nc_u32_e32 v3, v25, v3
	s_delay_alu instid0(VALU_DEP_1) | instskip(NEXT) | instid1(VALU_DEP_1)
	v_mov_b32_dpp v25, v3 row_shr:2 row_mask:0xf bank_mask:0xf
	v_cndmask_b32_e64 v25, 0, v25, s1
	s_delay_alu instid0(VALU_DEP_1) | instskip(NEXT) | instid1(VALU_DEP_1)
	v_add_nc_u32_e32 v3, v3, v25
	v_mov_b32_dpp v25, v3 row_shr:4 row_mask:0xf bank_mask:0xf
	s_delay_alu instid0(VALU_DEP_1) | instskip(NEXT) | instid1(VALU_DEP_1)
	v_cndmask_b32_e64 v25, 0, v25, s2
	v_add_nc_u32_e32 v3, v3, v25
	s_delay_alu instid0(VALU_DEP_1) | instskip(NEXT) | instid1(VALU_DEP_1)
	v_mov_b32_dpp v25, v3 row_shr:8 row_mask:0xf bank_mask:0xf
	v_cndmask_b32_e64 v25, 0, v25, s3
	s_delay_alu instid0(VALU_DEP_1) | instskip(SKIP_3) | instid1(VALU_DEP_1)
	v_add_nc_u32_e32 v3, v3, v25
	ds_swizzle_b32 v25, v3 offset:swizzle(BROADCAST,32,15)
	s_waitcnt lgkmcnt(0)
	v_cndmask_b32_e64 v25, v25, 0, s4
	v_add_nc_u32_e32 v3, v3, v25
	s_and_saveexec_b32 s9, s8
	s_cbranch_execz .LBB225_22
; %bb.21:                               ;   in Loop: Header=BB225_2 Depth=1
	ds_store_b32 v14, v3
.LBB225_22:                             ;   in Loop: Header=BB225_2 Depth=1
	s_or_b32 exec_lo, exec_lo, s9
	s_waitcnt lgkmcnt(0)
	s_barrier
	buffer_gl0_inv
	s_and_saveexec_b32 s9, s5
	s_cbranch_execz .LBB225_24
; %bb.23:                               ;   in Loop: Header=BB225_2 Depth=1
	ds_load_b32 v25, v20
	s_waitcnt lgkmcnt(0)
	v_mov_b32_dpp v26, v25 row_shr:1 row_mask:0xf bank_mask:0xf
	s_delay_alu instid0(VALU_DEP_1) | instskip(NEXT) | instid1(VALU_DEP_1)
	v_cndmask_b32_e64 v26, v26, 0, s0
	v_add_nc_u32_e32 v25, v26, v25
	s_delay_alu instid0(VALU_DEP_1) | instskip(NEXT) | instid1(VALU_DEP_1)
	v_mov_b32_dpp v26, v25 row_shr:2 row_mask:0xf bank_mask:0xf
	v_cndmask_b32_e64 v26, 0, v26, s1
	s_delay_alu instid0(VALU_DEP_1) | instskip(NEXT) | instid1(VALU_DEP_1)
	v_add_nc_u32_e32 v25, v25, v26
	v_mov_b32_dpp v26, v25 row_shr:4 row_mask:0xf bank_mask:0xf
	s_delay_alu instid0(VALU_DEP_1) | instskip(NEXT) | instid1(VALU_DEP_1)
	v_cndmask_b32_e64 v26, 0, v26, s2
	v_add_nc_u32_e32 v25, v25, v26
	s_delay_alu instid0(VALU_DEP_1) | instskip(NEXT) | instid1(VALU_DEP_1)
	v_mov_b32_dpp v26, v25 row_shr:8 row_mask:0xf bank_mask:0xf
	v_cndmask_b32_e64 v26, 0, v26, s3
	s_delay_alu instid0(VALU_DEP_1)
	v_add_nc_u32_e32 v25, v25, v26
	ds_store_b32 v20, v25
.LBB225_24:                             ;   in Loop: Header=BB225_2 Depth=1
	s_or_b32 exec_lo, exec_lo, s9
	v_mov_b32_e32 v25, 0
	s_waitcnt lgkmcnt(0)
	s_barrier
	buffer_gl0_inv
	s_and_saveexec_b32 s9, s6
	s_cbranch_execz .LBB225_26
; %bb.25:                               ;   in Loop: Header=BB225_2 Depth=1
	ds_load_b32 v25, v17
.LBB225_26:                             ;   in Loop: Header=BB225_2 Depth=1
	s_or_b32 exec_lo, exec_lo, s9
	s_waitcnt lgkmcnt(0)
	v_add_nc_u32_e32 v3, v25, v3
	ds_bpermute_b32 v3, v16, v3
	s_waitcnt lgkmcnt(0)
	v_cndmask_b32_e32 v3, v3, v25, vcc_lo
	s_delay_alu instid0(VALU_DEP_1) | instskip(NEXT) | instid1(VALU_DEP_1)
	v_cndmask_b32_e64 v3, v3, 0, s7
	v_add_nc_u32_e32 v4, v3, v4
	s_delay_alu instid0(VALU_DEP_1) | instskip(NEXT) | instid1(VALU_DEP_1)
	v_add_nc_u32_e32 v5, v4, v5
	v_add_nc_u32_e32 v6, v5, v6
	s_delay_alu instid0(VALU_DEP_1) | instskip(NEXT) | instid1(VALU_DEP_1)
	v_add_nc_u32_e32 v25, v6, v7
	;; [unrolled: 3-line block ×3, first 2 shown]
	v_add_nc_u32_e32 v1, v0, v2
	ds_store_2addr_b64 v13, v[3:4], v[5:6] offset0:5 offset1:6
	ds_store_2addr_b64 v15, v[25:26], v[0:1] offset0:2 offset1:3
	s_waitcnt lgkmcnt(0)
	s_barrier
	buffer_gl0_inv
	ds_load_b32 v0, v24
	v_lshlrev_b32_e32 v1, 2, v23
	s_waitcnt lgkmcnt(0)
	s_barrier
	buffer_gl0_inv
	v_lshl_add_u32 v0, v0, 2, v1
	ds_store_b32 v0, v21
	s_waitcnt lgkmcnt(0)
	s_barrier
	buffer_gl0_inv
	ds_load_b32 v21, v18
	s_waitcnt lgkmcnt(0)
	s_barrier
	buffer_gl0_inv
	ds_store_b32 v0, v22
	s_waitcnt lgkmcnt(0)
	s_barrier
	buffer_gl0_inv
	v_bfe_u32 v1, v21, 24, 1
	v_lshrrev_b32_e32 v5, 24, v21
	s_delay_alu instid0(VALU_DEP_2) | instskip(NEXT) | instid1(VALU_DEP_1)
	v_add_co_u32 v1, s9, v1, -1
	v_cndmask_b32_e64 v2, 0, 1, s9
	s_delay_alu instid0(VALU_DEP_3)
	v_lshlrev_b32_e32 v3, 30, v5
	v_lshlrev_b32_e32 v4, 29, v5
	;; [unrolled: 1-line block ×4, first 2 shown]
	v_cmp_ne_u32_e64 s9, 0, v2
	v_not_b32_e32 v2, v3
	v_cmp_gt_i32_e64 s10, 0, v3
	v_not_b32_e32 v3, v4
	v_lshlrev_b32_e32 v23, 26, v5
	v_xor_b32_e32 v1, s9, v1
	v_ashrrev_i32_e32 v2, 31, v2
	v_cmp_gt_i32_e64 s9, 0, v4
	v_not_b32_e32 v4, v6
	v_ashrrev_i32_e32 v3, 31, v3
	v_and_b32_e32 v1, exec_lo, v1
	v_xor_b32_e32 v2, s10, v2
	v_cmp_gt_i32_e64 s10, 0, v6
	v_not_b32_e32 v6, v7
	v_ashrrev_i32_e32 v4, 31, v4
	v_xor_b32_e32 v3, s9, v3
	v_and_b32_e32 v1, v1, v2
	v_lshlrev_b32_e32 v24, 25, v5
	v_cmp_gt_i32_e64 s9, 0, v7
	v_not_b32_e32 v2, v23
	v_ashrrev_i32_e32 v6, 31, v6
	v_xor_b32_e32 v4, s10, v4
	v_and_b32_e32 v1, v1, v3
	v_cmp_gt_i32_e64 s10, 0, v23
	v_not_b32_e32 v3, v24
	v_ashrrev_i32_e32 v2, 31, v2
	v_xor_b32_e32 v6, s9, v6
	v_and_b32_e32 v1, v1, v4
	v_not_b32_e32 v4, v21
	v_cmp_gt_i32_e64 s9, 0, v24
	v_ashrrev_i32_e32 v3, 31, v3
	v_xor_b32_e32 v2, s10, v2
	v_and_b32_e32 v1, v1, v6
	v_cmp_gt_i32_e64 s10, 0, v21
	v_ashrrev_i32_e32 v4, 31, v4
	v_xor_b32_e32 v3, s9, v3
	ds_load_b32 v23, v18
	v_and_b32_e32 v1, v1, v2
	s_waitcnt lgkmcnt(0)
	v_xor_b32_e32 v0, s10, v4
	s_barrier
	buffer_gl0_inv
	v_and_b32_e32 v3, v1, v3
	v_dual_mov_b32 v1, s20 :: v_dual_mov_b32 v2, s21
	s_delay_alu instid0(VALU_DEP_2)
	v_dual_mov_b32 v3, s14 :: v_dual_and_b32 v0, v3, v0
	v_mov_b32_e32 v4, s15
	ds_store_2addr_b64 v13, v[1:2], v[3:4] offset0:5 offset1:6
	ds_store_2addr_b64 v15, v[1:2], v[3:4] offset0:2 offset1:3
	v_mbcnt_lo_u32_b32 v22, v0, 0
	v_mad_u32_u24 v1, v5, 10, v19
	v_cmp_ne_u32_e64 s10, 0, v0
	s_waitcnt lgkmcnt(0)
	s_barrier
	v_cmp_eq_u32_e64 s9, 0, v22
	v_lshl_add_u32 v24, v1, 2, 40
	buffer_gl0_inv
	; wave barrier
	s_and_b32 s10, s10, s9
	s_delay_alu instid0(SALU_CYCLE_1)
	s_and_saveexec_b32 s9, s10
	s_cbranch_execz .LBB225_28
; %bb.27:                               ;   in Loop: Header=BB225_2 Depth=1
	v_bcnt_u32_b32 v0, v0, 0
	ds_store_b32 v24, v0
.LBB225_28:                             ;   in Loop: Header=BB225_2 Depth=1
	s_or_b32 exec_lo, exec_lo, s9
	; wave barrier
	s_waitcnt lgkmcnt(0)
	s_barrier
	buffer_gl0_inv
	ds_load_2addr_b64 v[4:7], v13 offset0:5 offset1:6
	ds_load_2addr_b64 v[0:3], v15 offset0:2 offset1:3
	s_waitcnt lgkmcnt(1)
	v_add_nc_u32_e32 v25, v5, v4
	s_delay_alu instid0(VALU_DEP_1) | instskip(SKIP_1) | instid1(VALU_DEP_1)
	v_add3_u32 v25, v25, v6, v7
	s_waitcnt lgkmcnt(0)
	v_add3_u32 v25, v25, v0, v1
	s_delay_alu instid0(VALU_DEP_1) | instskip(NEXT) | instid1(VALU_DEP_1)
	v_add3_u32 v3, v25, v2, v3
	v_mov_b32_dpp v25, v3 row_shr:1 row_mask:0xf bank_mask:0xf
	s_delay_alu instid0(VALU_DEP_1) | instskip(NEXT) | instid1(VALU_DEP_1)
	v_cndmask_b32_e64 v25, v25, 0, s0
	v_add_nc_u32_e32 v3, v25, v3
	s_delay_alu instid0(VALU_DEP_1) | instskip(NEXT) | instid1(VALU_DEP_1)
	v_mov_b32_dpp v25, v3 row_shr:2 row_mask:0xf bank_mask:0xf
	v_cndmask_b32_e64 v25, 0, v25, s1
	s_delay_alu instid0(VALU_DEP_1) | instskip(NEXT) | instid1(VALU_DEP_1)
	v_add_nc_u32_e32 v3, v3, v25
	v_mov_b32_dpp v25, v3 row_shr:4 row_mask:0xf bank_mask:0xf
	s_delay_alu instid0(VALU_DEP_1) | instskip(NEXT) | instid1(VALU_DEP_1)
	v_cndmask_b32_e64 v25, 0, v25, s2
	v_add_nc_u32_e32 v3, v3, v25
	s_delay_alu instid0(VALU_DEP_1) | instskip(NEXT) | instid1(VALU_DEP_1)
	v_mov_b32_dpp v25, v3 row_shr:8 row_mask:0xf bank_mask:0xf
	v_cndmask_b32_e64 v25, 0, v25, s3
	s_delay_alu instid0(VALU_DEP_1) | instskip(SKIP_3) | instid1(VALU_DEP_1)
	v_add_nc_u32_e32 v3, v3, v25
	ds_swizzle_b32 v25, v3 offset:swizzle(BROADCAST,32,15)
	s_waitcnt lgkmcnt(0)
	v_cndmask_b32_e64 v25, v25, 0, s4
	v_add_nc_u32_e32 v3, v3, v25
	s_and_saveexec_b32 s9, s8
	s_cbranch_execz .LBB225_30
; %bb.29:                               ;   in Loop: Header=BB225_2 Depth=1
	ds_store_b32 v14, v3
.LBB225_30:                             ;   in Loop: Header=BB225_2 Depth=1
	s_or_b32 exec_lo, exec_lo, s9
	s_waitcnt lgkmcnt(0)
	s_barrier
	buffer_gl0_inv
	s_and_saveexec_b32 s9, s5
	s_cbranch_execz .LBB225_32
; %bb.31:                               ;   in Loop: Header=BB225_2 Depth=1
	ds_load_b32 v25, v20
	s_waitcnt lgkmcnt(0)
	v_mov_b32_dpp v26, v25 row_shr:1 row_mask:0xf bank_mask:0xf
	s_delay_alu instid0(VALU_DEP_1) | instskip(NEXT) | instid1(VALU_DEP_1)
	v_cndmask_b32_e64 v26, v26, 0, s0
	v_add_nc_u32_e32 v25, v26, v25
	s_delay_alu instid0(VALU_DEP_1) | instskip(NEXT) | instid1(VALU_DEP_1)
	v_mov_b32_dpp v26, v25 row_shr:2 row_mask:0xf bank_mask:0xf
	v_cndmask_b32_e64 v26, 0, v26, s1
	s_delay_alu instid0(VALU_DEP_1) | instskip(NEXT) | instid1(VALU_DEP_1)
	v_add_nc_u32_e32 v25, v25, v26
	v_mov_b32_dpp v26, v25 row_shr:4 row_mask:0xf bank_mask:0xf
	s_delay_alu instid0(VALU_DEP_1) | instskip(NEXT) | instid1(VALU_DEP_1)
	v_cndmask_b32_e64 v26, 0, v26, s2
	v_add_nc_u32_e32 v25, v25, v26
	s_delay_alu instid0(VALU_DEP_1) | instskip(NEXT) | instid1(VALU_DEP_1)
	v_mov_b32_dpp v26, v25 row_shr:8 row_mask:0xf bank_mask:0xf
	v_cndmask_b32_e64 v26, 0, v26, s3
	s_delay_alu instid0(VALU_DEP_1)
	v_add_nc_u32_e32 v25, v25, v26
	ds_store_b32 v20, v25
.LBB225_32:                             ;   in Loop: Header=BB225_2 Depth=1
	s_or_b32 exec_lo, exec_lo, s9
	v_mov_b32_e32 v25, 0
	s_waitcnt lgkmcnt(0)
	s_barrier
	buffer_gl0_inv
	s_and_saveexec_b32 s9, s6
	s_cbranch_execz .LBB225_1
; %bb.33:                               ;   in Loop: Header=BB225_2 Depth=1
	ds_load_b32 v25, v17
	s_branch .LBB225_1
.LBB225_34:
	s_waitcnt lgkmcnt(0)
	v_add3_u32 v0, v21, v22, 0x80000000
	v_lshlrev_b32_e32 v1, 2, v8
	s_add_u32 s0, s18, s12
	s_addc_u32 s1, s19, s13
	global_store_b32 v1, v0, s[0:1]
	s_nop 0
	s_sendmsg sendmsg(MSG_DEALLOC_VGPRS)
	s_endpgm
	.section	.rodata,"a",@progbits
	.p2align	6, 0x0
	.amdhsa_kernel _Z17sort_pairs_kernelI22helper_blocked_stripediLj320ELj1ELj10EEvPKT0_PS1_
		.amdhsa_group_segment_fixed_size 10288
		.amdhsa_private_segment_fixed_size 0
		.amdhsa_kernarg_size 272
		.amdhsa_user_sgpr_count 15
		.amdhsa_user_sgpr_dispatch_ptr 0
		.amdhsa_user_sgpr_queue_ptr 0
		.amdhsa_user_sgpr_kernarg_segment_ptr 1
		.amdhsa_user_sgpr_dispatch_id 0
		.amdhsa_user_sgpr_private_segment_size 0
		.amdhsa_wavefront_size32 1
		.amdhsa_uses_dynamic_stack 0
		.amdhsa_enable_private_segment 0
		.amdhsa_system_sgpr_workgroup_id_x 1
		.amdhsa_system_sgpr_workgroup_id_y 0
		.amdhsa_system_sgpr_workgroup_id_z 0
		.amdhsa_system_sgpr_workgroup_info 0
		.amdhsa_system_vgpr_workitem_id 2
		.amdhsa_next_free_vgpr 27
		.amdhsa_next_free_sgpr 22
		.amdhsa_reserve_vcc 1
		.amdhsa_float_round_mode_32 0
		.amdhsa_float_round_mode_16_64 0
		.amdhsa_float_denorm_mode_32 3
		.amdhsa_float_denorm_mode_16_64 3
		.amdhsa_dx10_clamp 1
		.amdhsa_ieee_mode 1
		.amdhsa_fp16_overflow 0
		.amdhsa_workgroup_processor_mode 1
		.amdhsa_memory_ordered 1
		.amdhsa_forward_progress 0
		.amdhsa_shared_vgpr_count 0
		.amdhsa_exception_fp_ieee_invalid_op 0
		.amdhsa_exception_fp_denorm_src 0
		.amdhsa_exception_fp_ieee_div_zero 0
		.amdhsa_exception_fp_ieee_overflow 0
		.amdhsa_exception_fp_ieee_underflow 0
		.amdhsa_exception_fp_ieee_inexact 0
		.amdhsa_exception_int_div_zero 0
	.end_amdhsa_kernel
	.section	.text._Z17sort_pairs_kernelI22helper_blocked_stripediLj320ELj1ELj10EEvPKT0_PS1_,"axG",@progbits,_Z17sort_pairs_kernelI22helper_blocked_stripediLj320ELj1ELj10EEvPKT0_PS1_,comdat
.Lfunc_end225:
	.size	_Z17sort_pairs_kernelI22helper_blocked_stripediLj320ELj1ELj10EEvPKT0_PS1_, .Lfunc_end225-_Z17sort_pairs_kernelI22helper_blocked_stripediLj320ELj1ELj10EEvPKT0_PS1_
                                        ; -- End function
	.section	.AMDGPU.csdata,"",@progbits
; Kernel info:
; codeLenInByte = 4532
; NumSgprs: 24
; NumVgprs: 27
; ScratchSize: 0
; MemoryBound: 0
; FloatMode: 240
; IeeeMode: 1
; LDSByteSize: 10288 bytes/workgroup (compile time only)
; SGPRBlocks: 2
; VGPRBlocks: 3
; NumSGPRsForWavesPerEU: 24
; NumVGPRsForWavesPerEU: 27
; Occupancy: 15
; WaveLimiterHint : 0
; COMPUTE_PGM_RSRC2:SCRATCH_EN: 0
; COMPUTE_PGM_RSRC2:USER_SGPR: 15
; COMPUTE_PGM_RSRC2:TRAP_HANDLER: 0
; COMPUTE_PGM_RSRC2:TGID_X_EN: 1
; COMPUTE_PGM_RSRC2:TGID_Y_EN: 0
; COMPUTE_PGM_RSRC2:TGID_Z_EN: 0
; COMPUTE_PGM_RSRC2:TIDIG_COMP_CNT: 2
	.section	.text._Z16sort_keys_kernelI22helper_blocked_stripediLj320ELj3ELj10EEvPKT0_PS1_,"axG",@progbits,_Z16sort_keys_kernelI22helper_blocked_stripediLj320ELj3ELj10EEvPKT0_PS1_,comdat
	.protected	_Z16sort_keys_kernelI22helper_blocked_stripediLj320ELj3ELj10EEvPKT0_PS1_ ; -- Begin function _Z16sort_keys_kernelI22helper_blocked_stripediLj320ELj3ELj10EEvPKT0_PS1_
	.globl	_Z16sort_keys_kernelI22helper_blocked_stripediLj320ELj3ELj10EEvPKT0_PS1_
	.p2align	8
	.type	_Z16sort_keys_kernelI22helper_blocked_stripediLj320ELj3ELj10EEvPKT0_PS1_,@function
_Z16sort_keys_kernelI22helper_blocked_stripediLj320ELj3ELj10EEvPKT0_PS1_: ; @_Z16sort_keys_kernelI22helper_blocked_stripediLj320ELj3ELj10EEvPKT0_PS1_
; %bb.0:
	s_clause 0x1
	s_load_b128 s[16:19], s[0:1], 0x0
	s_load_b32 s2, s[0:1], 0x1c
	s_mul_i32 s10, s15, 0x3c0
	s_mov_b32 s11, 0
	v_bfe_u32 v4, v0, 10, 10
	s_lshl_b64 s[12:13], s[10:11], 2
	s_mov_b32 s10, s11
	v_and_b32_e32 v8, 0x3ff, v0
	v_bfe_u32 v0, v0, 20, 10
	v_mbcnt_lo_u32_b32 v9, -1, 0
	s_mov_b32 s14, s11
	s_mov_b32 s15, s11
	v_mul_u32_u24_e32 v1, 3, v8
	v_lshrrev_b32_e32 v6, 5, v8
	v_cmp_eq_u32_e64 s8, 0, v9
	v_dual_mov_b32 v11, s14 :: v_dual_mov_b32 v12, s15
	s_delay_alu instid0(VALU_DEP_4) | instskip(NEXT) | instid1(VALU_DEP_4)
	v_lshlrev_b32_e32 v1, 2, v1
	v_mul_u32_u24_e32 v7, 0x60, v6
	v_lshlrev_b32_e32 v19, 2, v6
	s_waitcnt lgkmcnt(0)
	s_add_u32 s0, s16, s12
	s_addc_u32 s1, s17, s13
	global_load_b96 v[1:3], v1, s[0:1]
	s_lshr_b32 s0, s2, 16
	v_lshlrev_b32_e32 v10, 2, v7
	v_mad_u32_u24 v0, v0, s0, v4
	s_and_b32 s0, s2, 0xffff
	v_add_nc_u32_e32 v20, -4, v19
	s_delay_alu instid0(VALU_DEP_3) | instskip(NEXT) | instid1(VALU_DEP_3)
	v_mad_u32_u24 v14, v9, 12, v10
	v_mad_u64_u32 v[4:5], null, v0, s0, v[8:9]
	v_add_nc_u32_e32 v10, -1, v9
	v_or_b32_e32 v0, v9, v7
	v_and_b32_e32 v5, 15, v9
	s_delay_alu instid0(VALU_DEP_3)
	v_cmp_gt_i32_e32 vcc_lo, 0, v10
	v_and_b32_e32 v7, 0x1e0, v8
	v_lshrrev_b32_e32 v17, 5, v4
	v_and_b32_e32 v4, 16, v9
	v_lshlrev_b32_e32 v15, 2, v0
	v_cmp_eq_u32_e64 s0, 0, v5
	v_cmp_lt_u32_e64 s1, 1, v5
	v_cmp_lt_u32_e64 s2, 3, v5
	v_cmp_eq_u32_e64 s4, 0, v4
	v_cndmask_b32_e32 v4, v10, v9, vcc_lo
	v_min_u32_e32 v0, 0x120, v7
	v_cmp_lt_u32_e64 s3, 7, v5
	s_delay_alu instid0(VALU_DEP_3) | instskip(NEXT) | instid1(VALU_DEP_3)
	v_lshlrev_b32_e32 v18, 2, v4
	v_or_b32_e32 v0, 31, v0
	s_delay_alu instid0(VALU_DEP_1) | instskip(SKIP_1) | instid1(VALU_DEP_1)
	v_cmp_eq_u32_e64 s5, v0, v8
	v_mul_u32_u24_e32 v0, 3, v7
	v_or_b32_e32 v0, v9, v0
	v_mov_b32_e32 v9, s10
	v_lshlrev_b32_e32 v13, 5, v8
	v_mul_i32_i24_e32 v4, 0xffffffe4, v8
	v_cmp_gt_u32_e64 s6, 10, v8
	v_cmp_lt_u32_e64 s7, 31, v8
	v_cmp_eq_u32_e64 s9, 0, v8
	v_add_nc_u32_e32 v16, 40, v13
	v_dual_mov_b32 v10, s11 :: v_dual_lshlrev_b32 v21, 2, v0
	v_add_nc_u32_e32 v22, v13, v4
	s_branch .LBB226_2
.LBB226_1:                              ;   in Loop: Header=BB226_2 Depth=1
	v_lshlrev_b32_e32 v0, 2, v5
	v_lshlrev_b32_e32 v1, 2, v4
	v_lshlrev_b32_e32 v2, 2, v3
	s_barrier
	buffer_gl0_inv
	ds_store_b32 v0, v23
	ds_store_b32 v1, v25
	;; [unrolled: 1-line block ×3, first 2 shown]
	s_waitcnt lgkmcnt(0)
	s_barrier
	buffer_gl0_inv
	ds_load_2addr_stride64_b32 v[1:2], v22 offset1:5
	ds_load_b32 v0, v22 offset:2560
	s_add_i32 s11, s11, 1
	s_delay_alu instid0(SALU_CYCLE_1)
	s_cmp_eq_u32 s11, 10
	s_waitcnt lgkmcnt(1)
	v_xor_b32_e32 v1, 0x80000000, v1
	v_xor_b32_e32 v2, 0x80000000, v2
	s_waitcnt lgkmcnt(0)
	v_xor_b32_e32 v3, 0x80000000, v0
	s_cbranch_scc1 .LBB226_18
.LBB226_2:                              ; =>This Loop Header: Depth=1
                                        ;     Child Loop BB226_4 Depth 2
	s_waitcnt vmcnt(0)
	v_xor_b32_e32 v0, 0x80000000, v1
	v_xor_b32_e32 v1, 0x80000000, v2
	;; [unrolled: 1-line block ×3, first 2 shown]
	s_mov_b32 s14, 0
	ds_store_2addr_b32 v14, v0, v1 offset1:1
	ds_store_b32 v14, v2 offset:8
	; wave barrier
	ds_load_2addr_b32 v[0:1], v15 offset1:32
	ds_load_b32 v2, v15 offset:256
	s_waitcnt lgkmcnt(0)
	s_barrier
	buffer_gl0_inv
	; wave barrier
	s_barrier
	s_branch .LBB226_4
.LBB226_3:                              ;   in Loop: Header=BB226_4 Depth=2
	v_lshlrev_b32_e32 v0, 2, v5
	v_lshlrev_b32_e32 v1, 2, v4
	s_delay_alu instid0(VALU_DEP_3)
	v_lshlrev_b32_e32 v2, 2, v3
	s_barrier
	buffer_gl0_inv
	ds_store_b32 v0, v23
	ds_store_b32 v1, v25
	;; [unrolled: 1-line block ×3, first 2 shown]
	s_waitcnt lgkmcnt(0)
	s_barrier
	buffer_gl0_inv
	ds_load_2addr_b32 v[0:1], v21 offset1:32
	ds_load_b32 v2, v21 offset:256
	s_add_i32 s14, s14, 8
	s_waitcnt lgkmcnt(0)
	s_barrier
	s_cbranch_execz .LBB226_1
.LBB226_4:                              ;   Parent Loop BB226_2 Depth=1
                                        ; =>  This Inner Loop Header: Depth=2
	v_mov_b32_e32 v23, v0
	buffer_gl0_inv
	ds_store_2addr_b64 v13, v[9:10], v[11:12] offset0:5 offset1:6
	ds_store_2addr_b64 v16, v[9:10], v[11:12] offset0:2 offset1:3
	s_waitcnt lgkmcnt(0)
	s_barrier
	v_lshrrev_b32_e32 v3, s14, v23
	buffer_gl0_inv
	; wave barrier
	v_lshlrev_b32_e32 v6, 29, v3
	v_bfe_u32 v0, v23, s14, 1
	v_lshlrev_b32_e32 v5, 30, v3
	v_lshlrev_b32_e32 v7, 28, v3
	;; [unrolled: 1-line block ×4, first 2 shown]
	v_add_co_u32 v0, s10, v0, -1
	s_delay_alu instid0(VALU_DEP_1) | instskip(SKIP_3) | instid1(VALU_DEP_4)
	v_cndmask_b32_e64 v4, 0, 1, s10
	v_cmp_gt_i32_e64 s10, 0, v5
	v_lshlrev_b32_e32 v26, 25, v3
	v_lshlrev_b32_e32 v3, 24, v3
	v_cmp_ne_u32_e32 vcc_lo, 0, v4
	v_not_b32_e32 v4, v5
	v_not_b32_e32 v5, v6
	v_xor_b32_e32 v0, vcc_lo, v0
	s_delay_alu instid0(VALU_DEP_3)
	v_ashrrev_i32_e32 v4, 31, v4
	v_cmp_gt_i32_e32 vcc_lo, 0, v6
	v_not_b32_e32 v6, v7
	v_ashrrev_i32_e32 v5, 31, v5
	v_and_b32_e32 v0, exec_lo, v0
	v_xor_b32_e32 v4, s10, v4
	v_cmp_gt_i32_e64 s10, 0, v7
	v_ashrrev_i32_e32 v6, 31, v6
	v_xor_b32_e32 v5, vcc_lo, v5
	s_delay_alu instid0(VALU_DEP_4) | instskip(SKIP_1) | instid1(VALU_DEP_4)
	v_and_b32_e32 v0, v0, v4
	v_not_b32_e32 v4, v25
	v_xor_b32_e32 v6, s10, v6
	v_cmp_gt_i32_e64 s10, 0, v25
	v_mov_b32_e32 v25, v1
	v_not_b32_e32 v7, v24
	v_cmp_gt_i32_e32 vcc_lo, 0, v24
	v_and_b32_e32 v0, v0, v5
	v_not_b32_e32 v5, v26
	v_ashrrev_i32_e32 v4, 31, v4
	v_ashrrev_i32_e32 v7, 31, v7
	v_bfe_u32 v1, v23, s14, 8
	v_and_b32_e32 v0, v0, v6
	v_not_b32_e32 v6, v3
	v_ashrrev_i32_e32 v5, 31, v5
	v_xor_b32_e32 v7, vcc_lo, v7
	v_cmp_gt_i32_e32 vcc_lo, 0, v26
	v_xor_b32_e32 v4, s10, v4
	v_cmp_gt_i32_e64 s10, 0, v3
	v_ashrrev_i32_e32 v3, 31, v6
	v_and_b32_e32 v0, v0, v7
	v_xor_b32_e32 v5, vcc_lo, v5
	v_mad_u32_u24 v1, v1, 10, v17
	v_mov_b32_e32 v24, v2
	v_xor_b32_e32 v3, s10, v3
	v_and_b32_e32 v0, v0, v4
	s_delay_alu instid0(VALU_DEP_4) | instskip(NEXT) | instid1(VALU_DEP_2)
	v_lshl_add_u32 v27, v1, 2, 40
	v_and_b32_e32 v0, v0, v5
	s_delay_alu instid0(VALU_DEP_1) | instskip(NEXT) | instid1(VALU_DEP_1)
	v_and_b32_e32 v0, v0, v3
	v_mbcnt_lo_u32_b32 v26, v0, 0
	v_cmp_ne_u32_e64 s10, 0, v0
	s_delay_alu instid0(VALU_DEP_2) | instskip(NEXT) | instid1(VALU_DEP_2)
	v_cmp_eq_u32_e32 vcc_lo, 0, v26
	s_and_b32 s15, s10, vcc_lo
	s_delay_alu instid0(SALU_CYCLE_1)
	s_and_saveexec_b32 s10, s15
	s_cbranch_execz .LBB226_6
; %bb.5:                                ;   in Loop: Header=BB226_4 Depth=2
	v_bcnt_u32_b32 v0, v0, 0
	ds_store_b32 v27, v0
.LBB226_6:                              ;   in Loop: Header=BB226_4 Depth=2
	s_or_b32 exec_lo, exec_lo, s10
	v_bfe_u32 v0, v25, s14, 1
	v_lshrrev_b32_e32 v1, s14, v25
	; wave barrier
	s_delay_alu instid0(VALU_DEP_2) | instskip(NEXT) | instid1(VALU_DEP_1)
	v_add_co_u32 v0, s10, v0, -1
	v_cndmask_b32_e64 v2, 0, 1, s10
	s_delay_alu instid0(VALU_DEP_3)
	v_lshlrev_b32_e32 v3, 30, v1
	v_lshlrev_b32_e32 v4, 29, v1
	;; [unrolled: 1-line block ×4, first 2 shown]
	v_cmp_ne_u32_e32 vcc_lo, 0, v2
	v_not_b32_e32 v2, v3
	v_cmp_gt_i32_e64 s10, 0, v3
	v_not_b32_e32 v3, v4
	v_lshlrev_b32_e32 v7, 26, v1
	v_xor_b32_e32 v0, vcc_lo, v0
	v_ashrrev_i32_e32 v2, 31, v2
	v_cmp_gt_i32_e32 vcc_lo, 0, v4
	v_not_b32_e32 v4, v5
	v_ashrrev_i32_e32 v3, 31, v3
	v_and_b32_e32 v0, exec_lo, v0
	v_xor_b32_e32 v2, s10, v2
	v_cmp_gt_i32_e64 s10, 0, v5
	v_not_b32_e32 v5, v6
	v_ashrrev_i32_e32 v4, 31, v4
	v_xor_b32_e32 v3, vcc_lo, v3
	v_and_b32_e32 v0, v0, v2
	v_cmp_gt_i32_e32 vcc_lo, 0, v6
	v_not_b32_e32 v2, v7
	v_ashrrev_i32_e32 v5, 31, v5
	v_xor_b32_e32 v4, s10, v4
	v_and_b32_e32 v0, v0, v3
	v_lshlrev_b32_e32 v3, 25, v1
	v_cmp_gt_i32_e64 s10, 0, v7
	v_ashrrev_i32_e32 v2, 31, v2
	v_xor_b32_e32 v5, vcc_lo, v5
	v_and_b32_e32 v0, v0, v4
	v_not_b32_e32 v6, v3
	v_lshlrev_b32_e32 v1, 24, v1
	v_bfe_u32 v4, v25, s14, 8
	v_xor_b32_e32 v2, s10, v2
	v_and_b32_e32 v0, v0, v5
	v_cmp_gt_i32_e32 vcc_lo, 0, v3
	v_ashrrev_i32_e32 v3, 31, v6
	v_not_b32_e32 v5, v1
	v_mul_u32_u24_e32 v4, 10, v4
	v_and_b32_e32 v0, v0, v2
	s_delay_alu instid0(VALU_DEP_4) | instskip(SKIP_3) | instid1(VALU_DEP_4)
	v_xor_b32_e32 v2, vcc_lo, v3
	v_cmp_gt_i32_e32 vcc_lo, 0, v1
	v_ashrrev_i32_e32 v1, 31, v5
	v_add_lshl_u32 v3, v4, v17, 2
	v_and_b32_e32 v0, v0, v2
	s_delay_alu instid0(VALU_DEP_3) | instskip(SKIP_3) | instid1(VALU_DEP_1)
	v_xor_b32_e32 v1, vcc_lo, v1
	ds_load_b32 v28, v3 offset:40
	v_add_nc_u32_e32 v30, 40, v3
	; wave barrier
	v_and_b32_e32 v0, v0, v1
	v_mbcnt_lo_u32_b32 v29, v0, 0
	v_cmp_ne_u32_e64 s10, 0, v0
	s_delay_alu instid0(VALU_DEP_2) | instskip(NEXT) | instid1(VALU_DEP_2)
	v_cmp_eq_u32_e32 vcc_lo, 0, v29
	s_and_b32 s15, s10, vcc_lo
	s_delay_alu instid0(SALU_CYCLE_1)
	s_and_saveexec_b32 s10, s15
	s_cbranch_execz .LBB226_8
; %bb.7:                                ;   in Loop: Header=BB226_4 Depth=2
	s_waitcnt lgkmcnt(0)
	v_bcnt_u32_b32 v0, v0, v28
	ds_store_b32 v30, v0
.LBB226_8:                              ;   in Loop: Header=BB226_4 Depth=2
	s_or_b32 exec_lo, exec_lo, s10
	v_bfe_u32 v0, v24, s14, 1
	v_lshrrev_b32_e32 v1, s14, v24
	; wave barrier
	s_delay_alu instid0(VALU_DEP_2) | instskip(NEXT) | instid1(VALU_DEP_1)
	v_add_co_u32 v0, s10, v0, -1
	v_cndmask_b32_e64 v2, 0, 1, s10
	s_delay_alu instid0(VALU_DEP_3)
	v_lshlrev_b32_e32 v3, 30, v1
	v_lshlrev_b32_e32 v4, 29, v1
	;; [unrolled: 1-line block ×4, first 2 shown]
	v_cmp_ne_u32_e32 vcc_lo, 0, v2
	v_not_b32_e32 v2, v3
	v_cmp_gt_i32_e64 s10, 0, v3
	v_not_b32_e32 v3, v4
	v_lshlrev_b32_e32 v7, 26, v1
	v_xor_b32_e32 v0, vcc_lo, v0
	v_ashrrev_i32_e32 v2, 31, v2
	v_cmp_gt_i32_e32 vcc_lo, 0, v4
	v_not_b32_e32 v4, v5
	v_ashrrev_i32_e32 v3, 31, v3
	v_and_b32_e32 v0, exec_lo, v0
	v_xor_b32_e32 v2, s10, v2
	v_cmp_gt_i32_e64 s10, 0, v5
	v_not_b32_e32 v5, v6
	v_ashrrev_i32_e32 v4, 31, v4
	v_xor_b32_e32 v3, vcc_lo, v3
	v_and_b32_e32 v0, v0, v2
	v_cmp_gt_i32_e32 vcc_lo, 0, v6
	v_not_b32_e32 v2, v7
	v_ashrrev_i32_e32 v5, 31, v5
	v_xor_b32_e32 v4, s10, v4
	v_and_b32_e32 v0, v0, v3
	v_lshlrev_b32_e32 v3, 25, v1
	v_cmp_gt_i32_e64 s10, 0, v7
	v_ashrrev_i32_e32 v2, 31, v2
	v_xor_b32_e32 v5, vcc_lo, v5
	v_and_b32_e32 v0, v0, v4
	v_not_b32_e32 v6, v3
	v_lshlrev_b32_e32 v1, 24, v1
	v_bfe_u32 v4, v24, s14, 8
	v_xor_b32_e32 v2, s10, v2
	v_and_b32_e32 v0, v0, v5
	v_cmp_gt_i32_e32 vcc_lo, 0, v3
	v_ashrrev_i32_e32 v3, 31, v6
	v_not_b32_e32 v5, v1
	v_mul_u32_u24_e32 v4, 10, v4
	v_and_b32_e32 v0, v0, v2
	s_delay_alu instid0(VALU_DEP_4) | instskip(SKIP_3) | instid1(VALU_DEP_4)
	v_xor_b32_e32 v2, vcc_lo, v3
	v_cmp_gt_i32_e32 vcc_lo, 0, v1
	v_ashrrev_i32_e32 v1, 31, v5
	v_add_lshl_u32 v3, v4, v17, 2
	v_and_b32_e32 v0, v0, v2
	s_delay_alu instid0(VALU_DEP_3) | instskip(SKIP_3) | instid1(VALU_DEP_1)
	v_xor_b32_e32 v1, vcc_lo, v1
	ds_load_b32 v31, v3 offset:40
	v_add_nc_u32_e32 v33, 40, v3
	; wave barrier
	v_and_b32_e32 v0, v0, v1
	v_mbcnt_lo_u32_b32 v32, v0, 0
	v_cmp_ne_u32_e64 s10, 0, v0
	s_delay_alu instid0(VALU_DEP_2) | instskip(NEXT) | instid1(VALU_DEP_2)
	v_cmp_eq_u32_e32 vcc_lo, 0, v32
	s_and_b32 s15, s10, vcc_lo
	s_delay_alu instid0(SALU_CYCLE_1)
	s_and_saveexec_b32 s10, s15
	s_cbranch_execz .LBB226_10
; %bb.9:                                ;   in Loop: Header=BB226_4 Depth=2
	s_waitcnt lgkmcnt(0)
	v_bcnt_u32_b32 v0, v0, v31
	ds_store_b32 v33, v0
.LBB226_10:                             ;   in Loop: Header=BB226_4 Depth=2
	s_or_b32 exec_lo, exec_lo, s10
	; wave barrier
	s_waitcnt lgkmcnt(0)
	s_barrier
	buffer_gl0_inv
	ds_load_2addr_b64 v[4:7], v13 offset0:5 offset1:6
	ds_load_2addr_b64 v[0:3], v16 offset0:2 offset1:3
	s_waitcnt lgkmcnt(1)
	v_add_nc_u32_e32 v34, v5, v4
	s_delay_alu instid0(VALU_DEP_1) | instskip(SKIP_1) | instid1(VALU_DEP_1)
	v_add3_u32 v34, v34, v6, v7
	s_waitcnt lgkmcnt(0)
	v_add3_u32 v34, v34, v0, v1
	s_delay_alu instid0(VALU_DEP_1) | instskip(NEXT) | instid1(VALU_DEP_1)
	v_add3_u32 v3, v34, v2, v3
	v_mov_b32_dpp v34, v3 row_shr:1 row_mask:0xf bank_mask:0xf
	s_delay_alu instid0(VALU_DEP_1) | instskip(NEXT) | instid1(VALU_DEP_1)
	v_cndmask_b32_e64 v34, v34, 0, s0
	v_add_nc_u32_e32 v3, v34, v3
	s_delay_alu instid0(VALU_DEP_1) | instskip(NEXT) | instid1(VALU_DEP_1)
	v_mov_b32_dpp v34, v3 row_shr:2 row_mask:0xf bank_mask:0xf
	v_cndmask_b32_e64 v34, 0, v34, s1
	s_delay_alu instid0(VALU_DEP_1) | instskip(NEXT) | instid1(VALU_DEP_1)
	v_add_nc_u32_e32 v3, v3, v34
	v_mov_b32_dpp v34, v3 row_shr:4 row_mask:0xf bank_mask:0xf
	s_delay_alu instid0(VALU_DEP_1) | instskip(NEXT) | instid1(VALU_DEP_1)
	v_cndmask_b32_e64 v34, 0, v34, s2
	v_add_nc_u32_e32 v3, v3, v34
	s_delay_alu instid0(VALU_DEP_1) | instskip(NEXT) | instid1(VALU_DEP_1)
	v_mov_b32_dpp v34, v3 row_shr:8 row_mask:0xf bank_mask:0xf
	v_cndmask_b32_e64 v34, 0, v34, s3
	s_delay_alu instid0(VALU_DEP_1) | instskip(SKIP_3) | instid1(VALU_DEP_1)
	v_add_nc_u32_e32 v3, v3, v34
	ds_swizzle_b32 v34, v3 offset:swizzle(BROADCAST,32,15)
	s_waitcnt lgkmcnt(0)
	v_cndmask_b32_e64 v34, v34, 0, s4
	v_add_nc_u32_e32 v3, v3, v34
	s_and_saveexec_b32 s10, s5
	s_cbranch_execz .LBB226_12
; %bb.11:                               ;   in Loop: Header=BB226_4 Depth=2
	ds_store_b32 v19, v3
.LBB226_12:                             ;   in Loop: Header=BB226_4 Depth=2
	s_or_b32 exec_lo, exec_lo, s10
	s_waitcnt lgkmcnt(0)
	s_barrier
	buffer_gl0_inv
	s_and_saveexec_b32 s10, s6
	s_cbranch_execz .LBB226_14
; %bb.13:                               ;   in Loop: Header=BB226_4 Depth=2
	ds_load_b32 v34, v22
	s_waitcnt lgkmcnt(0)
	v_mov_b32_dpp v35, v34 row_shr:1 row_mask:0xf bank_mask:0xf
	s_delay_alu instid0(VALU_DEP_1) | instskip(NEXT) | instid1(VALU_DEP_1)
	v_cndmask_b32_e64 v35, v35, 0, s0
	v_add_nc_u32_e32 v34, v35, v34
	s_delay_alu instid0(VALU_DEP_1) | instskip(NEXT) | instid1(VALU_DEP_1)
	v_mov_b32_dpp v35, v34 row_shr:2 row_mask:0xf bank_mask:0xf
	v_cndmask_b32_e64 v35, 0, v35, s1
	s_delay_alu instid0(VALU_DEP_1) | instskip(NEXT) | instid1(VALU_DEP_1)
	v_add_nc_u32_e32 v34, v34, v35
	v_mov_b32_dpp v35, v34 row_shr:4 row_mask:0xf bank_mask:0xf
	s_delay_alu instid0(VALU_DEP_1) | instskip(NEXT) | instid1(VALU_DEP_1)
	v_cndmask_b32_e64 v35, 0, v35, s2
	v_add_nc_u32_e32 v34, v34, v35
	s_delay_alu instid0(VALU_DEP_1) | instskip(NEXT) | instid1(VALU_DEP_1)
	v_mov_b32_dpp v35, v34 row_shr:8 row_mask:0xf bank_mask:0xf
	v_cndmask_b32_e64 v35, 0, v35, s3
	s_delay_alu instid0(VALU_DEP_1)
	v_add_nc_u32_e32 v34, v34, v35
	ds_store_b32 v22, v34
.LBB226_14:                             ;   in Loop: Header=BB226_4 Depth=2
	s_or_b32 exec_lo, exec_lo, s10
	v_mov_b32_e32 v34, 0
	s_waitcnt lgkmcnt(0)
	s_barrier
	buffer_gl0_inv
	s_and_saveexec_b32 s10, s7
	s_cbranch_execz .LBB226_16
; %bb.15:                               ;   in Loop: Header=BB226_4 Depth=2
	ds_load_b32 v34, v20
.LBB226_16:                             ;   in Loop: Header=BB226_4 Depth=2
	s_or_b32 exec_lo, exec_lo, s10
	s_waitcnt lgkmcnt(0)
	v_add_nc_u32_e32 v3, v34, v3
	s_cmp_gt_u32 s14, 23
	ds_bpermute_b32 v3, v18, v3
	s_waitcnt lgkmcnt(0)
	v_cndmask_b32_e64 v3, v3, v34, s8
	s_delay_alu instid0(VALU_DEP_1) | instskip(NEXT) | instid1(VALU_DEP_1)
	v_cndmask_b32_e64 v3, v3, 0, s9
	v_add_nc_u32_e32 v4, v3, v4
	s_delay_alu instid0(VALU_DEP_1) | instskip(NEXT) | instid1(VALU_DEP_1)
	v_add_nc_u32_e32 v5, v4, v5
	v_add_nc_u32_e32 v6, v5, v6
	s_delay_alu instid0(VALU_DEP_1) | instskip(NEXT) | instid1(VALU_DEP_1)
	v_add_nc_u32_e32 v34, v6, v7
	;; [unrolled: 3-line block ×3, first 2 shown]
	v_add_nc_u32_e32 v1, v0, v2
	ds_store_2addr_b64 v13, v[3:4], v[5:6] offset0:5 offset1:6
	ds_store_2addr_b64 v16, v[34:35], v[0:1] offset0:2 offset1:3
	s_waitcnt lgkmcnt(0)
	s_barrier
	buffer_gl0_inv
	ds_load_b32 v0, v27
	ds_load_b32 v1, v30
	;; [unrolled: 1-line block ×3, first 2 shown]
	s_waitcnt lgkmcnt(2)
	v_add_nc_u32_e32 v5, v0, v26
	s_waitcnt lgkmcnt(1)
	v_add3_u32 v4, v29, v28, v1
	s_waitcnt lgkmcnt(0)
	v_add3_u32 v3, v32, v31, v2
	s_cbranch_scc0 .LBB226_3
; %bb.17:                               ;   in Loop: Header=BB226_2 Depth=1
                                        ; implicit-def: $vgpr2
                                        ; implicit-def: $vgpr1
                                        ; implicit-def: $sgpr14
	s_branch .LBB226_1
.LBB226_18:
	v_lshlrev_b32_e32 v0, 2, v8
	s_add_u32 s0, s18, s12
	s_addc_u32 s1, s19, s13
	s_clause 0x2
	global_store_b32 v0, v1, s[0:1]
	global_store_b32 v0, v2, s[0:1] offset:1280
	global_store_b32 v0, v3, s[0:1] offset:2560
	s_nop 0
	s_sendmsg sendmsg(MSG_DEALLOC_VGPRS)
	s_endpgm
	.section	.rodata,"a",@progbits
	.p2align	6, 0x0
	.amdhsa_kernel _Z16sort_keys_kernelI22helper_blocked_stripediLj320ELj3ELj10EEvPKT0_PS1_
		.amdhsa_group_segment_fixed_size 10288
		.amdhsa_private_segment_fixed_size 0
		.amdhsa_kernarg_size 272
		.amdhsa_user_sgpr_count 15
		.amdhsa_user_sgpr_dispatch_ptr 0
		.amdhsa_user_sgpr_queue_ptr 0
		.amdhsa_user_sgpr_kernarg_segment_ptr 1
		.amdhsa_user_sgpr_dispatch_id 0
		.amdhsa_user_sgpr_private_segment_size 0
		.amdhsa_wavefront_size32 1
		.amdhsa_uses_dynamic_stack 0
		.amdhsa_enable_private_segment 0
		.amdhsa_system_sgpr_workgroup_id_x 1
		.amdhsa_system_sgpr_workgroup_id_y 0
		.amdhsa_system_sgpr_workgroup_id_z 0
		.amdhsa_system_sgpr_workgroup_info 0
		.amdhsa_system_vgpr_workitem_id 2
		.amdhsa_next_free_vgpr 36
		.amdhsa_next_free_sgpr 20
		.amdhsa_reserve_vcc 1
		.amdhsa_float_round_mode_32 0
		.amdhsa_float_round_mode_16_64 0
		.amdhsa_float_denorm_mode_32 3
		.amdhsa_float_denorm_mode_16_64 3
		.amdhsa_dx10_clamp 1
		.amdhsa_ieee_mode 1
		.amdhsa_fp16_overflow 0
		.amdhsa_workgroup_processor_mode 1
		.amdhsa_memory_ordered 1
		.amdhsa_forward_progress 0
		.amdhsa_shared_vgpr_count 0
		.amdhsa_exception_fp_ieee_invalid_op 0
		.amdhsa_exception_fp_denorm_src 0
		.amdhsa_exception_fp_ieee_div_zero 0
		.amdhsa_exception_fp_ieee_overflow 0
		.amdhsa_exception_fp_ieee_underflow 0
		.amdhsa_exception_fp_ieee_inexact 0
		.amdhsa_exception_int_div_zero 0
	.end_amdhsa_kernel
	.section	.text._Z16sort_keys_kernelI22helper_blocked_stripediLj320ELj3ELj10EEvPKT0_PS1_,"axG",@progbits,_Z16sort_keys_kernelI22helper_blocked_stripediLj320ELj3ELj10EEvPKT0_PS1_,comdat
.Lfunc_end226:
	.size	_Z16sort_keys_kernelI22helper_blocked_stripediLj320ELj3ELj10EEvPKT0_PS1_, .Lfunc_end226-_Z16sort_keys_kernelI22helper_blocked_stripediLj320ELj3ELj10EEvPKT0_PS1_
                                        ; -- End function
	.section	.AMDGPU.csdata,"",@progbits
; Kernel info:
; codeLenInByte = 2384
; NumSgprs: 22
; NumVgprs: 36
; ScratchSize: 0
; MemoryBound: 0
; FloatMode: 240
; IeeeMode: 1
; LDSByteSize: 10288 bytes/workgroup (compile time only)
; SGPRBlocks: 2
; VGPRBlocks: 4
; NumSGPRsForWavesPerEU: 22
; NumVGPRsForWavesPerEU: 36
; Occupancy: 15
; WaveLimiterHint : 1
; COMPUTE_PGM_RSRC2:SCRATCH_EN: 0
; COMPUTE_PGM_RSRC2:USER_SGPR: 15
; COMPUTE_PGM_RSRC2:TRAP_HANDLER: 0
; COMPUTE_PGM_RSRC2:TGID_X_EN: 1
; COMPUTE_PGM_RSRC2:TGID_Y_EN: 0
; COMPUTE_PGM_RSRC2:TGID_Z_EN: 0
; COMPUTE_PGM_RSRC2:TIDIG_COMP_CNT: 2
	.section	.text._Z17sort_pairs_kernelI22helper_blocked_stripediLj320ELj3ELj10EEvPKT0_PS1_,"axG",@progbits,_Z17sort_pairs_kernelI22helper_blocked_stripediLj320ELj3ELj10EEvPKT0_PS1_,comdat
	.protected	_Z17sort_pairs_kernelI22helper_blocked_stripediLj320ELj3ELj10EEvPKT0_PS1_ ; -- Begin function _Z17sort_pairs_kernelI22helper_blocked_stripediLj320ELj3ELj10EEvPKT0_PS1_
	.globl	_Z17sort_pairs_kernelI22helper_blocked_stripediLj320ELj3ELj10EEvPKT0_PS1_
	.p2align	8
	.type	_Z17sort_pairs_kernelI22helper_blocked_stripediLj320ELj3ELj10EEvPKT0_PS1_,@function
_Z17sort_pairs_kernelI22helper_blocked_stripediLj320ELj3ELj10EEvPKT0_PS1_: ; @_Z17sort_pairs_kernelI22helper_blocked_stripediLj320ELj3ELj10EEvPKT0_PS1_
; %bb.0:
	s_clause 0x1
	s_load_b128 s[16:19], s[0:1], 0x0
	s_load_b32 s9, s[0:1], 0x1c
	s_mov_b32 s11, 0
	s_mul_i32 s10, s15, 0x3c0
	v_mbcnt_lo_u32_b32 v6, -1, 0
	s_lshl_b64 s[12:13], s[10:11], 2
	s_mov_b32 s10, s11
	s_delay_alu instid0(SALU_CYCLE_1) | instskip(NEXT) | instid1(VALU_DEP_2)
	v_dual_mov_b32 v9, s10 :: v_dual_and_b32 v8, 0x3ff, v0
	v_add_nc_u32_e32 v11, -1, v6
	v_and_b32_e32 v7, 16, v6
	s_mov_b32 s14, s11
	s_delay_alu instid0(VALU_DEP_3)
	v_mul_u32_u24_e32 v1, 3, v8
	v_mov_b32_e32 v10, s11
	v_lshrrev_b32_e32 v12, 5, v8
	v_cmp_gt_i32_e32 vcc_lo, 0, v11
	v_cmp_eq_u32_e64 s5, 0, v7
	v_lshlrev_b32_e32 v1, 2, v1
	s_mov_b32 s15, s11
	v_lshlrev_b32_e32 v17, 2, v12
	s_waitcnt lgkmcnt(0)
	s_add_u32 s0, s16, s12
	s_addc_u32 s1, s17, s13
	v_cndmask_b32_e32 v7, v11, v6, vcc_lo
	global_load_b96 v[1:3], v1, s[0:1]
	v_mul_u32_u24_e32 v11, 0x60, v12
	v_and_b32_e32 v5, 15, v6
	v_bfe_u32 v4, v0, 10, 10
	v_bfe_u32 v0, v0, 20, 10
	s_lshr_b32 s10, s9, 16
	v_lshlrev_b32_e32 v12, 2, v11
	v_or_b32_e32 v11, v6, v11
	v_lshlrev_b32_e32 v16, 2, v7
	v_mad_u32_u24 v0, v0, s10, v4
	s_and_b32 s9, s9, 0xffff
	v_mad_u32_u24 v19, v6, 12, v12
	v_dual_mov_b32 v11, s14 :: v_dual_lshlrev_b32 v20, 2, v11
	v_mov_b32_e32 v12, s15
	v_cmp_eq_u32_e64 s1, 0, v5
	v_cmp_lt_u32_e64 s2, 1, v5
	v_cmp_lt_u32_e64 s3, 3, v5
	v_cmp_lt_u32_e64 s4, 7, v5
	v_and_b32_e32 v5, 0x1e0, v8
	v_lshlrev_b32_e32 v13, 5, v8
	v_cmp_eq_u32_e64 s0, 0, v6
	v_cmp_gt_u32_e64 s6, 10, v8
	v_cmp_lt_u32_e64 s7, 31, v8
	v_min_u32_e32 v18, 0x120, v5
	v_mul_u32_u24_e32 v7, 3, v5
	v_mad_u64_u32 v[4:5], null, v0, s9, v[8:9]
	v_cmp_eq_u32_e64 s8, 0, v8
	s_delay_alu instid0(VALU_DEP_4) | instskip(NEXT) | instid1(VALU_DEP_4)
	v_or_b32_e32 v0, 31, v18
	v_or_b32_e32 v5, v6, v7
	v_mul_i32_i24_e32 v14, 0xffffffe4, v8
	v_add_nc_u32_e32 v15, 40, v13
	v_add_nc_u32_e32 v18, -4, v17
	v_cmp_eq_u32_e64 s9, v0, v8
	v_lshlrev_b32_e32 v21, 2, v5
	v_lshrrev_b32_e32 v22, 5, v4
	s_waitcnt vmcnt(0)
	v_add_nc_u32_e32 v4, 1, v1
	v_add_nc_u32_e32 v5, 1, v2
	;; [unrolled: 1-line block ×3, first 2 shown]
	s_branch .LBB227_2
.LBB227_1:                              ;   in Loop: Header=BB227_2 Depth=1
	v_lshlrev_b32_e32 v0, 2, v29
	s_delay_alu instid0(VALU_DEP_2)
	v_lshlrev_b32_e32 v4, 2, v5
	v_add_nc_u32_e32 v6, v13, v14
	v_lshlrev_b32_e32 v3, 2, v7
	s_barrier
	buffer_gl0_inv
	ds_store_b32 v0, v23
	ds_store_b32 v3, v28
	;; [unrolled: 1-line block ×3, first 2 shown]
	s_waitcnt lgkmcnt(0)
	s_barrier
	buffer_gl0_inv
	ds_load_2addr_stride64_b32 v[1:2], v6 offset1:5
	ds_load_b32 v23, v6 offset:2560
	s_waitcnt lgkmcnt(0)
	s_barrier
	buffer_gl0_inv
	ds_store_b32 v0, v26
	ds_store_b32 v3, v25
	;; [unrolled: 1-line block ×3, first 2 shown]
	s_waitcnt lgkmcnt(0)
	s_barrier
	buffer_gl0_inv
	ds_load_2addr_stride64_b32 v[4:5], v6 offset1:5
	ds_load_b32 v7, v6 offset:2560
	s_add_i32 s11, s11, 1
	s_delay_alu instid0(SALU_CYCLE_1)
	s_cmp_eq_u32 s11, 10
	v_xor_b32_e32 v1, 0x80000000, v1
	v_xor_b32_e32 v2, 0x80000000, v2
	;; [unrolled: 1-line block ×3, first 2 shown]
	s_cbranch_scc1 .LBB227_18
.LBB227_2:                              ; =>This Loop Header: Depth=1
                                        ;     Child Loop BB227_4 Depth 2
	s_delay_alu instid0(VALU_DEP_3) | instskip(NEXT) | instid1(VALU_DEP_3)
	v_xor_b32_e32 v0, 0x80000000, v1
	v_xor_b32_e32 v1, 0x80000000, v2
	s_delay_alu instid0(VALU_DEP_3)
	v_xor_b32_e32 v2, 0x80000000, v3
	s_mov_b32 s14, 0
	ds_store_2addr_b32 v19, v0, v1 offset1:1
	ds_store_b32 v19, v2 offset:8
	; wave barrier
	ds_load_2addr_b32 v[0:1], v20 offset1:32
	ds_load_b32 v6, v20 offset:256
	; wave barrier
	s_waitcnt lgkmcnt(5)
	ds_store_2addr_b32 v19, v4, v5 offset1:1
	s_waitcnt lgkmcnt(5)
	ds_store_b32 v19, v7 offset:8
	; wave barrier
	ds_load_2addr_b32 v[2:3], v20 offset1:32
	ds_load_b32 v4, v20 offset:256
	s_waitcnt lgkmcnt(0)
	s_barrier
	s_branch .LBB227_4
.LBB227_3:                              ;   in Loop: Header=BB227_4 Depth=2
	v_lshlrev_b32_e32 v2, 2, v29
	v_lshlrev_b32_e32 v3, 2, v7
	s_delay_alu instid0(VALU_DEP_3)
	v_lshlrev_b32_e32 v4, 2, v5
	s_barrier
	buffer_gl0_inv
	ds_store_b32 v2, v23
	ds_store_b32 v3, v28
	;; [unrolled: 1-line block ×3, first 2 shown]
	s_waitcnt lgkmcnt(0)
	s_barrier
	buffer_gl0_inv
	ds_load_2addr_b32 v[0:1], v21 offset1:32
	ds_load_b32 v6, v21 offset:256
	s_waitcnt lgkmcnt(0)
	s_barrier
	buffer_gl0_inv
	ds_store_b32 v2, v26
	ds_store_b32 v3, v25
	;; [unrolled: 1-line block ×3, first 2 shown]
	s_waitcnt lgkmcnt(0)
	s_barrier
	buffer_gl0_inv
	ds_load_2addr_b32 v[2:3], v21 offset1:32
	ds_load_b32 v4, v21 offset:256
	s_add_i32 s14, s14, 8
	s_waitcnt lgkmcnt(0)
	s_barrier
	s_cbranch_execz .LBB227_1
.LBB227_4:                              ;   Parent Loop BB227_2 Depth=1
                                        ; =>  This Inner Loop Header: Depth=2
	v_mov_b32_e32 v23, v0
	buffer_gl0_inv
	ds_store_2addr_b64 v13, v[9:10], v[11:12] offset0:5 offset1:6
	ds_store_2addr_b64 v15, v[9:10], v[11:12] offset0:2 offset1:3
	s_waitcnt lgkmcnt(0)
	s_barrier
	v_lshrrev_b32_e32 v5, s14, v23
	buffer_gl0_inv
	; wave barrier
	v_lshlrev_b32_e32 v24, 30, v5
	v_bfe_u32 v0, v23, s14, 1
	v_lshlrev_b32_e32 v25, 29, v5
	v_lshlrev_b32_e32 v26, 28, v5
	;; [unrolled: 1-line block ×4, first 2 shown]
	v_add_co_u32 v0, s10, v0, -1
	s_delay_alu instid0(VALU_DEP_1) | instskip(SKIP_3) | instid1(VALU_DEP_4)
	v_cndmask_b32_e64 v7, 0, 1, s10
	v_cmp_gt_i32_e64 s10, 0, v24
	v_lshlrev_b32_e32 v29, 25, v5
	v_lshlrev_b32_e32 v5, 24, v5
	v_cmp_ne_u32_e32 vcc_lo, 0, v7
	v_not_b32_e32 v7, v24
	v_not_b32_e32 v24, v25
	v_xor_b32_e32 v0, vcc_lo, v0
	s_delay_alu instid0(VALU_DEP_3)
	v_ashrrev_i32_e32 v7, 31, v7
	v_cmp_gt_i32_e32 vcc_lo, 0, v25
	v_not_b32_e32 v25, v26
	v_ashrrev_i32_e32 v24, 31, v24
	v_and_b32_e32 v0, exec_lo, v0
	v_xor_b32_e32 v7, s10, v7
	v_cmp_gt_i32_e64 s10, 0, v26
	v_not_b32_e32 v26, v27
	v_ashrrev_i32_e32 v25, 31, v25
	v_xor_b32_e32 v24, vcc_lo, v24
	v_and_b32_e32 v0, v0, v7
	v_cmp_gt_i32_e32 vcc_lo, 0, v27
	v_ashrrev_i32_e32 v26, 31, v26
	v_xor_b32_e32 v25, s10, v25
	v_not_b32_e32 v7, v28
	v_and_b32_e32 v0, v0, v24
	v_cmp_gt_i32_e64 s10, 0, v28
	v_xor_b32_e32 v26, vcc_lo, v26
	v_mov_b32_e32 v28, v1
	v_ashrrev_i32_e32 v7, 31, v7
	v_and_b32_e32 v0, v0, v25
	v_not_b32_e32 v25, v5
	v_bfe_u32 v1, v23, s14, 8
	v_mov_b32_e32 v27, v6
	v_xor_b32_e32 v7, s10, v7
	v_and_b32_e32 v0, v0, v26
	v_mov_b32_e32 v26, v2
	v_not_b32_e32 v24, v29
	v_cmp_gt_i32_e32 vcc_lo, 0, v29
	v_cmp_gt_i32_e64 s10, 0, v5
	v_ashrrev_i32_e32 v5, 31, v25
	v_and_b32_e32 v0, v0, v7
	v_ashrrev_i32_e32 v24, 31, v24
	v_mad_u32_u24 v1, v1, 10, v22
	v_mov_b32_e32 v25, v3
	v_xor_b32_e32 v5, s10, v5
	s_delay_alu instid0(VALU_DEP_4) | instskip(NEXT) | instid1(VALU_DEP_4)
	v_xor_b32_e32 v24, vcc_lo, v24
	v_lshl_add_u32 v30, v1, 2, 40
	s_delay_alu instid0(VALU_DEP_2) | instskip(SKIP_1) | instid1(VALU_DEP_2)
	v_and_b32_e32 v0, v0, v24
	v_mov_b32_e32 v24, v4
	v_and_b32_e32 v0, v0, v5
	s_delay_alu instid0(VALU_DEP_1) | instskip(SKIP_1) | instid1(VALU_DEP_2)
	v_mbcnt_lo_u32_b32 v29, v0, 0
	v_cmp_ne_u32_e64 s10, 0, v0
	v_cmp_eq_u32_e32 vcc_lo, 0, v29
	s_delay_alu instid0(VALU_DEP_2) | instskip(NEXT) | instid1(SALU_CYCLE_1)
	s_and_b32 s15, s10, vcc_lo
	s_and_saveexec_b32 s10, s15
	s_cbranch_execz .LBB227_6
; %bb.5:                                ;   in Loop: Header=BB227_4 Depth=2
	v_bcnt_u32_b32 v0, v0, 0
	ds_store_b32 v30, v0
.LBB227_6:                              ;   in Loop: Header=BB227_4 Depth=2
	s_or_b32 exec_lo, exec_lo, s10
	v_bfe_u32 v0, v28, s14, 1
	v_lshrrev_b32_e32 v1, s14, v28
	; wave barrier
	s_delay_alu instid0(VALU_DEP_2) | instskip(NEXT) | instid1(VALU_DEP_1)
	v_add_co_u32 v0, s10, v0, -1
	v_cndmask_b32_e64 v2, 0, 1, s10
	s_delay_alu instid0(VALU_DEP_3)
	v_lshlrev_b32_e32 v3, 30, v1
	v_lshlrev_b32_e32 v4, 29, v1
	;; [unrolled: 1-line block ×4, first 2 shown]
	v_cmp_ne_u32_e32 vcc_lo, 0, v2
	v_not_b32_e32 v2, v3
	v_cmp_gt_i32_e64 s10, 0, v3
	v_not_b32_e32 v3, v4
	v_lshlrev_b32_e32 v7, 26, v1
	v_xor_b32_e32 v0, vcc_lo, v0
	v_ashrrev_i32_e32 v2, 31, v2
	v_cmp_gt_i32_e32 vcc_lo, 0, v4
	v_not_b32_e32 v4, v5
	v_ashrrev_i32_e32 v3, 31, v3
	v_and_b32_e32 v0, exec_lo, v0
	v_xor_b32_e32 v2, s10, v2
	v_cmp_gt_i32_e64 s10, 0, v5
	v_not_b32_e32 v5, v6
	v_ashrrev_i32_e32 v4, 31, v4
	v_xor_b32_e32 v3, vcc_lo, v3
	v_and_b32_e32 v0, v0, v2
	v_cmp_gt_i32_e32 vcc_lo, 0, v6
	v_not_b32_e32 v2, v7
	v_ashrrev_i32_e32 v5, 31, v5
	v_xor_b32_e32 v4, s10, v4
	v_and_b32_e32 v0, v0, v3
	v_lshlrev_b32_e32 v3, 25, v1
	v_cmp_gt_i32_e64 s10, 0, v7
	v_ashrrev_i32_e32 v2, 31, v2
	v_xor_b32_e32 v5, vcc_lo, v5
	v_and_b32_e32 v0, v0, v4
	v_not_b32_e32 v6, v3
	v_lshlrev_b32_e32 v1, 24, v1
	v_bfe_u32 v4, v28, s14, 8
	v_xor_b32_e32 v2, s10, v2
	v_and_b32_e32 v0, v0, v5
	v_cmp_gt_i32_e32 vcc_lo, 0, v3
	v_ashrrev_i32_e32 v3, 31, v6
	v_not_b32_e32 v5, v1
	v_mul_u32_u24_e32 v4, 10, v4
	v_and_b32_e32 v0, v0, v2
	s_delay_alu instid0(VALU_DEP_4) | instskip(SKIP_3) | instid1(VALU_DEP_4)
	v_xor_b32_e32 v2, vcc_lo, v3
	v_cmp_gt_i32_e32 vcc_lo, 0, v1
	v_ashrrev_i32_e32 v1, 31, v5
	v_add_lshl_u32 v3, v4, v22, 2
	v_and_b32_e32 v0, v0, v2
	s_delay_alu instid0(VALU_DEP_3) | instskip(SKIP_3) | instid1(VALU_DEP_1)
	v_xor_b32_e32 v1, vcc_lo, v1
	ds_load_b32 v31, v3 offset:40
	v_add_nc_u32_e32 v33, 40, v3
	; wave barrier
	v_and_b32_e32 v0, v0, v1
	v_mbcnt_lo_u32_b32 v32, v0, 0
	v_cmp_ne_u32_e64 s10, 0, v0
	s_delay_alu instid0(VALU_DEP_2) | instskip(NEXT) | instid1(VALU_DEP_2)
	v_cmp_eq_u32_e32 vcc_lo, 0, v32
	s_and_b32 s15, s10, vcc_lo
	s_delay_alu instid0(SALU_CYCLE_1)
	s_and_saveexec_b32 s10, s15
	s_cbranch_execz .LBB227_8
; %bb.7:                                ;   in Loop: Header=BB227_4 Depth=2
	s_waitcnt lgkmcnt(0)
	v_bcnt_u32_b32 v0, v0, v31
	ds_store_b32 v33, v0
.LBB227_8:                              ;   in Loop: Header=BB227_4 Depth=2
	s_or_b32 exec_lo, exec_lo, s10
	v_bfe_u32 v0, v27, s14, 1
	v_lshrrev_b32_e32 v1, s14, v27
	; wave barrier
	s_delay_alu instid0(VALU_DEP_2) | instskip(NEXT) | instid1(VALU_DEP_1)
	v_add_co_u32 v0, s10, v0, -1
	v_cndmask_b32_e64 v2, 0, 1, s10
	s_delay_alu instid0(VALU_DEP_3)
	v_lshlrev_b32_e32 v3, 30, v1
	v_lshlrev_b32_e32 v4, 29, v1
	;; [unrolled: 1-line block ×4, first 2 shown]
	v_cmp_ne_u32_e32 vcc_lo, 0, v2
	v_not_b32_e32 v2, v3
	v_cmp_gt_i32_e64 s10, 0, v3
	v_not_b32_e32 v3, v4
	v_lshlrev_b32_e32 v7, 26, v1
	v_xor_b32_e32 v0, vcc_lo, v0
	v_ashrrev_i32_e32 v2, 31, v2
	v_cmp_gt_i32_e32 vcc_lo, 0, v4
	v_not_b32_e32 v4, v5
	v_ashrrev_i32_e32 v3, 31, v3
	v_and_b32_e32 v0, exec_lo, v0
	v_xor_b32_e32 v2, s10, v2
	v_cmp_gt_i32_e64 s10, 0, v5
	v_not_b32_e32 v5, v6
	v_ashrrev_i32_e32 v4, 31, v4
	v_xor_b32_e32 v3, vcc_lo, v3
	v_and_b32_e32 v0, v0, v2
	v_cmp_gt_i32_e32 vcc_lo, 0, v6
	v_not_b32_e32 v2, v7
	v_ashrrev_i32_e32 v5, 31, v5
	v_xor_b32_e32 v4, s10, v4
	v_and_b32_e32 v0, v0, v3
	v_lshlrev_b32_e32 v3, 25, v1
	v_cmp_gt_i32_e64 s10, 0, v7
	v_ashrrev_i32_e32 v2, 31, v2
	v_xor_b32_e32 v5, vcc_lo, v5
	v_and_b32_e32 v0, v0, v4
	v_not_b32_e32 v6, v3
	v_lshlrev_b32_e32 v1, 24, v1
	v_bfe_u32 v4, v27, s14, 8
	v_xor_b32_e32 v2, s10, v2
	v_and_b32_e32 v0, v0, v5
	v_cmp_gt_i32_e32 vcc_lo, 0, v3
	v_ashrrev_i32_e32 v3, 31, v6
	v_not_b32_e32 v5, v1
	v_mul_u32_u24_e32 v4, 10, v4
	v_and_b32_e32 v0, v0, v2
	s_delay_alu instid0(VALU_DEP_4) | instskip(SKIP_3) | instid1(VALU_DEP_4)
	v_xor_b32_e32 v2, vcc_lo, v3
	v_cmp_gt_i32_e32 vcc_lo, 0, v1
	v_ashrrev_i32_e32 v1, 31, v5
	v_add_lshl_u32 v3, v4, v22, 2
	v_and_b32_e32 v0, v0, v2
	s_delay_alu instid0(VALU_DEP_3) | instskip(SKIP_3) | instid1(VALU_DEP_1)
	v_xor_b32_e32 v1, vcc_lo, v1
	ds_load_b32 v34, v3 offset:40
	v_add_nc_u32_e32 v36, 40, v3
	; wave barrier
	v_and_b32_e32 v0, v0, v1
	v_mbcnt_lo_u32_b32 v35, v0, 0
	v_cmp_ne_u32_e64 s10, 0, v0
	s_delay_alu instid0(VALU_DEP_2) | instskip(NEXT) | instid1(VALU_DEP_2)
	v_cmp_eq_u32_e32 vcc_lo, 0, v35
	s_and_b32 s15, s10, vcc_lo
	s_delay_alu instid0(SALU_CYCLE_1)
	s_and_saveexec_b32 s10, s15
	s_cbranch_execz .LBB227_10
; %bb.9:                                ;   in Loop: Header=BB227_4 Depth=2
	s_waitcnt lgkmcnt(0)
	v_bcnt_u32_b32 v0, v0, v34
	ds_store_b32 v36, v0
.LBB227_10:                             ;   in Loop: Header=BB227_4 Depth=2
	s_or_b32 exec_lo, exec_lo, s10
	; wave barrier
	s_waitcnt lgkmcnt(0)
	s_barrier
	buffer_gl0_inv
	ds_load_2addr_b64 v[4:7], v13 offset0:5 offset1:6
	ds_load_2addr_b64 v[0:3], v15 offset0:2 offset1:3
	s_waitcnt lgkmcnt(1)
	v_add_nc_u32_e32 v37, v5, v4
	s_delay_alu instid0(VALU_DEP_1) | instskip(SKIP_1) | instid1(VALU_DEP_1)
	v_add3_u32 v37, v37, v6, v7
	s_waitcnt lgkmcnt(0)
	v_add3_u32 v37, v37, v0, v1
	s_delay_alu instid0(VALU_DEP_1) | instskip(NEXT) | instid1(VALU_DEP_1)
	v_add3_u32 v3, v37, v2, v3
	v_mov_b32_dpp v37, v3 row_shr:1 row_mask:0xf bank_mask:0xf
	s_delay_alu instid0(VALU_DEP_1) | instskip(NEXT) | instid1(VALU_DEP_1)
	v_cndmask_b32_e64 v37, v37, 0, s1
	v_add_nc_u32_e32 v3, v37, v3
	s_delay_alu instid0(VALU_DEP_1) | instskip(NEXT) | instid1(VALU_DEP_1)
	v_mov_b32_dpp v37, v3 row_shr:2 row_mask:0xf bank_mask:0xf
	v_cndmask_b32_e64 v37, 0, v37, s2
	s_delay_alu instid0(VALU_DEP_1) | instskip(NEXT) | instid1(VALU_DEP_1)
	v_add_nc_u32_e32 v3, v3, v37
	v_mov_b32_dpp v37, v3 row_shr:4 row_mask:0xf bank_mask:0xf
	s_delay_alu instid0(VALU_DEP_1) | instskip(NEXT) | instid1(VALU_DEP_1)
	v_cndmask_b32_e64 v37, 0, v37, s3
	v_add_nc_u32_e32 v3, v3, v37
	s_delay_alu instid0(VALU_DEP_1) | instskip(NEXT) | instid1(VALU_DEP_1)
	v_mov_b32_dpp v37, v3 row_shr:8 row_mask:0xf bank_mask:0xf
	v_cndmask_b32_e64 v37, 0, v37, s4
	s_delay_alu instid0(VALU_DEP_1) | instskip(SKIP_3) | instid1(VALU_DEP_1)
	v_add_nc_u32_e32 v3, v3, v37
	ds_swizzle_b32 v37, v3 offset:swizzle(BROADCAST,32,15)
	s_waitcnt lgkmcnt(0)
	v_cndmask_b32_e64 v37, v37, 0, s5
	v_add_nc_u32_e32 v3, v3, v37
	s_and_saveexec_b32 s10, s9
	s_cbranch_execz .LBB227_12
; %bb.11:                               ;   in Loop: Header=BB227_4 Depth=2
	ds_store_b32 v17, v3
.LBB227_12:                             ;   in Loop: Header=BB227_4 Depth=2
	s_or_b32 exec_lo, exec_lo, s10
	s_waitcnt lgkmcnt(0)
	s_barrier
	buffer_gl0_inv
	s_and_saveexec_b32 s10, s6
	s_cbranch_execz .LBB227_14
; %bb.13:                               ;   in Loop: Header=BB227_4 Depth=2
	v_add_nc_u32_e32 v37, v13, v14
	ds_load_b32 v38, v37
	s_waitcnt lgkmcnt(0)
	v_mov_b32_dpp v39, v38 row_shr:1 row_mask:0xf bank_mask:0xf
	s_delay_alu instid0(VALU_DEP_1) | instskip(NEXT) | instid1(VALU_DEP_1)
	v_cndmask_b32_e64 v39, v39, 0, s1
	v_add_nc_u32_e32 v38, v39, v38
	s_delay_alu instid0(VALU_DEP_1) | instskip(NEXT) | instid1(VALU_DEP_1)
	v_mov_b32_dpp v39, v38 row_shr:2 row_mask:0xf bank_mask:0xf
	v_cndmask_b32_e64 v39, 0, v39, s2
	s_delay_alu instid0(VALU_DEP_1) | instskip(NEXT) | instid1(VALU_DEP_1)
	v_add_nc_u32_e32 v38, v38, v39
	v_mov_b32_dpp v39, v38 row_shr:4 row_mask:0xf bank_mask:0xf
	s_delay_alu instid0(VALU_DEP_1) | instskip(NEXT) | instid1(VALU_DEP_1)
	v_cndmask_b32_e64 v39, 0, v39, s3
	v_add_nc_u32_e32 v38, v38, v39
	s_delay_alu instid0(VALU_DEP_1) | instskip(NEXT) | instid1(VALU_DEP_1)
	v_mov_b32_dpp v39, v38 row_shr:8 row_mask:0xf bank_mask:0xf
	v_cndmask_b32_e64 v39, 0, v39, s4
	s_delay_alu instid0(VALU_DEP_1)
	v_add_nc_u32_e32 v38, v38, v39
	ds_store_b32 v37, v38
.LBB227_14:                             ;   in Loop: Header=BB227_4 Depth=2
	s_or_b32 exec_lo, exec_lo, s10
	v_mov_b32_e32 v37, 0
	s_waitcnt lgkmcnt(0)
	s_barrier
	buffer_gl0_inv
	s_and_saveexec_b32 s10, s7
	s_cbranch_execz .LBB227_16
; %bb.15:                               ;   in Loop: Header=BB227_4 Depth=2
	ds_load_b32 v37, v18
.LBB227_16:                             ;   in Loop: Header=BB227_4 Depth=2
	s_or_b32 exec_lo, exec_lo, s10
	s_waitcnt lgkmcnt(0)
	v_add_nc_u32_e32 v3, v37, v3
	s_cmp_gt_u32 s14, 23
	ds_bpermute_b32 v3, v16, v3
	s_waitcnt lgkmcnt(0)
	v_cndmask_b32_e64 v3, v3, v37, s0
	s_delay_alu instid0(VALU_DEP_1) | instskip(NEXT) | instid1(VALU_DEP_1)
	v_cndmask_b32_e64 v3, v3, 0, s8
	v_add_nc_u32_e32 v4, v3, v4
	s_delay_alu instid0(VALU_DEP_1) | instskip(NEXT) | instid1(VALU_DEP_1)
	v_add_nc_u32_e32 v5, v4, v5
	v_add_nc_u32_e32 v6, v5, v6
	s_delay_alu instid0(VALU_DEP_1) | instskip(NEXT) | instid1(VALU_DEP_1)
	v_add_nc_u32_e32 v37, v6, v7
	;; [unrolled: 3-line block ×3, first 2 shown]
	v_add_nc_u32_e32 v1, v0, v2
	ds_store_2addr_b64 v13, v[3:4], v[5:6] offset0:5 offset1:6
	ds_store_2addr_b64 v15, v[37:38], v[0:1] offset0:2 offset1:3
	s_waitcnt lgkmcnt(0)
	s_barrier
	buffer_gl0_inv
	ds_load_b32 v0, v30
	ds_load_b32 v1, v33
	ds_load_b32 v2, v36
	s_waitcnt lgkmcnt(2)
	v_add_nc_u32_e32 v29, v0, v29
	s_waitcnt lgkmcnt(1)
	v_add3_u32 v7, v32, v31, v1
	s_waitcnt lgkmcnt(0)
	v_add3_u32 v5, v35, v34, v2
	s_cbranch_scc0 .LBB227_3
; %bb.17:                               ;   in Loop: Header=BB227_2 Depth=1
                                        ; implicit-def: $vgpr6
                                        ; implicit-def: $vgpr1
                                        ; implicit-def: $vgpr4
                                        ; implicit-def: $vgpr3
                                        ; implicit-def: $sgpr14
	s_branch .LBB227_1
.LBB227_18:
	s_waitcnt lgkmcnt(1)
	v_add_nc_u32_e32 v0, v1, v4
	v_add_nc_u32_e32 v1, v2, v5
	v_lshlrev_b32_e32 v2, 2, v8
	s_waitcnt lgkmcnt(0)
	v_add_nc_u32_e32 v3, v3, v7
	s_add_u32 s0, s18, s12
	s_addc_u32 s1, s19, s13
	s_clause 0x2
	global_store_b32 v2, v0, s[0:1]
	global_store_b32 v2, v1, s[0:1] offset:1280
	global_store_b32 v2, v3, s[0:1] offset:2560
	s_nop 0
	s_sendmsg sendmsg(MSG_DEALLOC_VGPRS)
	s_endpgm
	.section	.rodata,"a",@progbits
	.p2align	6, 0x0
	.amdhsa_kernel _Z17sort_pairs_kernelI22helper_blocked_stripediLj320ELj3ELj10EEvPKT0_PS1_
		.amdhsa_group_segment_fixed_size 10288
		.amdhsa_private_segment_fixed_size 0
		.amdhsa_kernarg_size 272
		.amdhsa_user_sgpr_count 15
		.amdhsa_user_sgpr_dispatch_ptr 0
		.amdhsa_user_sgpr_queue_ptr 0
		.amdhsa_user_sgpr_kernarg_segment_ptr 1
		.amdhsa_user_sgpr_dispatch_id 0
		.amdhsa_user_sgpr_private_segment_size 0
		.amdhsa_wavefront_size32 1
		.amdhsa_uses_dynamic_stack 0
		.amdhsa_enable_private_segment 0
		.amdhsa_system_sgpr_workgroup_id_x 1
		.amdhsa_system_sgpr_workgroup_id_y 0
		.amdhsa_system_sgpr_workgroup_id_z 0
		.amdhsa_system_sgpr_workgroup_info 0
		.amdhsa_system_vgpr_workitem_id 2
		.amdhsa_next_free_vgpr 40
		.amdhsa_next_free_sgpr 20
		.amdhsa_reserve_vcc 1
		.amdhsa_float_round_mode_32 0
		.amdhsa_float_round_mode_16_64 0
		.amdhsa_float_denorm_mode_32 3
		.amdhsa_float_denorm_mode_16_64 3
		.amdhsa_dx10_clamp 1
		.amdhsa_ieee_mode 1
		.amdhsa_fp16_overflow 0
		.amdhsa_workgroup_processor_mode 1
		.amdhsa_memory_ordered 1
		.amdhsa_forward_progress 0
		.amdhsa_shared_vgpr_count 0
		.amdhsa_exception_fp_ieee_invalid_op 0
		.amdhsa_exception_fp_denorm_src 0
		.amdhsa_exception_fp_ieee_div_zero 0
		.amdhsa_exception_fp_ieee_overflow 0
		.amdhsa_exception_fp_ieee_underflow 0
		.amdhsa_exception_fp_ieee_inexact 0
		.amdhsa_exception_int_div_zero 0
	.end_amdhsa_kernel
	.section	.text._Z17sort_pairs_kernelI22helper_blocked_stripediLj320ELj3ELj10EEvPKT0_PS1_,"axG",@progbits,_Z17sort_pairs_kernelI22helper_blocked_stripediLj320ELj3ELj10EEvPKT0_PS1_,comdat
.Lfunc_end227:
	.size	_Z17sort_pairs_kernelI22helper_blocked_stripediLj320ELj3ELj10EEvPKT0_PS1_, .Lfunc_end227-_Z17sort_pairs_kernelI22helper_blocked_stripediLj320ELj3ELj10EEvPKT0_PS1_
                                        ; -- End function
	.section	.AMDGPU.csdata,"",@progbits
; Kernel info:
; codeLenInByte = 2596
; NumSgprs: 22
; NumVgprs: 40
; ScratchSize: 0
; MemoryBound: 0
; FloatMode: 240
; IeeeMode: 1
; LDSByteSize: 10288 bytes/workgroup (compile time only)
; SGPRBlocks: 2
; VGPRBlocks: 4
; NumSGPRsForWavesPerEU: 22
; NumVGPRsForWavesPerEU: 40
; Occupancy: 15
; WaveLimiterHint : 1
; COMPUTE_PGM_RSRC2:SCRATCH_EN: 0
; COMPUTE_PGM_RSRC2:USER_SGPR: 15
; COMPUTE_PGM_RSRC2:TRAP_HANDLER: 0
; COMPUTE_PGM_RSRC2:TGID_X_EN: 1
; COMPUTE_PGM_RSRC2:TGID_Y_EN: 0
; COMPUTE_PGM_RSRC2:TGID_Z_EN: 0
; COMPUTE_PGM_RSRC2:TIDIG_COMP_CNT: 2
	.section	.text._Z16sort_keys_kernelI22helper_blocked_stripediLj320ELj4ELj10EEvPKT0_PS1_,"axG",@progbits,_Z16sort_keys_kernelI22helper_blocked_stripediLj320ELj4ELj10EEvPKT0_PS1_,comdat
	.protected	_Z16sort_keys_kernelI22helper_blocked_stripediLj320ELj4ELj10EEvPKT0_PS1_ ; -- Begin function _Z16sort_keys_kernelI22helper_blocked_stripediLj320ELj4ELj10EEvPKT0_PS1_
	.globl	_Z16sort_keys_kernelI22helper_blocked_stripediLj320ELj4ELj10EEvPKT0_PS1_
	.p2align	8
	.type	_Z16sort_keys_kernelI22helper_blocked_stripediLj320ELj4ELj10EEvPKT0_PS1_,@function
_Z16sort_keys_kernelI22helper_blocked_stripediLj320ELj4ELj10EEvPKT0_PS1_: ; @_Z16sort_keys_kernelI22helper_blocked_stripediLj320ELj4ELj10EEvPKT0_PS1_
; %bb.0:
	s_clause 0x1
	s_load_b128 s[16:19], s[0:1], 0x0
	s_load_b32 s3, s[0:1], 0x1c
	v_mbcnt_lo_u32_b32 v8, -1, 0
	s_mul_i32 s14, s15, 0x500
	s_mov_b32 s15, 0
	v_bfe_u32 v7, v0, 10, 10
	s_lshl_b64 s[20:21], s[14:15], 2
	v_add_nc_u32_e32 v9, -1, v8
	s_mov_b32 s14, s15
	v_and_b32_e32 v5, 0x3ff, v0
	v_bfe_u32 v0, v0, 20, 10
	v_and_b32_e32 v6, 3, v8
	v_cmp_gt_i32_e32 vcc_lo, 0, v9
	v_cmp_eq_u32_e64 s11, 0, v8
	v_lshlrev_b32_e32 v1, 4, v5
	s_waitcnt lgkmcnt(0)
	s_add_u32 s0, s16, s20
	s_addc_u32 s1, s17, s21
	s_lshr_b32 s2, s3, 16
	global_load_b128 v[1:4], v1, s[0:1]
	v_mad_u32_u24 v0, v0, s2, v7
	s_and_b32 s3, s3, 0xffff
	v_cmp_eq_u32_e64 s0, 3, v6
	v_cmp_eq_u32_e64 s1, 2, v6
	;; [unrolled: 1-line block ×3, first 2 shown]
	v_mad_u64_u32 v[6:7], null, v0, s3, v[5:6]
	v_and_b32_e32 v7, 0x1e0, v5
	v_and_b32_e32 v0, 15, v8
	s_mov_b32 s16, s15
	s_mov_b32 s17, s15
	v_lshlrev_b32_e32 v12, 2, v5
	v_dual_mov_b32 v10, s16 :: v_dual_and_b32 v13, 28, v8
	v_lshrrev_b32_e32 v19, 5, v6
	v_min_u32_e32 v6, 0x120, v7
	v_cmp_eq_u32_e64 s3, 0, v0
	v_cmp_lt_u32_e64 s4, 1, v0
	v_and_b32_e32 v7, 16, v8
	v_cmp_lt_u32_e64 s5, 3, v0
	v_cmp_lt_u32_e64 s6, 7, v0
	v_or_b32_e32 v0, 31, v6
	v_cndmask_b32_e32 v6, v9, v8, vcc_lo
	v_cmp_eq_u32_e64 s7, 0, v7
	v_mov_b32_e32 v11, s17
	v_or_b32_e32 v14, 32, v13
	v_cmp_eq_u32_e64 s8, v0, v5
	v_and_or_b32 v0, 0x780, v12, v8
	v_mov_b32_e32 v8, s14
	v_lshrrev_b32_e32 v7, 3, v5
	v_lshlrev_b32_e32 v15, 5, v5
	v_or_b32_e32 v16, 64, v13
	v_or_b32_e32 v17, 0x60, v13
	v_cmp_gt_u32_e64 s9, 10, v5
	v_and_b32_e32 v21, 60, v7
	v_add_nc_u32_e32 v18, 40, v15
	v_cmp_lt_u32_e64 s10, 31, v5
	v_lshlrev_b32_e32 v20, 2, v6
	v_cmp_eq_u32_e64 s12, 0, v5
	v_mul_i32_i24_e32 v22, 0xffffffe4, v5
	v_add_nc_u32_e32 v23, -4, v21
	v_dual_mov_b32 v9, s15 :: v_dual_lshlrev_b32 v24, 2, v0
	s_branch .LBB228_2
.LBB228_1:                              ;   in Loop: Header=BB228_2 Depth=1
	v_lshlrev_b32_e32 v0, 2, v7
	v_lshlrev_b32_e32 v1, 2, v6
	;; [unrolled: 1-line block ×3, first 2 shown]
	s_barrier
	buffer_gl0_inv
	v_lshlrev_b32_e32 v3, 2, v4
	ds_store_b32 v0, v25
	ds_store_b32 v1, v28
	;; [unrolled: 1-line block ×3, first 2 shown]
	v_add_nc_u32_e32 v0, v15, v22
	s_add_i32 s15, s15, 1
	ds_store_b32 v3, v26
	s_waitcnt lgkmcnt(0)
	s_barrier
	buffer_gl0_inv
	ds_load_2addr_stride64_b32 v[1:2], v0 offset1:5
	ds_load_2addr_stride64_b32 v[3:4], v0 offset0:10 offset1:15
	s_cmp_eq_u32 s15, 10
	s_waitcnt lgkmcnt(1)
	v_xor_b32_e32 v1, 0x80000000, v1
	v_xor_b32_e32 v2, 0x80000000, v2
	s_waitcnt lgkmcnt(0)
	v_xor_b32_e32 v3, 0x80000000, v3
	v_xor_b32_e32 v4, 0x80000000, v4
	s_cbranch_scc1 .LBB228_20
.LBB228_2:                              ; =>This Loop Header: Depth=1
                                        ;     Child Loop BB228_4 Depth 2
	s_waitcnt vmcnt(0)
	v_xor_b32_e32 v0, 0x80000000, v1
	v_xor_b32_e32 v1, 0x80000000, v2
	;; [unrolled: 1-line block ×4, first 2 shown]
	s_mov_b32 s14, 0
	ds_bpermute_b32 v3, v13, v0
	ds_bpermute_b32 v5, v13, v1
	;; [unrolled: 1-line block ×16, first 2 shown]
	s_waitcnt lgkmcnt(0)
	s_barrier
	v_cndmask_b32_e64 v3, v3, v5, s2
	v_cndmask_b32_e64 v5, v6, v7, s2
	;; [unrolled: 1-line block ×4, first 2 shown]
	s_delay_alu instid0(VALU_DEP_4) | instskip(NEXT) | instid1(VALU_DEP_4)
	v_cndmask_b32_e64 v1, v3, v27, s1
	v_cndmask_b32_e64 v3, v5, v28, s1
	s_delay_alu instid0(VALU_DEP_4) | instskip(NEXT) | instid1(VALU_DEP_4)
	v_cndmask_b32_e64 v5, v6, v29, s1
	v_cndmask_b32_e64 v6, v0, v2, s1
	;; [unrolled: 3-line block ×4, first 2 shown]
	s_branch .LBB228_4
.LBB228_3:                              ;   in Loop: Header=BB228_4 Depth=2
	v_lshlrev_b32_e32 v0, 2, v7
	v_lshlrev_b32_e32 v1, 2, v6
	;; [unrolled: 1-line block ×4, first 2 shown]
	s_barrier
	buffer_gl0_inv
	ds_store_b32 v0, v25
	ds_store_b32 v1, v28
	;; [unrolled: 1-line block ×4, first 2 shown]
	s_waitcnt lgkmcnt(0)
	s_barrier
	buffer_gl0_inv
	ds_load_2addr_b32 v[0:1], v24 offset1:32
	ds_load_2addr_b32 v[2:3], v24 offset0:64 offset1:96
	s_add_i32 s14, s14, 8
	s_waitcnt lgkmcnt(0)
	s_barrier
	s_cbranch_execz .LBB228_1
.LBB228_4:                              ;   Parent Loop BB228_2 Depth=1
                                        ; =>  This Inner Loop Header: Depth=2
	v_mov_b32_e32 v25, v0
	buffer_gl0_inv
	ds_store_2addr_b64 v15, v[8:9], v[10:11] offset0:5 offset1:6
	ds_store_2addr_b64 v18, v[8:9], v[10:11] offset0:2 offset1:3
	s_waitcnt lgkmcnt(0)
	s_barrier
	v_lshrrev_b32_e32 v4, s14, v25
	buffer_gl0_inv
	; wave barrier
	v_lshlrev_b32_e32 v6, 30, v4
	v_bfe_u32 v0, v25, s14, 1
	v_lshlrev_b32_e32 v7, 29, v4
	v_lshlrev_b32_e32 v26, 28, v4
	;; [unrolled: 1-line block ×4, first 2 shown]
	v_add_co_u32 v0, s13, v0, -1
	s_delay_alu instid0(VALU_DEP_1) | instskip(SKIP_3) | instid1(VALU_DEP_4)
	v_cndmask_b32_e64 v5, 0, 1, s13
	v_cmp_gt_i32_e64 s13, 0, v6
	v_lshlrev_b32_e32 v29, 25, v4
	v_lshlrev_b32_e32 v4, 24, v4
	v_cmp_ne_u32_e32 vcc_lo, 0, v5
	v_not_b32_e32 v5, v6
	v_not_b32_e32 v6, v7
	v_xor_b32_e32 v0, vcc_lo, v0
	s_delay_alu instid0(VALU_DEP_3)
	v_ashrrev_i32_e32 v5, 31, v5
	v_cmp_gt_i32_e32 vcc_lo, 0, v7
	v_not_b32_e32 v7, v26
	v_ashrrev_i32_e32 v6, 31, v6
	v_and_b32_e32 v0, exec_lo, v0
	v_xor_b32_e32 v5, s13, v5
	v_cmp_gt_i32_e64 s13, 0, v26
	v_ashrrev_i32_e32 v7, 31, v7
	v_xor_b32_e32 v6, vcc_lo, v6
	s_delay_alu instid0(VALU_DEP_4) | instskip(SKIP_1) | instid1(VALU_DEP_4)
	v_and_b32_e32 v0, v0, v5
	v_not_b32_e32 v5, v28
	v_xor_b32_e32 v7, s13, v7
	v_cmp_gt_i32_e64 s13, 0, v28
	v_mov_b32_e32 v28, v1
	v_not_b32_e32 v26, v27
	v_cmp_gt_i32_e32 vcc_lo, 0, v27
	v_and_b32_e32 v0, v0, v6
	v_not_b32_e32 v6, v29
	v_ashrrev_i32_e32 v5, 31, v5
	v_ashrrev_i32_e32 v26, 31, v26
	v_bfe_u32 v1, v25, s14, 8
	v_and_b32_e32 v0, v0, v7
	v_not_b32_e32 v7, v4
	v_ashrrev_i32_e32 v6, 31, v6
	v_xor_b32_e32 v26, vcc_lo, v26
	v_cmp_gt_i32_e32 vcc_lo, 0, v29
	v_xor_b32_e32 v5, s13, v5
	v_cmp_gt_i32_e64 s13, 0, v4
	v_ashrrev_i32_e32 v4, 31, v7
	v_and_b32_e32 v0, v0, v26
	v_xor_b32_e32 v6, vcc_lo, v6
	v_mad_u32_u24 v1, v1, 10, v19
	v_mov_b32_e32 v26, v3
	v_xor_b32_e32 v4, s13, v4
	v_dual_mov_b32 v27, v2 :: v_dual_and_b32 v0, v0, v5
	s_delay_alu instid0(VALU_DEP_4) | instskip(NEXT) | instid1(VALU_DEP_2)
	v_lshl_add_u32 v30, v1, 2, 40
	v_and_b32_e32 v0, v0, v6
	s_delay_alu instid0(VALU_DEP_1) | instskip(NEXT) | instid1(VALU_DEP_1)
	v_and_b32_e32 v0, v0, v4
	v_mbcnt_lo_u32_b32 v29, v0, 0
	v_cmp_ne_u32_e64 s13, 0, v0
	s_delay_alu instid0(VALU_DEP_2) | instskip(NEXT) | instid1(VALU_DEP_2)
	v_cmp_eq_u32_e32 vcc_lo, 0, v29
	s_and_b32 s16, s13, vcc_lo
	s_delay_alu instid0(SALU_CYCLE_1)
	s_and_saveexec_b32 s13, s16
	s_cbranch_execz .LBB228_6
; %bb.5:                                ;   in Loop: Header=BB228_4 Depth=2
	v_bcnt_u32_b32 v0, v0, 0
	ds_store_b32 v30, v0
.LBB228_6:                              ;   in Loop: Header=BB228_4 Depth=2
	s_or_b32 exec_lo, exec_lo, s13
	v_bfe_u32 v0, v28, s14, 1
	v_lshrrev_b32_e32 v1, s14, v28
	; wave barrier
	s_delay_alu instid0(VALU_DEP_2) | instskip(NEXT) | instid1(VALU_DEP_1)
	v_add_co_u32 v0, s13, v0, -1
	v_cndmask_b32_e64 v2, 0, 1, s13
	s_delay_alu instid0(VALU_DEP_3)
	v_lshlrev_b32_e32 v3, 30, v1
	v_lshlrev_b32_e32 v4, 29, v1
	;; [unrolled: 1-line block ×4, first 2 shown]
	v_cmp_ne_u32_e32 vcc_lo, 0, v2
	v_not_b32_e32 v2, v3
	v_cmp_gt_i32_e64 s13, 0, v3
	v_not_b32_e32 v3, v4
	v_lshlrev_b32_e32 v7, 26, v1
	v_xor_b32_e32 v0, vcc_lo, v0
	v_ashrrev_i32_e32 v2, 31, v2
	v_cmp_gt_i32_e32 vcc_lo, 0, v4
	v_not_b32_e32 v4, v5
	v_ashrrev_i32_e32 v3, 31, v3
	v_and_b32_e32 v0, exec_lo, v0
	v_xor_b32_e32 v2, s13, v2
	v_cmp_gt_i32_e64 s13, 0, v5
	v_not_b32_e32 v5, v6
	v_ashrrev_i32_e32 v4, 31, v4
	v_xor_b32_e32 v3, vcc_lo, v3
	v_and_b32_e32 v0, v0, v2
	v_cmp_gt_i32_e32 vcc_lo, 0, v6
	v_not_b32_e32 v2, v7
	v_ashrrev_i32_e32 v5, 31, v5
	v_xor_b32_e32 v4, s13, v4
	v_and_b32_e32 v0, v0, v3
	v_lshlrev_b32_e32 v3, 25, v1
	v_cmp_gt_i32_e64 s13, 0, v7
	v_ashrrev_i32_e32 v2, 31, v2
	v_xor_b32_e32 v5, vcc_lo, v5
	v_and_b32_e32 v0, v0, v4
	v_not_b32_e32 v6, v3
	v_lshlrev_b32_e32 v1, 24, v1
	v_bfe_u32 v4, v28, s14, 8
	v_xor_b32_e32 v2, s13, v2
	v_and_b32_e32 v0, v0, v5
	v_cmp_gt_i32_e32 vcc_lo, 0, v3
	v_ashrrev_i32_e32 v3, 31, v6
	v_not_b32_e32 v5, v1
	v_mul_u32_u24_e32 v4, 10, v4
	v_and_b32_e32 v0, v0, v2
	s_delay_alu instid0(VALU_DEP_4) | instskip(SKIP_3) | instid1(VALU_DEP_4)
	v_xor_b32_e32 v2, vcc_lo, v3
	v_cmp_gt_i32_e32 vcc_lo, 0, v1
	v_ashrrev_i32_e32 v1, 31, v5
	v_add_lshl_u32 v3, v4, v19, 2
	v_and_b32_e32 v0, v0, v2
	s_delay_alu instid0(VALU_DEP_3) | instskip(SKIP_3) | instid1(VALU_DEP_1)
	v_xor_b32_e32 v1, vcc_lo, v1
	ds_load_b32 v31, v3 offset:40
	v_add_nc_u32_e32 v33, 40, v3
	; wave barrier
	v_and_b32_e32 v0, v0, v1
	v_mbcnt_lo_u32_b32 v32, v0, 0
	v_cmp_ne_u32_e64 s13, 0, v0
	s_delay_alu instid0(VALU_DEP_2) | instskip(NEXT) | instid1(VALU_DEP_2)
	v_cmp_eq_u32_e32 vcc_lo, 0, v32
	s_and_b32 s16, s13, vcc_lo
	s_delay_alu instid0(SALU_CYCLE_1)
	s_and_saveexec_b32 s13, s16
	s_cbranch_execz .LBB228_8
; %bb.7:                                ;   in Loop: Header=BB228_4 Depth=2
	s_waitcnt lgkmcnt(0)
	v_bcnt_u32_b32 v0, v0, v31
	ds_store_b32 v33, v0
.LBB228_8:                              ;   in Loop: Header=BB228_4 Depth=2
	s_or_b32 exec_lo, exec_lo, s13
	v_bfe_u32 v0, v27, s14, 1
	v_lshrrev_b32_e32 v1, s14, v27
	; wave barrier
	s_delay_alu instid0(VALU_DEP_2) | instskip(NEXT) | instid1(VALU_DEP_1)
	v_add_co_u32 v0, s13, v0, -1
	v_cndmask_b32_e64 v2, 0, 1, s13
	s_delay_alu instid0(VALU_DEP_3)
	v_lshlrev_b32_e32 v3, 30, v1
	v_lshlrev_b32_e32 v4, 29, v1
	;; [unrolled: 1-line block ×4, first 2 shown]
	v_cmp_ne_u32_e32 vcc_lo, 0, v2
	v_not_b32_e32 v2, v3
	v_cmp_gt_i32_e64 s13, 0, v3
	v_not_b32_e32 v3, v4
	v_lshlrev_b32_e32 v7, 26, v1
	v_xor_b32_e32 v0, vcc_lo, v0
	v_ashrrev_i32_e32 v2, 31, v2
	v_cmp_gt_i32_e32 vcc_lo, 0, v4
	v_not_b32_e32 v4, v5
	v_ashrrev_i32_e32 v3, 31, v3
	v_and_b32_e32 v0, exec_lo, v0
	v_xor_b32_e32 v2, s13, v2
	v_cmp_gt_i32_e64 s13, 0, v5
	v_not_b32_e32 v5, v6
	v_ashrrev_i32_e32 v4, 31, v4
	v_xor_b32_e32 v3, vcc_lo, v3
	v_and_b32_e32 v0, v0, v2
	v_cmp_gt_i32_e32 vcc_lo, 0, v6
	v_not_b32_e32 v2, v7
	v_ashrrev_i32_e32 v5, 31, v5
	v_xor_b32_e32 v4, s13, v4
	v_and_b32_e32 v0, v0, v3
	v_lshlrev_b32_e32 v3, 25, v1
	v_cmp_gt_i32_e64 s13, 0, v7
	v_ashrrev_i32_e32 v2, 31, v2
	v_xor_b32_e32 v5, vcc_lo, v5
	v_and_b32_e32 v0, v0, v4
	v_not_b32_e32 v6, v3
	v_lshlrev_b32_e32 v1, 24, v1
	v_bfe_u32 v4, v27, s14, 8
	v_xor_b32_e32 v2, s13, v2
	v_and_b32_e32 v0, v0, v5
	v_cmp_gt_i32_e32 vcc_lo, 0, v3
	v_ashrrev_i32_e32 v3, 31, v6
	v_not_b32_e32 v5, v1
	v_mul_u32_u24_e32 v4, 10, v4
	v_and_b32_e32 v0, v0, v2
	s_delay_alu instid0(VALU_DEP_4) | instskip(SKIP_3) | instid1(VALU_DEP_4)
	v_xor_b32_e32 v2, vcc_lo, v3
	v_cmp_gt_i32_e32 vcc_lo, 0, v1
	v_ashrrev_i32_e32 v1, 31, v5
	v_add_lshl_u32 v3, v4, v19, 2
	v_and_b32_e32 v0, v0, v2
	s_delay_alu instid0(VALU_DEP_3) | instskip(SKIP_3) | instid1(VALU_DEP_1)
	v_xor_b32_e32 v1, vcc_lo, v1
	ds_load_b32 v34, v3 offset:40
	v_add_nc_u32_e32 v36, 40, v3
	; wave barrier
	v_and_b32_e32 v0, v0, v1
	v_mbcnt_lo_u32_b32 v35, v0, 0
	v_cmp_ne_u32_e64 s13, 0, v0
	s_delay_alu instid0(VALU_DEP_2) | instskip(NEXT) | instid1(VALU_DEP_2)
	v_cmp_eq_u32_e32 vcc_lo, 0, v35
	s_and_b32 s16, s13, vcc_lo
	s_delay_alu instid0(SALU_CYCLE_1)
	s_and_saveexec_b32 s13, s16
	s_cbranch_execz .LBB228_10
; %bb.9:                                ;   in Loop: Header=BB228_4 Depth=2
	s_waitcnt lgkmcnt(0)
	v_bcnt_u32_b32 v0, v0, v34
	ds_store_b32 v36, v0
.LBB228_10:                             ;   in Loop: Header=BB228_4 Depth=2
	s_or_b32 exec_lo, exec_lo, s13
	v_bfe_u32 v0, v26, s14, 1
	v_lshrrev_b32_e32 v1, s14, v26
	; wave barrier
	s_delay_alu instid0(VALU_DEP_2) | instskip(NEXT) | instid1(VALU_DEP_1)
	v_add_co_u32 v0, s13, v0, -1
	v_cndmask_b32_e64 v2, 0, 1, s13
	s_delay_alu instid0(VALU_DEP_3)
	v_lshlrev_b32_e32 v3, 30, v1
	v_lshlrev_b32_e32 v4, 29, v1
	;; [unrolled: 1-line block ×4, first 2 shown]
	v_cmp_ne_u32_e32 vcc_lo, 0, v2
	v_not_b32_e32 v2, v3
	v_cmp_gt_i32_e64 s13, 0, v3
	v_not_b32_e32 v3, v4
	v_lshlrev_b32_e32 v7, 26, v1
	v_xor_b32_e32 v0, vcc_lo, v0
	v_ashrrev_i32_e32 v2, 31, v2
	v_cmp_gt_i32_e32 vcc_lo, 0, v4
	v_not_b32_e32 v4, v5
	v_ashrrev_i32_e32 v3, 31, v3
	v_and_b32_e32 v0, exec_lo, v0
	v_xor_b32_e32 v2, s13, v2
	v_cmp_gt_i32_e64 s13, 0, v5
	v_not_b32_e32 v5, v6
	v_ashrrev_i32_e32 v4, 31, v4
	v_xor_b32_e32 v3, vcc_lo, v3
	v_and_b32_e32 v0, v0, v2
	v_cmp_gt_i32_e32 vcc_lo, 0, v6
	v_not_b32_e32 v2, v7
	v_ashrrev_i32_e32 v5, 31, v5
	v_xor_b32_e32 v4, s13, v4
	v_and_b32_e32 v0, v0, v3
	v_lshlrev_b32_e32 v3, 25, v1
	v_cmp_gt_i32_e64 s13, 0, v7
	v_ashrrev_i32_e32 v2, 31, v2
	v_xor_b32_e32 v5, vcc_lo, v5
	v_and_b32_e32 v0, v0, v4
	v_not_b32_e32 v6, v3
	v_lshlrev_b32_e32 v1, 24, v1
	v_bfe_u32 v4, v26, s14, 8
	v_xor_b32_e32 v2, s13, v2
	v_and_b32_e32 v0, v0, v5
	v_cmp_gt_i32_e32 vcc_lo, 0, v3
	v_ashrrev_i32_e32 v3, 31, v6
	v_not_b32_e32 v5, v1
	v_mul_u32_u24_e32 v4, 10, v4
	v_and_b32_e32 v0, v0, v2
	s_delay_alu instid0(VALU_DEP_4) | instskip(SKIP_3) | instid1(VALU_DEP_4)
	v_xor_b32_e32 v2, vcc_lo, v3
	v_cmp_gt_i32_e32 vcc_lo, 0, v1
	v_ashrrev_i32_e32 v1, 31, v5
	v_add_lshl_u32 v3, v4, v19, 2
	v_and_b32_e32 v0, v0, v2
	s_delay_alu instid0(VALU_DEP_3) | instskip(SKIP_3) | instid1(VALU_DEP_1)
	v_xor_b32_e32 v1, vcc_lo, v1
	ds_load_b32 v37, v3 offset:40
	v_add_nc_u32_e32 v39, 40, v3
	; wave barrier
	v_and_b32_e32 v0, v0, v1
	v_mbcnt_lo_u32_b32 v38, v0, 0
	v_cmp_ne_u32_e64 s13, 0, v0
	s_delay_alu instid0(VALU_DEP_2) | instskip(NEXT) | instid1(VALU_DEP_2)
	v_cmp_eq_u32_e32 vcc_lo, 0, v38
	s_and_b32 s16, s13, vcc_lo
	s_delay_alu instid0(SALU_CYCLE_1)
	s_and_saveexec_b32 s13, s16
	s_cbranch_execz .LBB228_12
; %bb.11:                               ;   in Loop: Header=BB228_4 Depth=2
	s_waitcnt lgkmcnt(0)
	v_bcnt_u32_b32 v0, v0, v37
	ds_store_b32 v39, v0
.LBB228_12:                             ;   in Loop: Header=BB228_4 Depth=2
	s_or_b32 exec_lo, exec_lo, s13
	; wave barrier
	s_waitcnt lgkmcnt(0)
	s_barrier
	buffer_gl0_inv
	ds_load_2addr_b64 v[4:7], v15 offset0:5 offset1:6
	ds_load_2addr_b64 v[0:3], v18 offset0:2 offset1:3
	s_waitcnt lgkmcnt(1)
	v_add_nc_u32_e32 v40, v5, v4
	s_delay_alu instid0(VALU_DEP_1) | instskip(SKIP_1) | instid1(VALU_DEP_1)
	v_add3_u32 v40, v40, v6, v7
	s_waitcnt lgkmcnt(0)
	v_add3_u32 v40, v40, v0, v1
	s_delay_alu instid0(VALU_DEP_1) | instskip(NEXT) | instid1(VALU_DEP_1)
	v_add3_u32 v3, v40, v2, v3
	v_mov_b32_dpp v40, v3 row_shr:1 row_mask:0xf bank_mask:0xf
	s_delay_alu instid0(VALU_DEP_1) | instskip(NEXT) | instid1(VALU_DEP_1)
	v_cndmask_b32_e64 v40, v40, 0, s3
	v_add_nc_u32_e32 v3, v40, v3
	s_delay_alu instid0(VALU_DEP_1) | instskip(NEXT) | instid1(VALU_DEP_1)
	v_mov_b32_dpp v40, v3 row_shr:2 row_mask:0xf bank_mask:0xf
	v_cndmask_b32_e64 v40, 0, v40, s4
	s_delay_alu instid0(VALU_DEP_1) | instskip(NEXT) | instid1(VALU_DEP_1)
	v_add_nc_u32_e32 v3, v3, v40
	v_mov_b32_dpp v40, v3 row_shr:4 row_mask:0xf bank_mask:0xf
	s_delay_alu instid0(VALU_DEP_1) | instskip(NEXT) | instid1(VALU_DEP_1)
	v_cndmask_b32_e64 v40, 0, v40, s5
	v_add_nc_u32_e32 v3, v3, v40
	s_delay_alu instid0(VALU_DEP_1) | instskip(NEXT) | instid1(VALU_DEP_1)
	v_mov_b32_dpp v40, v3 row_shr:8 row_mask:0xf bank_mask:0xf
	v_cndmask_b32_e64 v40, 0, v40, s6
	s_delay_alu instid0(VALU_DEP_1) | instskip(SKIP_3) | instid1(VALU_DEP_1)
	v_add_nc_u32_e32 v3, v3, v40
	ds_swizzle_b32 v40, v3 offset:swizzle(BROADCAST,32,15)
	s_waitcnt lgkmcnt(0)
	v_cndmask_b32_e64 v40, v40, 0, s7
	v_add_nc_u32_e32 v3, v3, v40
	s_and_saveexec_b32 s13, s8
	s_cbranch_execz .LBB228_14
; %bb.13:                               ;   in Loop: Header=BB228_4 Depth=2
	ds_store_b32 v21, v3
.LBB228_14:                             ;   in Loop: Header=BB228_4 Depth=2
	s_or_b32 exec_lo, exec_lo, s13
	s_waitcnt lgkmcnt(0)
	s_barrier
	buffer_gl0_inv
	s_and_saveexec_b32 s13, s9
	s_cbranch_execz .LBB228_16
; %bb.15:                               ;   in Loop: Header=BB228_4 Depth=2
	v_add_nc_u32_e32 v40, v15, v22
	ds_load_b32 v41, v40
	s_waitcnt lgkmcnt(0)
	v_mov_b32_dpp v42, v41 row_shr:1 row_mask:0xf bank_mask:0xf
	s_delay_alu instid0(VALU_DEP_1) | instskip(NEXT) | instid1(VALU_DEP_1)
	v_cndmask_b32_e64 v42, v42, 0, s3
	v_add_nc_u32_e32 v41, v42, v41
	s_delay_alu instid0(VALU_DEP_1) | instskip(NEXT) | instid1(VALU_DEP_1)
	v_mov_b32_dpp v42, v41 row_shr:2 row_mask:0xf bank_mask:0xf
	v_cndmask_b32_e64 v42, 0, v42, s4
	s_delay_alu instid0(VALU_DEP_1) | instskip(NEXT) | instid1(VALU_DEP_1)
	v_add_nc_u32_e32 v41, v41, v42
	v_mov_b32_dpp v42, v41 row_shr:4 row_mask:0xf bank_mask:0xf
	s_delay_alu instid0(VALU_DEP_1) | instskip(NEXT) | instid1(VALU_DEP_1)
	v_cndmask_b32_e64 v42, 0, v42, s5
	v_add_nc_u32_e32 v41, v41, v42
	s_delay_alu instid0(VALU_DEP_1) | instskip(NEXT) | instid1(VALU_DEP_1)
	v_mov_b32_dpp v42, v41 row_shr:8 row_mask:0xf bank_mask:0xf
	v_cndmask_b32_e64 v42, 0, v42, s6
	s_delay_alu instid0(VALU_DEP_1)
	v_add_nc_u32_e32 v41, v41, v42
	ds_store_b32 v40, v41
.LBB228_16:                             ;   in Loop: Header=BB228_4 Depth=2
	s_or_b32 exec_lo, exec_lo, s13
	v_mov_b32_e32 v40, 0
	s_waitcnt lgkmcnt(0)
	s_barrier
	buffer_gl0_inv
	s_and_saveexec_b32 s13, s10
	s_cbranch_execz .LBB228_18
; %bb.17:                               ;   in Loop: Header=BB228_4 Depth=2
	ds_load_b32 v40, v23
.LBB228_18:                             ;   in Loop: Header=BB228_4 Depth=2
	s_or_b32 exec_lo, exec_lo, s13
	s_waitcnt lgkmcnt(0)
	v_add_nc_u32_e32 v3, v40, v3
	s_cmp_gt_u32 s14, 23
	ds_bpermute_b32 v3, v20, v3
	s_waitcnt lgkmcnt(0)
	v_cndmask_b32_e64 v3, v3, v40, s11
	s_delay_alu instid0(VALU_DEP_1) | instskip(NEXT) | instid1(VALU_DEP_1)
	v_cndmask_b32_e64 v3, v3, 0, s12
	v_add_nc_u32_e32 v4, v3, v4
	s_delay_alu instid0(VALU_DEP_1) | instskip(NEXT) | instid1(VALU_DEP_1)
	v_add_nc_u32_e32 v5, v4, v5
	v_add_nc_u32_e32 v6, v5, v6
	s_delay_alu instid0(VALU_DEP_1) | instskip(NEXT) | instid1(VALU_DEP_1)
	v_add_nc_u32_e32 v40, v6, v7
	;; [unrolled: 3-line block ×3, first 2 shown]
	v_add_nc_u32_e32 v1, v0, v2
	ds_store_2addr_b64 v15, v[3:4], v[5:6] offset0:5 offset1:6
	ds_store_2addr_b64 v18, v[40:41], v[0:1] offset0:2 offset1:3
	s_waitcnt lgkmcnt(0)
	s_barrier
	buffer_gl0_inv
	ds_load_b32 v0, v30
	ds_load_b32 v1, v33
	;; [unrolled: 1-line block ×4, first 2 shown]
	s_waitcnt lgkmcnt(3)
	v_add_nc_u32_e32 v7, v0, v29
	s_waitcnt lgkmcnt(2)
	v_add3_u32 v6, v32, v31, v1
	s_waitcnt lgkmcnt(1)
	v_add3_u32 v5, v35, v34, v2
	;; [unrolled: 2-line block ×3, first 2 shown]
	s_cbranch_scc0 .LBB228_3
; %bb.19:                               ;   in Loop: Header=BB228_2 Depth=1
                                        ; implicit-def: $vgpr3
                                        ; implicit-def: $vgpr1
                                        ; implicit-def: $sgpr14
	s_branch .LBB228_1
.LBB228_20:
	s_add_u32 s0, s18, s20
	s_addc_u32 s1, s19, s21
	s_clause 0x3
	global_store_b32 v12, v1, s[0:1]
	global_store_b32 v12, v2, s[0:1] offset:1280
	global_store_b32 v12, v3, s[0:1] offset:2560
	;; [unrolled: 1-line block ×3, first 2 shown]
	s_nop 0
	s_sendmsg sendmsg(MSG_DEALLOC_VGPRS)
	s_endpgm
	.section	.rodata,"a",@progbits
	.p2align	6, 0x0
	.amdhsa_kernel _Z16sort_keys_kernelI22helper_blocked_stripediLj320ELj4ELj10EEvPKT0_PS1_
		.amdhsa_group_segment_fixed_size 10288
		.amdhsa_private_segment_fixed_size 0
		.amdhsa_kernarg_size 272
		.amdhsa_user_sgpr_count 15
		.amdhsa_user_sgpr_dispatch_ptr 0
		.amdhsa_user_sgpr_queue_ptr 0
		.amdhsa_user_sgpr_kernarg_segment_ptr 1
		.amdhsa_user_sgpr_dispatch_id 0
		.amdhsa_user_sgpr_private_segment_size 0
		.amdhsa_wavefront_size32 1
		.amdhsa_uses_dynamic_stack 0
		.amdhsa_enable_private_segment 0
		.amdhsa_system_sgpr_workgroup_id_x 1
		.amdhsa_system_sgpr_workgroup_id_y 0
		.amdhsa_system_sgpr_workgroup_id_z 0
		.amdhsa_system_sgpr_workgroup_info 0
		.amdhsa_system_vgpr_workitem_id 2
		.amdhsa_next_free_vgpr 43
		.amdhsa_next_free_sgpr 22
		.amdhsa_reserve_vcc 1
		.amdhsa_float_round_mode_32 0
		.amdhsa_float_round_mode_16_64 0
		.amdhsa_float_denorm_mode_32 3
		.amdhsa_float_denorm_mode_16_64 3
		.amdhsa_dx10_clamp 1
		.amdhsa_ieee_mode 1
		.amdhsa_fp16_overflow 0
		.amdhsa_workgroup_processor_mode 1
		.amdhsa_memory_ordered 1
		.amdhsa_forward_progress 0
		.amdhsa_shared_vgpr_count 0
		.amdhsa_exception_fp_ieee_invalid_op 0
		.amdhsa_exception_fp_denorm_src 0
		.amdhsa_exception_fp_ieee_div_zero 0
		.amdhsa_exception_fp_ieee_overflow 0
		.amdhsa_exception_fp_ieee_underflow 0
		.amdhsa_exception_fp_ieee_inexact 0
		.amdhsa_exception_int_div_zero 0
	.end_amdhsa_kernel
	.section	.text._Z16sort_keys_kernelI22helper_blocked_stripediLj320ELj4ELj10EEvPKT0_PS1_,"axG",@progbits,_Z16sort_keys_kernelI22helper_blocked_stripediLj320ELj4ELj10EEvPKT0_PS1_,comdat
.Lfunc_end228:
	.size	_Z16sort_keys_kernelI22helper_blocked_stripediLj320ELj4ELj10EEvPKT0_PS1_, .Lfunc_end228-_Z16sort_keys_kernelI22helper_blocked_stripediLj320ELj4ELj10EEvPKT0_PS1_
                                        ; -- End function
	.section	.AMDGPU.csdata,"",@progbits
; Kernel info:
; codeLenInByte = 2980
; NumSgprs: 24
; NumVgprs: 43
; ScratchSize: 0
; MemoryBound: 0
; FloatMode: 240
; IeeeMode: 1
; LDSByteSize: 10288 bytes/workgroup (compile time only)
; SGPRBlocks: 2
; VGPRBlocks: 5
; NumSGPRsForWavesPerEU: 24
; NumVGPRsForWavesPerEU: 43
; Occupancy: 15
; WaveLimiterHint : 1
; COMPUTE_PGM_RSRC2:SCRATCH_EN: 0
; COMPUTE_PGM_RSRC2:USER_SGPR: 15
; COMPUTE_PGM_RSRC2:TRAP_HANDLER: 0
; COMPUTE_PGM_RSRC2:TGID_X_EN: 1
; COMPUTE_PGM_RSRC2:TGID_Y_EN: 0
; COMPUTE_PGM_RSRC2:TGID_Z_EN: 0
; COMPUTE_PGM_RSRC2:TIDIG_COMP_CNT: 2
	.section	.text._Z17sort_pairs_kernelI22helper_blocked_stripediLj320ELj4ELj10EEvPKT0_PS1_,"axG",@progbits,_Z17sort_pairs_kernelI22helper_blocked_stripediLj320ELj4ELj10EEvPKT0_PS1_,comdat
	.protected	_Z17sort_pairs_kernelI22helper_blocked_stripediLj320ELj4ELj10EEvPKT0_PS1_ ; -- Begin function _Z17sort_pairs_kernelI22helper_blocked_stripediLj320ELj4ELj10EEvPKT0_PS1_
	.globl	_Z17sort_pairs_kernelI22helper_blocked_stripediLj320ELj4ELj10EEvPKT0_PS1_
	.p2align	8
	.type	_Z17sort_pairs_kernelI22helper_blocked_stripediLj320ELj4ELj10EEvPKT0_PS1_,@function
_Z17sort_pairs_kernelI22helper_blocked_stripediLj320ELj4ELj10EEvPKT0_PS1_: ; @_Z17sort_pairs_kernelI22helper_blocked_stripediLj320ELj4ELj10EEvPKT0_PS1_
; %bb.0:
	s_clause 0x1
	s_load_b128 s[16:19], s[0:1], 0x0
	s_load_b32 s12, s[0:1], 0x1c
	s_mov_b32 s21, 0
	s_mul_i32 s20, s15, 0x500
	v_mbcnt_lo_u32_b32 v10, -1, 0
	s_lshl_b64 s[14:15], s[20:21], 2
	s_mov_b32 s20, s21
	s_delay_alu instid0(SALU_CYCLE_1) | instskip(NEXT) | instid1(VALU_DEP_2)
	v_dual_mov_b32 v8, s20 :: v_dual_and_b32 v5, 0x3ff, v0
	v_add_nc_u32_e32 v13, -1, v10
	v_dual_mov_b32 v9, s21 :: v_dual_and_b32 v6, 3, v10
	v_bfe_u32 v7, v0, 10, 10
	v_bfe_u32 v0, v0, 20, 10
	v_and_b32_e32 v11, 15, v10
	v_cmp_gt_i32_e32 vcc_lo, 0, v13
	v_lshlrev_b32_e32 v14, 2, v5
	v_cmp_eq_u32_e64 s2, 2, v6
	v_cmp_eq_u32_e64 s3, 1, v6
	;; [unrolled: 1-line block ×3, first 2 shown]
	s_waitcnt lgkmcnt(0)
	s_add_u32 s0, s16, s14
	s_addc_u32 s1, s17, s15
	s_mov_b32 s16, s21
	s_mov_b32 s17, s21
	v_lshlrev_b32_e32 v1, 4, v5
	s_lshr_b32 s13, s12, 16
	v_cmp_lt_u32_e64 s5, 1, v11
	v_cmp_lt_u32_e64 s6, 3, v11
	;; [unrolled: 1-line block ×3, first 2 shown]
	global_load_b128 v[1:4], v1, s[0:1]
	v_cmp_eq_u32_e64 s1, 3, v6
	v_dual_cndmask_b32 v11, v13, v10 :: v_dual_and_b32 v6, 0x1e0, v5
	v_mad_u32_u24 v0, v0, s13, v7
	v_and_b32_e32 v12, 16, v10
	s_and_b32 s12, s12, 0xffff
	v_and_b32_e32 v15, 28, v10
	v_cmp_eq_u32_e64 s0, 0, v10
	v_min_u32_e32 v13, 0x120, v6
	v_mad_u64_u32 v[6:7], null, v0, s12, v[5:6]
	v_and_or_b32 v0, 0x780, v14, v10
	v_dual_mov_b32 v10, s16 :: v_dual_lshlrev_b32 v23, 2, v11
	v_mov_b32_e32 v11, s17
	v_cmp_eq_u32_e64 s8, 0, v12
	v_lshrrev_b32_e32 v12, 3, v5
	v_lshlrev_b32_e32 v19, 5, v5
	v_or_b32_e32 v7, 31, v13
	v_or_b32_e32 v16, 32, v15
	;; [unrolled: 1-line block ×3, first 2 shown]
	v_and_b32_e32 v21, 60, v12
	v_or_b32_e32 v18, 0x60, v15
	v_cmp_gt_u32_e64 s9, 10, v5
	v_cmp_lt_u32_e64 s10, 31, v5
	v_cmp_eq_u32_e64 s11, 0, v5
	v_mul_i32_i24_e32 v20, 0xffffffe4, v5
	v_add_nc_u32_e32 v22, 40, v19
	v_add_nc_u32_e32 v24, -4, v21
	v_lshlrev_b32_e32 v25, 2, v0
	v_cmp_eq_u32_e64 s12, v7, v5
	v_lshrrev_b32_e32 v26, 5, v6
	s_waitcnt vmcnt(0)
	v_add_nc_u32_e32 v12, 1, v1
	v_add_nc_u32_e32 v13, 1, v2
	;; [unrolled: 1-line block ×4, first 2 shown]
	s_branch .LBB229_2
.LBB229_1:                              ;   in Loop: Header=BB229_2 Depth=1
	v_lshlrev_b32_e32 v0, 2, v37
	v_lshlrev_b32_e32 v5, 2, v35
	;; [unrolled: 1-line block ×3, first 2 shown]
	s_barrier
	buffer_gl0_inv
	v_lshlrev_b32_e32 v7, 2, v33
	ds_store_b32 v0, v12
	ds_store_b32 v5, v32
	ds_store_b32 v6, v31
	v_add_nc_u32_e32 v31, v19, v20
	s_add_i32 s21, s21, 1
	ds_store_b32 v7, v30
	s_waitcnt lgkmcnt(0)
	s_barrier
	buffer_gl0_inv
	ds_load_2addr_stride64_b32 v[1:2], v31 offset1:5
	ds_load_2addr_stride64_b32 v[3:4], v31 offset0:10 offset1:15
	s_waitcnt lgkmcnt(0)
	s_barrier
	buffer_gl0_inv
	ds_store_b32 v0, v29
	ds_store_b32 v5, v28
	ds_store_b32 v6, v27
	ds_store_b32 v7, v13
	s_waitcnt lgkmcnt(0)
	s_barrier
	buffer_gl0_inv
	ds_load_2addr_stride64_b32 v[12:13], v31 offset1:5
	ds_load_2addr_stride64_b32 v[5:6], v31 offset0:10 offset1:15
	s_cmp_eq_u32 s21, 10
	v_xor_b32_e32 v1, 0x80000000, v1
	v_xor_b32_e32 v2, 0x80000000, v2
	;; [unrolled: 1-line block ×4, first 2 shown]
	s_cbranch_scc1 .LBB229_20
.LBB229_2:                              ; =>This Loop Header: Depth=1
                                        ;     Child Loop BB229_4 Depth 2
	v_xor_b32_e32 v0, 0x80000000, v1
	v_xor_b32_e32 v1, 0x80000000, v2
	;; [unrolled: 1-line block ×4, first 2 shown]
	s_waitcnt lgkmcnt(1)
	ds_bpermute_b32 v34, v15, v12
	ds_bpermute_b32 v3, v15, v0
	;; [unrolled: 1-line block ×20, first 2 shown]
	s_waitcnt lgkmcnt(20)
	ds_bpermute_b32 v43, v17, v6
	ds_bpermute_b32 v44, v18, v6
	s_waitcnt lgkmcnt(19)
	v_cndmask_b32_e64 v3, v3, v7, s3
	s_mov_b32 s16, 0
	s_waitcnt lgkmcnt(17)
	v_cndmask_b32_e64 v7, v27, v28, s3
	ds_bpermute_b32 v28, v18, v0
	s_waitcnt lgkmcnt(16)
	v_cndmask_b32_e64 v27, v29, v30, s3
	ds_bpermute_b32 v29, v18, v1
	s_waitcnt lgkmcnt(15)
	v_cndmask_b32_e64 v0, v3, v31, s2
	v_cndmask_b32_e64 v1, v7, v32, s2
	ds_bpermute_b32 v7, v18, v13
	s_waitcnt lgkmcnt(15)
	v_cndmask_b32_e64 v3, v27, v33, s2
	ds_bpermute_b32 v13, v18, v2
	ds_bpermute_b32 v27, v15, v5
	;; [unrolled: 1-line block ×7, first 2 shown]
	s_waitcnt lgkmcnt(15)
	v_cndmask_b32_e64 v2, v3, v42, s1
	v_cndmask_b32_e64 v6, v34, v35, s3
	s_waitcnt lgkmcnt(14)
	v_cndmask_b32_e64 v0, v0, v40, s1
	s_waitcnt lgkmcnt(13)
	;; [unrolled: 2-line block ×3, first 2 shown]
	s_barrier
	v_cndmask_b32_e64 v3, v28, v29, s3
	v_cndmask_b32_e64 v28, v36, v37, s3
	;; [unrolled: 1-line block ×4, first 2 shown]
	s_delay_alu instid0(VALU_DEP_4)
	v_cndmask_b32_e64 v3, v3, v13, s2
	v_cndmask_b32_e64 v6, v6, v27, s2
	;; [unrolled: 1-line block ×10, first 2 shown]
	s_branch .LBB229_4
.LBB229_3:                              ;   in Loop: Header=BB229_4 Depth=2
	v_lshlrev_b32_e32 v4, 2, v37
	v_lshlrev_b32_e32 v5, 2, v35
	;; [unrolled: 1-line block ×4, first 2 shown]
	s_barrier
	buffer_gl0_inv
	ds_store_b32 v4, v12
	ds_store_b32 v5, v32
	ds_store_b32 v6, v31
	ds_store_b32 v7, v30
	s_waitcnt lgkmcnt(0)
	s_barrier
	buffer_gl0_inv
	ds_load_2addr_b32 v[0:1], v25 offset1:32
	ds_load_2addr_b32 v[2:3], v25 offset0:64 offset1:96
	s_waitcnt lgkmcnt(0)
	s_barrier
	buffer_gl0_inv
	ds_store_b32 v4, v29
	ds_store_b32 v5, v28
	;; [unrolled: 1-line block ×4, first 2 shown]
	s_waitcnt lgkmcnt(0)
	s_barrier
	buffer_gl0_inv
	ds_load_2addr_b32 v[4:5], v25 offset1:32
	ds_load_2addr_b32 v[6:7], v25 offset0:64 offset1:96
	s_add_i32 s16, s16, 8
	s_waitcnt lgkmcnt(0)
	s_barrier
	s_cbranch_execz .LBB229_1
.LBB229_4:                              ;   Parent Loop BB229_2 Depth=1
                                        ; =>  This Inner Loop Header: Depth=2
	v_mov_b32_e32 v12, v0
	buffer_gl0_inv
	ds_store_2addr_b64 v19, v[8:9], v[10:11] offset0:5 offset1:6
	ds_store_2addr_b64 v22, v[8:9], v[10:11] offset0:2 offset1:3
	s_waitcnt lgkmcnt(0)
	s_barrier
	v_lshrrev_b32_e32 v13, s16, v12
	buffer_gl0_inv
	; wave barrier
	v_lshlrev_b32_e32 v29, 29, v13
	v_bfe_u32 v0, v12, s16, 1
	v_lshlrev_b32_e32 v28, 30, v13
	v_lshlrev_b32_e32 v30, 28, v13
	;; [unrolled: 1-line block ×4, first 2 shown]
	v_add_co_u32 v0, s13, v0, -1
	s_delay_alu instid0(VALU_DEP_1) | instskip(SKIP_3) | instid1(VALU_DEP_4)
	v_cndmask_b32_e64 v27, 0, 1, s13
	v_cmp_gt_i32_e64 s13, 0, v28
	v_lshlrev_b32_e32 v33, 25, v13
	v_lshlrev_b32_e32 v13, 24, v13
	v_cmp_ne_u32_e32 vcc_lo, 0, v27
	v_not_b32_e32 v27, v28
	v_not_b32_e32 v28, v29
	v_xor_b32_e32 v0, vcc_lo, v0
	s_delay_alu instid0(VALU_DEP_3)
	v_ashrrev_i32_e32 v27, 31, v27
	v_cmp_gt_i32_e32 vcc_lo, 0, v29
	v_not_b32_e32 v29, v30
	v_ashrrev_i32_e32 v28, 31, v28
	v_and_b32_e32 v0, exec_lo, v0
	v_xor_b32_e32 v27, s13, v27
	v_cmp_gt_i32_e64 s13, 0, v30
	v_not_b32_e32 v30, v31
	v_ashrrev_i32_e32 v29, 31, v29
	v_xor_b32_e32 v28, vcc_lo, v28
	v_and_b32_e32 v0, v0, v27
	v_cmp_gt_i32_e32 vcc_lo, 0, v31
	v_not_b32_e32 v27, v32
	v_ashrrev_i32_e32 v30, 31, v30
	v_xor_b32_e32 v29, s13, v29
	v_and_b32_e32 v0, v0, v28
	v_cmp_gt_i32_e64 s13, 0, v32
	v_ashrrev_i32_e32 v27, 31, v27
	v_xor_b32_e32 v30, vcc_lo, v30
	v_mov_b32_e32 v32, v1
	v_not_b32_e32 v28, v33
	v_and_b32_e32 v0, v0, v29
	v_cmp_gt_i32_e32 vcc_lo, 0, v33
	v_xor_b32_e32 v27, s13, v27
	v_bfe_u32 v1, v12, s16, 8
	v_ashrrev_i32_e32 v28, 31, v28
	v_and_b32_e32 v0, v0, v30
	v_dual_mov_b32 v30, v3 :: v_dual_mov_b32 v31, v2
	s_delay_alu instid0(VALU_DEP_4) | instskip(NEXT) | instid1(VALU_DEP_4)
	v_mad_u32_u24 v1, v1, 10, v26
	v_xor_b32_e32 v28, vcc_lo, v28
	s_delay_alu instid0(VALU_DEP_4) | instskip(NEXT) | instid1(VALU_DEP_3)
	v_dual_mov_b32 v27, v6 :: v_dual_and_b32 v0, v0, v27
	v_lshl_add_u32 v34, v1, 2, 40
	s_delay_alu instid0(VALU_DEP_2) | instskip(SKIP_3) | instid1(VALU_DEP_2)
	v_and_b32_e32 v0, v0, v28
	v_mov_b32_e32 v28, v5
	v_not_b32_e32 v29, v13
	v_cmp_gt_i32_e64 s13, 0, v13
	v_ashrrev_i32_e32 v13, 31, v29
	v_mov_b32_e32 v29, v4
	s_delay_alu instid0(VALU_DEP_2) | instskip(NEXT) | instid1(VALU_DEP_1)
	v_xor_b32_e32 v3, s13, v13
	v_dual_mov_b32 v13, v7 :: v_dual_and_b32 v0, v0, v3
	s_delay_alu instid0(VALU_DEP_1) | instskip(SKIP_1) | instid1(VALU_DEP_2)
	v_mbcnt_lo_u32_b32 v33, v0, 0
	v_cmp_ne_u32_e64 s13, 0, v0
	v_cmp_eq_u32_e32 vcc_lo, 0, v33
	s_delay_alu instid0(VALU_DEP_2) | instskip(NEXT) | instid1(SALU_CYCLE_1)
	s_and_b32 s17, s13, vcc_lo
	s_and_saveexec_b32 s13, s17
	s_cbranch_execz .LBB229_6
; %bb.5:                                ;   in Loop: Header=BB229_4 Depth=2
	v_bcnt_u32_b32 v0, v0, 0
	ds_store_b32 v34, v0
.LBB229_6:                              ;   in Loop: Header=BB229_4 Depth=2
	s_or_b32 exec_lo, exec_lo, s13
	v_bfe_u32 v0, v32, s16, 1
	v_lshrrev_b32_e32 v1, s16, v32
	; wave barrier
	s_delay_alu instid0(VALU_DEP_2) | instskip(NEXT) | instid1(VALU_DEP_1)
	v_add_co_u32 v0, s13, v0, -1
	v_cndmask_b32_e64 v2, 0, 1, s13
	s_delay_alu instid0(VALU_DEP_3)
	v_lshlrev_b32_e32 v3, 30, v1
	v_lshlrev_b32_e32 v4, 29, v1
	;; [unrolled: 1-line block ×4, first 2 shown]
	v_cmp_ne_u32_e32 vcc_lo, 0, v2
	v_not_b32_e32 v2, v3
	v_cmp_gt_i32_e64 s13, 0, v3
	v_not_b32_e32 v3, v4
	v_lshlrev_b32_e32 v7, 26, v1
	v_xor_b32_e32 v0, vcc_lo, v0
	v_ashrrev_i32_e32 v2, 31, v2
	v_cmp_gt_i32_e32 vcc_lo, 0, v4
	v_not_b32_e32 v4, v5
	v_ashrrev_i32_e32 v3, 31, v3
	v_and_b32_e32 v0, exec_lo, v0
	v_xor_b32_e32 v2, s13, v2
	v_cmp_gt_i32_e64 s13, 0, v5
	v_not_b32_e32 v5, v6
	v_ashrrev_i32_e32 v4, 31, v4
	v_xor_b32_e32 v3, vcc_lo, v3
	v_and_b32_e32 v0, v0, v2
	v_cmp_gt_i32_e32 vcc_lo, 0, v6
	v_not_b32_e32 v2, v7
	v_ashrrev_i32_e32 v5, 31, v5
	v_xor_b32_e32 v4, s13, v4
	v_and_b32_e32 v0, v0, v3
	v_lshlrev_b32_e32 v3, 25, v1
	v_cmp_gt_i32_e64 s13, 0, v7
	v_ashrrev_i32_e32 v2, 31, v2
	v_xor_b32_e32 v5, vcc_lo, v5
	v_and_b32_e32 v0, v0, v4
	v_not_b32_e32 v6, v3
	v_lshlrev_b32_e32 v1, 24, v1
	v_bfe_u32 v4, v32, s16, 8
	v_xor_b32_e32 v2, s13, v2
	v_and_b32_e32 v0, v0, v5
	v_cmp_gt_i32_e32 vcc_lo, 0, v3
	v_ashrrev_i32_e32 v3, 31, v6
	v_not_b32_e32 v5, v1
	v_mul_u32_u24_e32 v4, 10, v4
	v_and_b32_e32 v0, v0, v2
	s_delay_alu instid0(VALU_DEP_4) | instskip(SKIP_3) | instid1(VALU_DEP_4)
	v_xor_b32_e32 v2, vcc_lo, v3
	v_cmp_gt_i32_e32 vcc_lo, 0, v1
	v_ashrrev_i32_e32 v1, 31, v5
	v_add_lshl_u32 v3, v4, v26, 2
	v_and_b32_e32 v0, v0, v2
	s_delay_alu instid0(VALU_DEP_3) | instskip(SKIP_3) | instid1(VALU_DEP_1)
	v_xor_b32_e32 v1, vcc_lo, v1
	ds_load_b32 v35, v3 offset:40
	v_add_nc_u32_e32 v37, 40, v3
	; wave barrier
	v_and_b32_e32 v0, v0, v1
	v_mbcnt_lo_u32_b32 v36, v0, 0
	v_cmp_ne_u32_e64 s13, 0, v0
	s_delay_alu instid0(VALU_DEP_2) | instskip(NEXT) | instid1(VALU_DEP_2)
	v_cmp_eq_u32_e32 vcc_lo, 0, v36
	s_and_b32 s17, s13, vcc_lo
	s_delay_alu instid0(SALU_CYCLE_1)
	s_and_saveexec_b32 s13, s17
	s_cbranch_execz .LBB229_8
; %bb.7:                                ;   in Loop: Header=BB229_4 Depth=2
	s_waitcnt lgkmcnt(0)
	v_bcnt_u32_b32 v0, v0, v35
	ds_store_b32 v37, v0
.LBB229_8:                              ;   in Loop: Header=BB229_4 Depth=2
	s_or_b32 exec_lo, exec_lo, s13
	v_bfe_u32 v0, v31, s16, 1
	v_lshrrev_b32_e32 v1, s16, v31
	; wave barrier
	s_delay_alu instid0(VALU_DEP_2) | instskip(NEXT) | instid1(VALU_DEP_1)
	v_add_co_u32 v0, s13, v0, -1
	v_cndmask_b32_e64 v2, 0, 1, s13
	s_delay_alu instid0(VALU_DEP_3)
	v_lshlrev_b32_e32 v3, 30, v1
	v_lshlrev_b32_e32 v4, 29, v1
	;; [unrolled: 1-line block ×4, first 2 shown]
	v_cmp_ne_u32_e32 vcc_lo, 0, v2
	v_not_b32_e32 v2, v3
	v_cmp_gt_i32_e64 s13, 0, v3
	v_not_b32_e32 v3, v4
	v_lshlrev_b32_e32 v7, 26, v1
	v_xor_b32_e32 v0, vcc_lo, v0
	v_ashrrev_i32_e32 v2, 31, v2
	v_cmp_gt_i32_e32 vcc_lo, 0, v4
	v_not_b32_e32 v4, v5
	v_ashrrev_i32_e32 v3, 31, v3
	v_and_b32_e32 v0, exec_lo, v0
	v_xor_b32_e32 v2, s13, v2
	v_cmp_gt_i32_e64 s13, 0, v5
	v_not_b32_e32 v5, v6
	v_ashrrev_i32_e32 v4, 31, v4
	v_xor_b32_e32 v3, vcc_lo, v3
	v_and_b32_e32 v0, v0, v2
	v_cmp_gt_i32_e32 vcc_lo, 0, v6
	v_not_b32_e32 v2, v7
	v_ashrrev_i32_e32 v5, 31, v5
	v_xor_b32_e32 v4, s13, v4
	v_and_b32_e32 v0, v0, v3
	v_lshlrev_b32_e32 v3, 25, v1
	v_cmp_gt_i32_e64 s13, 0, v7
	v_ashrrev_i32_e32 v2, 31, v2
	v_xor_b32_e32 v5, vcc_lo, v5
	v_and_b32_e32 v0, v0, v4
	v_not_b32_e32 v6, v3
	v_lshlrev_b32_e32 v1, 24, v1
	v_bfe_u32 v4, v31, s16, 8
	v_xor_b32_e32 v2, s13, v2
	v_and_b32_e32 v0, v0, v5
	v_cmp_gt_i32_e32 vcc_lo, 0, v3
	v_ashrrev_i32_e32 v3, 31, v6
	v_not_b32_e32 v5, v1
	v_mul_u32_u24_e32 v4, 10, v4
	v_and_b32_e32 v0, v0, v2
	s_delay_alu instid0(VALU_DEP_4) | instskip(SKIP_3) | instid1(VALU_DEP_4)
	v_xor_b32_e32 v2, vcc_lo, v3
	v_cmp_gt_i32_e32 vcc_lo, 0, v1
	v_ashrrev_i32_e32 v1, 31, v5
	v_add_lshl_u32 v3, v4, v26, 2
	v_and_b32_e32 v0, v0, v2
	s_delay_alu instid0(VALU_DEP_3) | instskip(SKIP_3) | instid1(VALU_DEP_1)
	v_xor_b32_e32 v1, vcc_lo, v1
	ds_load_b32 v38, v3 offset:40
	v_add_nc_u32_e32 v40, 40, v3
	; wave barrier
	v_and_b32_e32 v0, v0, v1
	v_mbcnt_lo_u32_b32 v39, v0, 0
	v_cmp_ne_u32_e64 s13, 0, v0
	s_delay_alu instid0(VALU_DEP_2) | instskip(NEXT) | instid1(VALU_DEP_2)
	v_cmp_eq_u32_e32 vcc_lo, 0, v39
	s_and_b32 s17, s13, vcc_lo
	s_delay_alu instid0(SALU_CYCLE_1)
	s_and_saveexec_b32 s13, s17
	s_cbranch_execz .LBB229_10
; %bb.9:                                ;   in Loop: Header=BB229_4 Depth=2
	s_waitcnt lgkmcnt(0)
	v_bcnt_u32_b32 v0, v0, v38
	ds_store_b32 v40, v0
.LBB229_10:                             ;   in Loop: Header=BB229_4 Depth=2
	s_or_b32 exec_lo, exec_lo, s13
	v_bfe_u32 v0, v30, s16, 1
	v_lshrrev_b32_e32 v1, s16, v30
	; wave barrier
	s_delay_alu instid0(VALU_DEP_2) | instskip(NEXT) | instid1(VALU_DEP_1)
	v_add_co_u32 v0, s13, v0, -1
	v_cndmask_b32_e64 v2, 0, 1, s13
	s_delay_alu instid0(VALU_DEP_3)
	v_lshlrev_b32_e32 v3, 30, v1
	v_lshlrev_b32_e32 v4, 29, v1
	;; [unrolled: 1-line block ×4, first 2 shown]
	v_cmp_ne_u32_e32 vcc_lo, 0, v2
	v_not_b32_e32 v2, v3
	v_cmp_gt_i32_e64 s13, 0, v3
	v_not_b32_e32 v3, v4
	v_lshlrev_b32_e32 v7, 26, v1
	v_xor_b32_e32 v0, vcc_lo, v0
	v_ashrrev_i32_e32 v2, 31, v2
	v_cmp_gt_i32_e32 vcc_lo, 0, v4
	v_not_b32_e32 v4, v5
	v_ashrrev_i32_e32 v3, 31, v3
	v_and_b32_e32 v0, exec_lo, v0
	v_xor_b32_e32 v2, s13, v2
	v_cmp_gt_i32_e64 s13, 0, v5
	v_not_b32_e32 v5, v6
	v_ashrrev_i32_e32 v4, 31, v4
	v_xor_b32_e32 v3, vcc_lo, v3
	v_and_b32_e32 v0, v0, v2
	v_cmp_gt_i32_e32 vcc_lo, 0, v6
	v_not_b32_e32 v2, v7
	v_ashrrev_i32_e32 v5, 31, v5
	v_xor_b32_e32 v4, s13, v4
	v_and_b32_e32 v0, v0, v3
	v_lshlrev_b32_e32 v3, 25, v1
	v_cmp_gt_i32_e64 s13, 0, v7
	v_ashrrev_i32_e32 v2, 31, v2
	v_xor_b32_e32 v5, vcc_lo, v5
	v_and_b32_e32 v0, v0, v4
	v_not_b32_e32 v6, v3
	v_lshlrev_b32_e32 v1, 24, v1
	v_bfe_u32 v4, v30, s16, 8
	v_xor_b32_e32 v2, s13, v2
	v_and_b32_e32 v0, v0, v5
	v_cmp_gt_i32_e32 vcc_lo, 0, v3
	v_ashrrev_i32_e32 v3, 31, v6
	v_not_b32_e32 v5, v1
	v_mul_u32_u24_e32 v4, 10, v4
	v_and_b32_e32 v0, v0, v2
	s_delay_alu instid0(VALU_DEP_4) | instskip(SKIP_3) | instid1(VALU_DEP_4)
	v_xor_b32_e32 v2, vcc_lo, v3
	v_cmp_gt_i32_e32 vcc_lo, 0, v1
	v_ashrrev_i32_e32 v1, 31, v5
	v_add_lshl_u32 v3, v4, v26, 2
	v_and_b32_e32 v0, v0, v2
	s_delay_alu instid0(VALU_DEP_3) | instskip(SKIP_3) | instid1(VALU_DEP_1)
	v_xor_b32_e32 v1, vcc_lo, v1
	ds_load_b32 v41, v3 offset:40
	v_add_nc_u32_e32 v43, 40, v3
	; wave barrier
	v_and_b32_e32 v0, v0, v1
	v_mbcnt_lo_u32_b32 v42, v0, 0
	v_cmp_ne_u32_e64 s13, 0, v0
	s_delay_alu instid0(VALU_DEP_2) | instskip(NEXT) | instid1(VALU_DEP_2)
	v_cmp_eq_u32_e32 vcc_lo, 0, v42
	s_and_b32 s17, s13, vcc_lo
	s_delay_alu instid0(SALU_CYCLE_1)
	s_and_saveexec_b32 s13, s17
	s_cbranch_execz .LBB229_12
; %bb.11:                               ;   in Loop: Header=BB229_4 Depth=2
	s_waitcnt lgkmcnt(0)
	v_bcnt_u32_b32 v0, v0, v41
	ds_store_b32 v43, v0
.LBB229_12:                             ;   in Loop: Header=BB229_4 Depth=2
	s_or_b32 exec_lo, exec_lo, s13
	; wave barrier
	s_waitcnt lgkmcnt(0)
	s_barrier
	buffer_gl0_inv
	ds_load_2addr_b64 v[4:7], v19 offset0:5 offset1:6
	ds_load_2addr_b64 v[0:3], v22 offset0:2 offset1:3
	s_waitcnt lgkmcnt(1)
	v_add_nc_u32_e32 v44, v5, v4
	s_delay_alu instid0(VALU_DEP_1) | instskip(SKIP_1) | instid1(VALU_DEP_1)
	v_add3_u32 v44, v44, v6, v7
	s_waitcnt lgkmcnt(0)
	v_add3_u32 v44, v44, v0, v1
	s_delay_alu instid0(VALU_DEP_1) | instskip(NEXT) | instid1(VALU_DEP_1)
	v_add3_u32 v3, v44, v2, v3
	v_mov_b32_dpp v44, v3 row_shr:1 row_mask:0xf bank_mask:0xf
	s_delay_alu instid0(VALU_DEP_1) | instskip(NEXT) | instid1(VALU_DEP_1)
	v_cndmask_b32_e64 v44, v44, 0, s4
	v_add_nc_u32_e32 v3, v44, v3
	s_delay_alu instid0(VALU_DEP_1) | instskip(NEXT) | instid1(VALU_DEP_1)
	v_mov_b32_dpp v44, v3 row_shr:2 row_mask:0xf bank_mask:0xf
	v_cndmask_b32_e64 v44, 0, v44, s5
	s_delay_alu instid0(VALU_DEP_1) | instskip(NEXT) | instid1(VALU_DEP_1)
	v_add_nc_u32_e32 v3, v3, v44
	v_mov_b32_dpp v44, v3 row_shr:4 row_mask:0xf bank_mask:0xf
	s_delay_alu instid0(VALU_DEP_1) | instskip(NEXT) | instid1(VALU_DEP_1)
	v_cndmask_b32_e64 v44, 0, v44, s6
	v_add_nc_u32_e32 v3, v3, v44
	s_delay_alu instid0(VALU_DEP_1) | instskip(NEXT) | instid1(VALU_DEP_1)
	v_mov_b32_dpp v44, v3 row_shr:8 row_mask:0xf bank_mask:0xf
	v_cndmask_b32_e64 v44, 0, v44, s7
	s_delay_alu instid0(VALU_DEP_1) | instskip(SKIP_3) | instid1(VALU_DEP_1)
	v_add_nc_u32_e32 v3, v3, v44
	ds_swizzle_b32 v44, v3 offset:swizzle(BROADCAST,32,15)
	s_waitcnt lgkmcnt(0)
	v_cndmask_b32_e64 v44, v44, 0, s8
	v_add_nc_u32_e32 v3, v3, v44
	s_and_saveexec_b32 s13, s12
	s_cbranch_execz .LBB229_14
; %bb.13:                               ;   in Loop: Header=BB229_4 Depth=2
	ds_store_b32 v21, v3
.LBB229_14:                             ;   in Loop: Header=BB229_4 Depth=2
	s_or_b32 exec_lo, exec_lo, s13
	s_waitcnt lgkmcnt(0)
	s_barrier
	buffer_gl0_inv
	s_and_saveexec_b32 s13, s9
	s_cbranch_execz .LBB229_16
; %bb.15:                               ;   in Loop: Header=BB229_4 Depth=2
	v_add_nc_u32_e32 v44, v19, v20
	ds_load_b32 v45, v44
	s_waitcnt lgkmcnt(0)
	v_mov_b32_dpp v46, v45 row_shr:1 row_mask:0xf bank_mask:0xf
	s_delay_alu instid0(VALU_DEP_1) | instskip(NEXT) | instid1(VALU_DEP_1)
	v_cndmask_b32_e64 v46, v46, 0, s4
	v_add_nc_u32_e32 v45, v46, v45
	s_delay_alu instid0(VALU_DEP_1) | instskip(NEXT) | instid1(VALU_DEP_1)
	v_mov_b32_dpp v46, v45 row_shr:2 row_mask:0xf bank_mask:0xf
	v_cndmask_b32_e64 v46, 0, v46, s5
	s_delay_alu instid0(VALU_DEP_1) | instskip(NEXT) | instid1(VALU_DEP_1)
	v_add_nc_u32_e32 v45, v45, v46
	v_mov_b32_dpp v46, v45 row_shr:4 row_mask:0xf bank_mask:0xf
	s_delay_alu instid0(VALU_DEP_1) | instskip(NEXT) | instid1(VALU_DEP_1)
	v_cndmask_b32_e64 v46, 0, v46, s6
	v_add_nc_u32_e32 v45, v45, v46
	s_delay_alu instid0(VALU_DEP_1) | instskip(NEXT) | instid1(VALU_DEP_1)
	v_mov_b32_dpp v46, v45 row_shr:8 row_mask:0xf bank_mask:0xf
	v_cndmask_b32_e64 v46, 0, v46, s7
	s_delay_alu instid0(VALU_DEP_1)
	v_add_nc_u32_e32 v45, v45, v46
	ds_store_b32 v44, v45
.LBB229_16:                             ;   in Loop: Header=BB229_4 Depth=2
	s_or_b32 exec_lo, exec_lo, s13
	v_mov_b32_e32 v44, 0
	s_waitcnt lgkmcnt(0)
	s_barrier
	buffer_gl0_inv
	s_and_saveexec_b32 s13, s10
	s_cbranch_execz .LBB229_18
; %bb.17:                               ;   in Loop: Header=BB229_4 Depth=2
	ds_load_b32 v44, v24
.LBB229_18:                             ;   in Loop: Header=BB229_4 Depth=2
	s_or_b32 exec_lo, exec_lo, s13
	s_waitcnt lgkmcnt(0)
	v_add_nc_u32_e32 v3, v44, v3
	s_cmp_gt_u32 s16, 23
	ds_bpermute_b32 v3, v23, v3
	s_waitcnt lgkmcnt(0)
	v_cndmask_b32_e64 v3, v3, v44, s0
	s_delay_alu instid0(VALU_DEP_1) | instskip(NEXT) | instid1(VALU_DEP_1)
	v_cndmask_b32_e64 v3, v3, 0, s11
	v_add_nc_u32_e32 v4, v3, v4
	s_delay_alu instid0(VALU_DEP_1) | instskip(NEXT) | instid1(VALU_DEP_1)
	v_add_nc_u32_e32 v5, v4, v5
	v_add_nc_u32_e32 v6, v5, v6
	s_delay_alu instid0(VALU_DEP_1) | instskip(NEXT) | instid1(VALU_DEP_1)
	v_add_nc_u32_e32 v44, v6, v7
	;; [unrolled: 3-line block ×3, first 2 shown]
	v_add_nc_u32_e32 v1, v0, v2
	ds_store_2addr_b64 v19, v[3:4], v[5:6] offset0:5 offset1:6
	ds_store_2addr_b64 v22, v[44:45], v[0:1] offset0:2 offset1:3
	s_waitcnt lgkmcnt(0)
	s_barrier
	buffer_gl0_inv
	ds_load_b32 v0, v34
	ds_load_b32 v1, v37
	;; [unrolled: 1-line block ×4, first 2 shown]
	s_waitcnt lgkmcnt(3)
	v_add_nc_u32_e32 v37, v0, v33
	s_waitcnt lgkmcnt(2)
	v_add3_u32 v35, v36, v35, v1
	s_waitcnt lgkmcnt(1)
	v_add3_u32 v34, v39, v38, v2
	;; [unrolled: 2-line block ×3, first 2 shown]
	s_cbranch_scc0 .LBB229_3
; %bb.19:                               ;   in Loop: Header=BB229_2 Depth=1
                                        ; implicit-def: $vgpr3
                                        ; implicit-def: $vgpr1
                                        ; implicit-def: $vgpr7
                                        ; implicit-def: $vgpr5
                                        ; implicit-def: $sgpr16
	s_branch .LBB229_1
.LBB229_20:
	s_waitcnt lgkmcnt(1)
	v_add_nc_u32_e32 v0, v1, v12
	v_add_nc_u32_e32 v1, v2, v13
	s_waitcnt lgkmcnt(0)
	v_add_nc_u32_e32 v2, v3, v5
	s_add_u32 s0, s18, s14
	v_add_nc_u32_e32 v3, v4, v6
	s_addc_u32 s1, s19, s15
	s_clause 0x3
	global_store_b32 v14, v0, s[0:1]
	global_store_b32 v14, v1, s[0:1] offset:1280
	global_store_b32 v14, v2, s[0:1] offset:2560
	;; [unrolled: 1-line block ×3, first 2 shown]
	s_nop 0
	s_sendmsg sendmsg(MSG_DEALLOC_VGPRS)
	s_endpgm
	.section	.rodata,"a",@progbits
	.p2align	6, 0x0
	.amdhsa_kernel _Z17sort_pairs_kernelI22helper_blocked_stripediLj320ELj4ELj10EEvPKT0_PS1_
		.amdhsa_group_segment_fixed_size 10288
		.amdhsa_private_segment_fixed_size 0
		.amdhsa_kernarg_size 272
		.amdhsa_user_sgpr_count 15
		.amdhsa_user_sgpr_dispatch_ptr 0
		.amdhsa_user_sgpr_queue_ptr 0
		.amdhsa_user_sgpr_kernarg_segment_ptr 1
		.amdhsa_user_sgpr_dispatch_id 0
		.amdhsa_user_sgpr_private_segment_size 0
		.amdhsa_wavefront_size32 1
		.amdhsa_uses_dynamic_stack 0
		.amdhsa_enable_private_segment 0
		.amdhsa_system_sgpr_workgroup_id_x 1
		.amdhsa_system_sgpr_workgroup_id_y 0
		.amdhsa_system_sgpr_workgroup_id_z 0
		.amdhsa_system_sgpr_workgroup_info 0
		.amdhsa_system_vgpr_workitem_id 2
		.amdhsa_next_free_vgpr 47
		.amdhsa_next_free_sgpr 22
		.amdhsa_reserve_vcc 1
		.amdhsa_float_round_mode_32 0
		.amdhsa_float_round_mode_16_64 0
		.amdhsa_float_denorm_mode_32 3
		.amdhsa_float_denorm_mode_16_64 3
		.amdhsa_dx10_clamp 1
		.amdhsa_ieee_mode 1
		.amdhsa_fp16_overflow 0
		.amdhsa_workgroup_processor_mode 1
		.amdhsa_memory_ordered 1
		.amdhsa_forward_progress 0
		.amdhsa_shared_vgpr_count 0
		.amdhsa_exception_fp_ieee_invalid_op 0
		.amdhsa_exception_fp_denorm_src 0
		.amdhsa_exception_fp_ieee_div_zero 0
		.amdhsa_exception_fp_ieee_overflow 0
		.amdhsa_exception_fp_ieee_underflow 0
		.amdhsa_exception_fp_ieee_inexact 0
		.amdhsa_exception_int_div_zero 0
	.end_amdhsa_kernel
	.section	.text._Z17sort_pairs_kernelI22helper_blocked_stripediLj320ELj4ELj10EEvPKT0_PS1_,"axG",@progbits,_Z17sort_pairs_kernelI22helper_blocked_stripediLj320ELj4ELj10EEvPKT0_PS1_,comdat
.Lfunc_end229:
	.size	_Z17sort_pairs_kernelI22helper_blocked_stripediLj320ELj4ELj10EEvPKT0_PS1_, .Lfunc_end229-_Z17sort_pairs_kernelI22helper_blocked_stripediLj320ELj4ELj10EEvPKT0_PS1_
                                        ; -- End function
	.section	.AMDGPU.csdata,"",@progbits
; Kernel info:
; codeLenInByte = 3448
; NumSgprs: 24
; NumVgprs: 47
; ScratchSize: 0
; MemoryBound: 0
; FloatMode: 240
; IeeeMode: 1
; LDSByteSize: 10288 bytes/workgroup (compile time only)
; SGPRBlocks: 2
; VGPRBlocks: 5
; NumSGPRsForWavesPerEU: 24
; NumVGPRsForWavesPerEU: 47
; Occupancy: 15
; WaveLimiterHint : 1
; COMPUTE_PGM_RSRC2:SCRATCH_EN: 0
; COMPUTE_PGM_RSRC2:USER_SGPR: 15
; COMPUTE_PGM_RSRC2:TRAP_HANDLER: 0
; COMPUTE_PGM_RSRC2:TGID_X_EN: 1
; COMPUTE_PGM_RSRC2:TGID_Y_EN: 0
; COMPUTE_PGM_RSRC2:TGID_Z_EN: 0
; COMPUTE_PGM_RSRC2:TIDIG_COMP_CNT: 2
	.section	.text._Z16sort_keys_kernelI22helper_blocked_stripediLj320ELj8ELj10EEvPKT0_PS1_,"axG",@progbits,_Z16sort_keys_kernelI22helper_blocked_stripediLj320ELj8ELj10EEvPKT0_PS1_,comdat
	.protected	_Z16sort_keys_kernelI22helper_blocked_stripediLj320ELj8ELj10EEvPKT0_PS1_ ; -- Begin function _Z16sort_keys_kernelI22helper_blocked_stripediLj320ELj8ELj10EEvPKT0_PS1_
	.globl	_Z16sort_keys_kernelI22helper_blocked_stripediLj320ELj8ELj10EEvPKT0_PS1_
	.p2align	8
	.type	_Z16sort_keys_kernelI22helper_blocked_stripediLj320ELj8ELj10EEvPKT0_PS1_,@function
_Z16sort_keys_kernelI22helper_blocked_stripediLj320ELj8ELj10EEvPKT0_PS1_: ; @_Z16sort_keys_kernelI22helper_blocked_stripediLj320ELj8ELj10EEvPKT0_PS1_
; %bb.0:
	s_clause 0x1
	s_load_b128 s[16:19], s[0:1], 0x0
	s_load_b32 s2, s[0:1], 0x1c
	s_mov_b32 s11, 0
	s_mul_i32 s10, s15, 0xa00
	v_mbcnt_lo_u32_b32 v12, -1, 0
	s_lshl_b64 s[12:13], s[10:11], 2
	s_mov_b32 s10, s11
	v_and_b32_e32 v9, 0x3ff, v0
	s_mov_b32 s14, s11
	s_mov_b32 s15, s11
	v_cmp_eq_u32_e64 s8, 0, v12
	s_delay_alu instid0(VALU_DEP_2) | instskip(SKIP_2) | instid1(VALU_DEP_2)
	v_lshlrev_b32_e32 v14, 5, v9
	v_lshlrev_b32_e32 v10, 3, v9
	v_and_b32_e32 v13, 0x1e0, v9
	v_and_b32_e32 v10, 0xf00, v10
	s_delay_alu instid0(VALU_DEP_2)
	v_or_b32_e32 v11, v12, v13
	s_waitcnt lgkmcnt(0)
	s_add_u32 s0, s16, s12
	s_addc_u32 s1, s17, s13
	s_clause 0x1
	global_load_b128 v[5:8], v14, s[0:1]
	global_load_b128 v[1:4], v14, s[0:1] offset:16
	v_or_b32_e32 v17, 64, v10
	v_and_b32_e32 v15, 0x1fc, v11
	v_or_b32_e32 v23, v12, v10
	v_or_b32_e32 v18, 0x60, v10
	;; [unrolled: 1-line block ×3, first 2 shown]
	v_lshrrev_b32_e32 v21, 5, v17
	v_lshrrev_b32_e32 v19, 5, v10
	v_lshl_add_u32 v15, v11, 5, v15
	v_lshrrev_b32_e32 v11, 5, v18
	v_lshrrev_b32_e32 v20, 5, v16
	v_add_lshl_u32 v18, v21, v23, 2
	v_bfe_u32 v21, v0, 10, 10
	v_bfe_u32 v0, v0, 20, 10
	s_lshr_b32 s0, s2, 16
	v_add_lshl_u32 v16, v19, v23, 2
	v_add_lshl_u32 v19, v11, v23, 2
	v_or_b32_e32 v11, 0xa0, v10
	v_mad_u32_u24 v0, v0, s0, v21
	v_add_lshl_u32 v17, v20, v23, 2
	v_or_b32_e32 v20, 0x80, v10
	v_or_b32_e32 v22, 0xc0, v10
	;; [unrolled: 1-line block ×3, first 2 shown]
	s_and_b32 s0, s2, 0xffff
	v_lshrrev_b32_e32 v24, 5, v11
	v_mad_u64_u32 v[10:11], null, v0, s0, v[9:10]
	v_lshrrev_b32_e32 v20, 5, v20
	v_lshrrev_b32_e32 v22, 5, v22
	v_lshrrev_b32_e32 v0, 5, v21
	v_add_lshl_u32 v21, v24, v23, 2
	v_and_b32_e32 v11, 15, v12
	v_add_lshl_u32 v20, v20, v23, 2
	v_add_lshl_u32 v22, v22, v23, 2
	;; [unrolled: 1-line block ×3, first 2 shown]
	v_min_u32_e32 v0, 0x120, v13
	v_add_nc_u32_e32 v13, -1, v12
	v_lshrrev_b32_e32 v25, 5, v10
	v_and_b32_e32 v10, 16, v12
	v_cmp_eq_u32_e64 s0, 0, v11
	v_cmp_lt_u32_e64 s1, 1, v11
	v_cmp_gt_i32_e32 vcc_lo, 0, v13
	v_cmp_lt_u32_e64 s2, 3, v11
	v_cmp_eq_u32_e64 s4, 0, v10
	v_lshrrev_b32_e32 v10, 3, v9
	v_cmp_lt_u32_e64 s3, 7, v11
	v_dual_cndmask_b32 v11, v13, v12 :: v_dual_mov_b32 v12, s14
	v_or_b32_e32 v0, 31, v0
	s_delay_alu instid0(VALU_DEP_4) | instskip(SKIP_1) | instid1(VALU_DEP_4)
	v_and_b32_e32 v26, 60, v10
	v_add_nc_u32_e32 v24, 40, v14
	v_dual_mov_b32 v10, s10 :: v_dual_lshlrev_b32 v27, 2, v11
	s_delay_alu instid0(VALU_DEP_4)
	v_cmp_eq_u32_e64 s5, v0, v9
	v_cmp_gt_u32_e64 s6, 10, v9
	v_cmp_lt_u32_e64 s7, 31, v9
	v_cmp_eq_u32_e64 s9, 0, v9
	v_mul_i32_i24_e32 v28, 0xffffffe4, v9
	v_add_nc_u32_e32 v29, -4, v26
	v_mov_b32_e32 v11, s11
	v_mov_b32_e32 v13, s15
	s_branch .LBB230_2
.LBB230_1:                              ;   in Loop: Header=BB230_2 Depth=1
	v_lshlrev_b32_e32 v0, 2, v47
	v_lshlrev_b32_e32 v1, 2, v44
	s_barrier
	v_lshlrev_b32_e32 v2, 2, v41
	buffer_gl0_inv
	ds_store_b32 v0, v8
	ds_store_b32 v1, v36
	v_lshlrev_b32_e32 v0, 2, v40
	v_lshlrev_b32_e32 v1, 2, v39
	ds_store_b32 v2, v35
	v_add_nc_u32_e32 v4, v14, v28
	v_lshlrev_b32_e32 v2, 2, v38
	ds_store_b32 v0, v34
	v_lshlrev_b32_e32 v0, 2, v7
	v_lshlrev_b32_e32 v3, 2, v37
	ds_store_b32 v1, v33
	ds_store_b32 v2, v32
	;; [unrolled: 1-line block ×4, first 2 shown]
	s_waitcnt lgkmcnt(0)
	s_barrier
	buffer_gl0_inv
	ds_load_2addr_stride64_b32 v[0:1], v4 offset1:5
	ds_load_2addr_stride64_b32 v[2:3], v4 offset0:10 offset1:15
	ds_load_2addr_stride64_b32 v[30:31], v4 offset0:20 offset1:25
	;; [unrolled: 1-line block ×3, first 2 shown]
	s_add_i32 s11, s11, 1
	s_delay_alu instid0(SALU_CYCLE_1)
	s_cmp_eq_u32 s11, 10
	s_waitcnt lgkmcnt(3)
	v_xor_b32_e32 v5, 0x80000000, v0
	v_xor_b32_e32 v6, 0x80000000, v1
	s_waitcnt lgkmcnt(2)
	v_xor_b32_e32 v7, 0x80000000, v2
	v_xor_b32_e32 v8, 0x80000000, v3
	;; [unrolled: 3-line block ×4, first 2 shown]
	s_cbranch_scc1 .LBB230_28
.LBB230_2:                              ; =>This Loop Header: Depth=1
                                        ;     Child Loop BB230_4 Depth 2
	s_waitcnt vmcnt(1)
	v_xor_b32_e32 v0, 0x80000000, v5
	v_xor_b32_e32 v5, 0x80000000, v6
	;; [unrolled: 1-line block ×4, first 2 shown]
	s_waitcnt vmcnt(0)
	v_xor_b32_e32 v1, 0x80000000, v1
	v_xor_b32_e32 v2, 0x80000000, v2
	;; [unrolled: 1-line block ×4, first 2 shown]
	ds_store_2addr_b32 v15, v0, v5 offset1:1
	ds_store_2addr_b32 v15, v6, v7 offset0:2 offset1:3
	ds_store_2addr_b32 v15, v1, v2 offset0:4 offset1:5
	;; [unrolled: 1-line block ×3, first 2 shown]
	; wave barrier
	ds_load_b32 v42, v16
	ds_load_b32 v0, v17 offset:128
	ds_load_b32 v1, v18 offset:256
	;; [unrolled: 1-line block ×7, first 2 shown]
	s_mov_b32 s14, 0
	s_waitcnt lgkmcnt(0)
	s_barrier
	buffer_gl0_inv
	; wave barrier
	s_barrier
	s_branch .LBB230_4
.LBB230_3:                              ;   in Loop: Header=BB230_4 Depth=2
	v_lshrrev_b32_e32 v0, 3, v47
	v_lshrrev_b32_e32 v1, 3, v44
	;; [unrolled: 1-line block ×4, first 2 shown]
	s_delay_alu instid0(VALU_DEP_4) | instskip(NEXT) | instid1(VALU_DEP_4)
	v_and_b32_e32 v0, 0x1ffffffc, v0
	v_and_b32_e32 v1, 0x1ffffffc, v1
	s_delay_alu instid0(VALU_DEP_4)
	v_and_b32_e32 v2, 0x1ffffffc, v2
	s_barrier
	buffer_gl0_inv
	v_lshl_add_u32 v0, v47, 2, v0
	v_lshl_add_u32 v1, v44, 2, v1
	;; [unrolled: 1-line block ×3, first 2 shown]
	v_lshrrev_b32_e32 v4, 3, v7
	v_and_b32_e32 v3, 0x1ffffffc, v3
	ds_store_b32 v0, v8
	ds_store_b32 v1, v36
	;; [unrolled: 1-line block ×3, first 2 shown]
	v_lshrrev_b32_e32 v0, 3, v39
	v_lshrrev_b32_e32 v1, 3, v38
	;; [unrolled: 1-line block ×3, first 2 shown]
	v_and_b32_e32 v4, 0x1ffffffc, v4
	v_lshl_add_u32 v3, v40, 2, v3
	v_and_b32_e32 v0, 0x1ffffffc, v0
	v_and_b32_e32 v1, 0x1ffffffc, v1
	;; [unrolled: 1-line block ×3, first 2 shown]
	v_lshl_add_u32 v4, v7, 2, v4
	s_add_i32 s14, s14, 8
	v_lshl_add_u32 v0, v39, 2, v0
	v_lshl_add_u32 v1, v38, 2, v1
	v_lshl_add_u32 v2, v37, 2, v2
	ds_store_b32 v3, v34
	ds_store_b32 v0, v33
	;; [unrolled: 1-line block ×5, first 2 shown]
	s_waitcnt lgkmcnt(0)
	s_barrier
	buffer_gl0_inv
	ds_load_b32 v42, v16
	ds_load_b32 v0, v17 offset:128
	ds_load_b32 v1, v18 offset:256
	;; [unrolled: 1-line block ×7, first 2 shown]
	s_waitcnt lgkmcnt(0)
	s_barrier
	s_cbranch_execz .LBB230_1
.LBB230_4:                              ;   Parent Loop BB230_2 Depth=1
                                        ; =>  This Inner Loop Header: Depth=2
	v_mov_b32_e32 v8, v42
	buffer_gl0_inv
	ds_store_2addr_b64 v14, v[10:11], v[12:13] offset0:5 offset1:6
	ds_store_2addr_b64 v24, v[10:11], v[12:13] offset0:2 offset1:3
	s_waitcnt lgkmcnt(0)
	s_barrier
	v_lshrrev_b32_e32 v30, s14, v8
	buffer_gl0_inv
	; wave barrier
	v_lshlrev_b32_e32 v33, 29, v30
	v_bfe_u32 v7, v8, s14, 1
	v_lshlrev_b32_e32 v32, 30, v30
	v_lshlrev_b32_e32 v34, 28, v30
	;; [unrolled: 1-line block ×4, first 2 shown]
	v_add_co_u32 v7, s10, v7, -1
	s_delay_alu instid0(VALU_DEP_1) | instskip(SKIP_3) | instid1(VALU_DEP_4)
	v_cndmask_b32_e64 v31, 0, 1, s10
	v_cmp_gt_i32_e64 s10, 0, v32
	v_lshlrev_b32_e32 v37, 25, v30
	v_lshlrev_b32_e32 v30, 24, v30
	v_cmp_ne_u32_e32 vcc_lo, 0, v31
	v_not_b32_e32 v31, v32
	v_not_b32_e32 v32, v33
	v_xor_b32_e32 v7, vcc_lo, v7
	s_delay_alu instid0(VALU_DEP_3)
	v_ashrrev_i32_e32 v31, 31, v31
	v_cmp_gt_i32_e32 vcc_lo, 0, v33
	v_not_b32_e32 v33, v34
	v_ashrrev_i32_e32 v32, 31, v32
	v_and_b32_e32 v7, exec_lo, v7
	v_xor_b32_e32 v31, s10, v31
	v_cmp_gt_i32_e64 s10, 0, v34
	v_ashrrev_i32_e32 v33, 31, v33
	v_xor_b32_e32 v32, vcc_lo, v32
	s_delay_alu instid0(VALU_DEP_4) | instskip(SKIP_1) | instid1(VALU_DEP_4)
	v_and_b32_e32 v7, v7, v31
	v_not_b32_e32 v31, v36
	v_xor_b32_e32 v33, s10, v33
	v_cmp_gt_i32_e64 s10, 0, v36
	s_delay_alu instid0(VALU_DEP_4) | instskip(NEXT) | instid1(VALU_DEP_4)
	v_dual_mov_b32 v36, v0 :: v_dual_and_b32 v7, v7, v32
	v_ashrrev_i32_e32 v31, 31, v31
	v_not_b32_e32 v32, v37
	v_bfe_u32 v0, v8, s14, 8
	s_delay_alu instid0(VALU_DEP_4)
	v_and_b32_e32 v7, v7, v33
	v_not_b32_e32 v33, v30
	v_xor_b32_e32 v31, s10, v31
	v_cmp_gt_i32_e64 s10, 0, v30
	v_mov_b32_e32 v30, v6
	v_not_b32_e32 v34, v35
	v_cmp_gt_i32_e32 vcc_lo, 0, v35
	v_ashrrev_i32_e32 v32, 31, v32
	v_ashrrev_i32_e32 v33, 31, v33
	v_mad_u32_u24 v0, v0, 10, v25
	v_ashrrev_i32_e32 v34, 31, v34
	v_mov_b32_e32 v35, v1
	s_delay_alu instid0(VALU_DEP_4) | instskip(SKIP_1) | instid1(VALU_DEP_4)
	v_xor_b32_e32 v6, s10, v33
	v_mov_b32_e32 v33, v3
	v_xor_b32_e32 v34, vcc_lo, v34
	v_cmp_gt_i32_e32 vcc_lo, 0, v37
	v_lshl_add_u32 v38, v0, 2, 40
	s_delay_alu instid0(VALU_DEP_3) | instskip(SKIP_1) | instid1(VALU_DEP_2)
	v_and_b32_e32 v7, v7, v34
	v_xor_b32_e32 v32, vcc_lo, v32
	v_dual_mov_b32 v34, v2 :: v_dual_and_b32 v7, v7, v31
	v_mov_b32_e32 v31, v5
	s_delay_alu instid0(VALU_DEP_2) | instskip(NEXT) | instid1(VALU_DEP_1)
	v_dual_mov_b32 v32, v4 :: v_dual_and_b32 v7, v7, v32
	v_and_b32_e32 v2, v7, v6
	s_delay_alu instid0(VALU_DEP_1) | instskip(SKIP_1) | instid1(VALU_DEP_2)
	v_mbcnt_lo_u32_b32 v37, v2, 0
	v_cmp_ne_u32_e64 s10, 0, v2
	v_cmp_eq_u32_e32 vcc_lo, 0, v37
	s_delay_alu instid0(VALU_DEP_2) | instskip(NEXT) | instid1(SALU_CYCLE_1)
	s_and_b32 s15, s10, vcc_lo
	s_and_saveexec_b32 s10, s15
	s_cbranch_execz .LBB230_6
; %bb.5:                                ;   in Loop: Header=BB230_4 Depth=2
	v_bcnt_u32_b32 v0, v2, 0
	ds_store_b32 v38, v0
.LBB230_6:                              ;   in Loop: Header=BB230_4 Depth=2
	s_or_b32 exec_lo, exec_lo, s10
	v_bfe_u32 v0, v36, s14, 1
	v_lshrrev_b32_e32 v1, s14, v36
	; wave barrier
	s_delay_alu instid0(VALU_DEP_2) | instskip(NEXT) | instid1(VALU_DEP_1)
	v_add_co_u32 v0, s10, v0, -1
	v_cndmask_b32_e64 v2, 0, 1, s10
	s_delay_alu instid0(VALU_DEP_3)
	v_lshlrev_b32_e32 v3, 30, v1
	v_lshlrev_b32_e32 v4, 29, v1
	;; [unrolled: 1-line block ×4, first 2 shown]
	v_cmp_ne_u32_e32 vcc_lo, 0, v2
	v_not_b32_e32 v2, v3
	v_cmp_gt_i32_e64 s10, 0, v3
	v_not_b32_e32 v3, v4
	v_lshlrev_b32_e32 v7, 26, v1
	v_xor_b32_e32 v0, vcc_lo, v0
	v_ashrrev_i32_e32 v2, 31, v2
	v_cmp_gt_i32_e32 vcc_lo, 0, v4
	v_not_b32_e32 v4, v5
	v_ashrrev_i32_e32 v3, 31, v3
	v_and_b32_e32 v0, exec_lo, v0
	v_xor_b32_e32 v2, s10, v2
	v_cmp_gt_i32_e64 s10, 0, v5
	v_not_b32_e32 v5, v6
	v_ashrrev_i32_e32 v4, 31, v4
	v_xor_b32_e32 v3, vcc_lo, v3
	v_and_b32_e32 v0, v0, v2
	v_cmp_gt_i32_e32 vcc_lo, 0, v6
	v_not_b32_e32 v2, v7
	v_ashrrev_i32_e32 v5, 31, v5
	v_xor_b32_e32 v4, s10, v4
	v_and_b32_e32 v0, v0, v3
	v_lshlrev_b32_e32 v3, 25, v1
	v_cmp_gt_i32_e64 s10, 0, v7
	v_ashrrev_i32_e32 v2, 31, v2
	v_xor_b32_e32 v5, vcc_lo, v5
	v_and_b32_e32 v0, v0, v4
	v_not_b32_e32 v6, v3
	v_lshlrev_b32_e32 v1, 24, v1
	v_bfe_u32 v4, v36, s14, 8
	v_xor_b32_e32 v2, s10, v2
	v_and_b32_e32 v0, v0, v5
	v_cmp_gt_i32_e32 vcc_lo, 0, v3
	v_ashrrev_i32_e32 v3, 31, v6
	v_not_b32_e32 v5, v1
	v_mul_u32_u24_e32 v4, 10, v4
	v_and_b32_e32 v0, v0, v2
	s_delay_alu instid0(VALU_DEP_4) | instskip(SKIP_3) | instid1(VALU_DEP_4)
	v_xor_b32_e32 v2, vcc_lo, v3
	v_cmp_gt_i32_e32 vcc_lo, 0, v1
	v_ashrrev_i32_e32 v1, 31, v5
	v_add_lshl_u32 v3, v4, v25, 2
	v_and_b32_e32 v0, v0, v2
	s_delay_alu instid0(VALU_DEP_3) | instskip(SKIP_3) | instid1(VALU_DEP_1)
	v_xor_b32_e32 v1, vcc_lo, v1
	ds_load_b32 v39, v3 offset:40
	v_add_nc_u32_e32 v41, 40, v3
	; wave barrier
	v_and_b32_e32 v0, v0, v1
	v_mbcnt_lo_u32_b32 v40, v0, 0
	v_cmp_ne_u32_e64 s10, 0, v0
	s_delay_alu instid0(VALU_DEP_2) | instskip(NEXT) | instid1(VALU_DEP_2)
	v_cmp_eq_u32_e32 vcc_lo, 0, v40
	s_and_b32 s15, s10, vcc_lo
	s_delay_alu instid0(SALU_CYCLE_1)
	s_and_saveexec_b32 s10, s15
	s_cbranch_execz .LBB230_8
; %bb.7:                                ;   in Loop: Header=BB230_4 Depth=2
	s_waitcnt lgkmcnt(0)
	v_bcnt_u32_b32 v0, v0, v39
	ds_store_b32 v41, v0
.LBB230_8:                              ;   in Loop: Header=BB230_4 Depth=2
	s_or_b32 exec_lo, exec_lo, s10
	v_bfe_u32 v0, v35, s14, 1
	v_lshrrev_b32_e32 v1, s14, v35
	; wave barrier
	s_delay_alu instid0(VALU_DEP_2) | instskip(NEXT) | instid1(VALU_DEP_1)
	v_add_co_u32 v0, s10, v0, -1
	v_cndmask_b32_e64 v2, 0, 1, s10
	s_delay_alu instid0(VALU_DEP_3)
	v_lshlrev_b32_e32 v3, 30, v1
	v_lshlrev_b32_e32 v4, 29, v1
	v_lshlrev_b32_e32 v5, 28, v1
	v_lshlrev_b32_e32 v6, 27, v1
	v_cmp_ne_u32_e32 vcc_lo, 0, v2
	v_not_b32_e32 v2, v3
	v_cmp_gt_i32_e64 s10, 0, v3
	v_not_b32_e32 v3, v4
	v_lshlrev_b32_e32 v7, 26, v1
	v_xor_b32_e32 v0, vcc_lo, v0
	v_ashrrev_i32_e32 v2, 31, v2
	v_cmp_gt_i32_e32 vcc_lo, 0, v4
	v_not_b32_e32 v4, v5
	v_ashrrev_i32_e32 v3, 31, v3
	v_and_b32_e32 v0, exec_lo, v0
	v_xor_b32_e32 v2, s10, v2
	v_cmp_gt_i32_e64 s10, 0, v5
	v_not_b32_e32 v5, v6
	v_ashrrev_i32_e32 v4, 31, v4
	v_xor_b32_e32 v3, vcc_lo, v3
	v_and_b32_e32 v0, v0, v2
	v_cmp_gt_i32_e32 vcc_lo, 0, v6
	v_not_b32_e32 v2, v7
	v_ashrrev_i32_e32 v5, 31, v5
	v_xor_b32_e32 v4, s10, v4
	v_and_b32_e32 v0, v0, v3
	v_lshlrev_b32_e32 v3, 25, v1
	v_cmp_gt_i32_e64 s10, 0, v7
	v_ashrrev_i32_e32 v2, 31, v2
	v_xor_b32_e32 v5, vcc_lo, v5
	v_and_b32_e32 v0, v0, v4
	v_not_b32_e32 v6, v3
	v_lshlrev_b32_e32 v1, 24, v1
	v_bfe_u32 v4, v35, s14, 8
	v_xor_b32_e32 v2, s10, v2
	v_and_b32_e32 v0, v0, v5
	v_cmp_gt_i32_e32 vcc_lo, 0, v3
	v_ashrrev_i32_e32 v3, 31, v6
	v_not_b32_e32 v5, v1
	v_mul_u32_u24_e32 v4, 10, v4
	v_and_b32_e32 v0, v0, v2
	s_delay_alu instid0(VALU_DEP_4) | instskip(SKIP_3) | instid1(VALU_DEP_4)
	v_xor_b32_e32 v2, vcc_lo, v3
	v_cmp_gt_i32_e32 vcc_lo, 0, v1
	v_ashrrev_i32_e32 v1, 31, v5
	v_add_lshl_u32 v3, v4, v25, 2
	v_and_b32_e32 v0, v0, v2
	s_delay_alu instid0(VALU_DEP_3) | instskip(SKIP_3) | instid1(VALU_DEP_1)
	v_xor_b32_e32 v1, vcc_lo, v1
	ds_load_b32 v42, v3 offset:40
	v_add_nc_u32_e32 v44, 40, v3
	; wave barrier
	v_and_b32_e32 v0, v0, v1
	v_mbcnt_lo_u32_b32 v43, v0, 0
	v_cmp_ne_u32_e64 s10, 0, v0
	s_delay_alu instid0(VALU_DEP_2) | instskip(NEXT) | instid1(VALU_DEP_2)
	v_cmp_eq_u32_e32 vcc_lo, 0, v43
	s_and_b32 s15, s10, vcc_lo
	s_delay_alu instid0(SALU_CYCLE_1)
	s_and_saveexec_b32 s10, s15
	s_cbranch_execz .LBB230_10
; %bb.9:                                ;   in Loop: Header=BB230_4 Depth=2
	s_waitcnt lgkmcnt(0)
	v_bcnt_u32_b32 v0, v0, v42
	ds_store_b32 v44, v0
.LBB230_10:                             ;   in Loop: Header=BB230_4 Depth=2
	s_or_b32 exec_lo, exec_lo, s10
	v_bfe_u32 v0, v34, s14, 1
	v_lshrrev_b32_e32 v1, s14, v34
	; wave barrier
	s_delay_alu instid0(VALU_DEP_2) | instskip(NEXT) | instid1(VALU_DEP_1)
	v_add_co_u32 v0, s10, v0, -1
	v_cndmask_b32_e64 v2, 0, 1, s10
	s_delay_alu instid0(VALU_DEP_3)
	v_lshlrev_b32_e32 v3, 30, v1
	v_lshlrev_b32_e32 v4, 29, v1
	;; [unrolled: 1-line block ×4, first 2 shown]
	v_cmp_ne_u32_e32 vcc_lo, 0, v2
	v_not_b32_e32 v2, v3
	v_cmp_gt_i32_e64 s10, 0, v3
	v_not_b32_e32 v3, v4
	v_lshlrev_b32_e32 v7, 26, v1
	v_xor_b32_e32 v0, vcc_lo, v0
	v_ashrrev_i32_e32 v2, 31, v2
	v_cmp_gt_i32_e32 vcc_lo, 0, v4
	v_not_b32_e32 v4, v5
	v_ashrrev_i32_e32 v3, 31, v3
	v_and_b32_e32 v0, exec_lo, v0
	v_xor_b32_e32 v2, s10, v2
	v_cmp_gt_i32_e64 s10, 0, v5
	v_not_b32_e32 v5, v6
	v_ashrrev_i32_e32 v4, 31, v4
	v_xor_b32_e32 v3, vcc_lo, v3
	v_and_b32_e32 v0, v0, v2
	v_cmp_gt_i32_e32 vcc_lo, 0, v6
	v_not_b32_e32 v2, v7
	v_ashrrev_i32_e32 v5, 31, v5
	v_xor_b32_e32 v4, s10, v4
	v_and_b32_e32 v0, v0, v3
	v_lshlrev_b32_e32 v3, 25, v1
	v_cmp_gt_i32_e64 s10, 0, v7
	v_ashrrev_i32_e32 v2, 31, v2
	v_xor_b32_e32 v5, vcc_lo, v5
	v_and_b32_e32 v0, v0, v4
	v_not_b32_e32 v6, v3
	v_lshlrev_b32_e32 v1, 24, v1
	v_bfe_u32 v4, v34, s14, 8
	v_xor_b32_e32 v2, s10, v2
	v_and_b32_e32 v0, v0, v5
	v_cmp_gt_i32_e32 vcc_lo, 0, v3
	v_ashrrev_i32_e32 v3, 31, v6
	v_not_b32_e32 v5, v1
	v_mul_u32_u24_e32 v4, 10, v4
	v_and_b32_e32 v0, v0, v2
	s_delay_alu instid0(VALU_DEP_4) | instskip(SKIP_3) | instid1(VALU_DEP_4)
	v_xor_b32_e32 v2, vcc_lo, v3
	v_cmp_gt_i32_e32 vcc_lo, 0, v1
	v_ashrrev_i32_e32 v1, 31, v5
	v_add_lshl_u32 v3, v4, v25, 2
	v_and_b32_e32 v0, v0, v2
	s_delay_alu instid0(VALU_DEP_3) | instskip(SKIP_3) | instid1(VALU_DEP_1)
	v_xor_b32_e32 v1, vcc_lo, v1
	ds_load_b32 v45, v3 offset:40
	v_add_nc_u32_e32 v47, 40, v3
	; wave barrier
	v_and_b32_e32 v0, v0, v1
	v_mbcnt_lo_u32_b32 v46, v0, 0
	v_cmp_ne_u32_e64 s10, 0, v0
	s_delay_alu instid0(VALU_DEP_2) | instskip(NEXT) | instid1(VALU_DEP_2)
	v_cmp_eq_u32_e32 vcc_lo, 0, v46
	s_and_b32 s15, s10, vcc_lo
	s_delay_alu instid0(SALU_CYCLE_1)
	s_and_saveexec_b32 s10, s15
	s_cbranch_execz .LBB230_12
; %bb.11:                               ;   in Loop: Header=BB230_4 Depth=2
	s_waitcnt lgkmcnt(0)
	v_bcnt_u32_b32 v0, v0, v45
	ds_store_b32 v47, v0
.LBB230_12:                             ;   in Loop: Header=BB230_4 Depth=2
	s_or_b32 exec_lo, exec_lo, s10
	v_bfe_u32 v0, v33, s14, 1
	v_lshrrev_b32_e32 v1, s14, v33
	; wave barrier
	s_delay_alu instid0(VALU_DEP_2) | instskip(NEXT) | instid1(VALU_DEP_1)
	v_add_co_u32 v0, s10, v0, -1
	v_cndmask_b32_e64 v2, 0, 1, s10
	s_delay_alu instid0(VALU_DEP_3)
	v_lshlrev_b32_e32 v3, 30, v1
	v_lshlrev_b32_e32 v4, 29, v1
	;; [unrolled: 1-line block ×4, first 2 shown]
	v_cmp_ne_u32_e32 vcc_lo, 0, v2
	v_not_b32_e32 v2, v3
	v_cmp_gt_i32_e64 s10, 0, v3
	v_not_b32_e32 v3, v4
	v_lshlrev_b32_e32 v7, 26, v1
	v_xor_b32_e32 v0, vcc_lo, v0
	v_ashrrev_i32_e32 v2, 31, v2
	v_cmp_gt_i32_e32 vcc_lo, 0, v4
	v_not_b32_e32 v4, v5
	v_ashrrev_i32_e32 v3, 31, v3
	v_and_b32_e32 v0, exec_lo, v0
	v_xor_b32_e32 v2, s10, v2
	v_cmp_gt_i32_e64 s10, 0, v5
	v_not_b32_e32 v5, v6
	v_ashrrev_i32_e32 v4, 31, v4
	v_xor_b32_e32 v3, vcc_lo, v3
	v_and_b32_e32 v0, v0, v2
	v_cmp_gt_i32_e32 vcc_lo, 0, v6
	v_not_b32_e32 v2, v7
	v_ashrrev_i32_e32 v5, 31, v5
	v_xor_b32_e32 v4, s10, v4
	v_and_b32_e32 v0, v0, v3
	v_lshlrev_b32_e32 v3, 25, v1
	v_cmp_gt_i32_e64 s10, 0, v7
	v_ashrrev_i32_e32 v2, 31, v2
	v_xor_b32_e32 v5, vcc_lo, v5
	v_and_b32_e32 v0, v0, v4
	v_not_b32_e32 v6, v3
	v_lshlrev_b32_e32 v1, 24, v1
	v_bfe_u32 v4, v33, s14, 8
	v_xor_b32_e32 v2, s10, v2
	v_and_b32_e32 v0, v0, v5
	v_cmp_gt_i32_e32 vcc_lo, 0, v3
	v_ashrrev_i32_e32 v3, 31, v6
	v_not_b32_e32 v5, v1
	v_mul_u32_u24_e32 v4, 10, v4
	v_and_b32_e32 v0, v0, v2
	s_delay_alu instid0(VALU_DEP_4) | instskip(SKIP_3) | instid1(VALU_DEP_4)
	v_xor_b32_e32 v2, vcc_lo, v3
	v_cmp_gt_i32_e32 vcc_lo, 0, v1
	v_ashrrev_i32_e32 v1, 31, v5
	v_add_lshl_u32 v3, v4, v25, 2
	v_and_b32_e32 v0, v0, v2
	s_delay_alu instid0(VALU_DEP_3) | instskip(SKIP_3) | instid1(VALU_DEP_1)
	v_xor_b32_e32 v1, vcc_lo, v1
	ds_load_b32 v48, v3 offset:40
	v_add_nc_u32_e32 v50, 40, v3
	; wave barrier
	v_and_b32_e32 v0, v0, v1
	v_mbcnt_lo_u32_b32 v49, v0, 0
	v_cmp_ne_u32_e64 s10, 0, v0
	s_delay_alu instid0(VALU_DEP_2) | instskip(NEXT) | instid1(VALU_DEP_2)
	v_cmp_eq_u32_e32 vcc_lo, 0, v49
	s_and_b32 s15, s10, vcc_lo
	s_delay_alu instid0(SALU_CYCLE_1)
	s_and_saveexec_b32 s10, s15
	s_cbranch_execz .LBB230_14
; %bb.13:                               ;   in Loop: Header=BB230_4 Depth=2
	s_waitcnt lgkmcnt(0)
	v_bcnt_u32_b32 v0, v0, v48
	ds_store_b32 v50, v0
.LBB230_14:                             ;   in Loop: Header=BB230_4 Depth=2
	s_or_b32 exec_lo, exec_lo, s10
	v_bfe_u32 v0, v32, s14, 1
	v_lshrrev_b32_e32 v1, s14, v32
	; wave barrier
	s_delay_alu instid0(VALU_DEP_2) | instskip(NEXT) | instid1(VALU_DEP_1)
	v_add_co_u32 v0, s10, v0, -1
	v_cndmask_b32_e64 v2, 0, 1, s10
	s_delay_alu instid0(VALU_DEP_3)
	v_lshlrev_b32_e32 v3, 30, v1
	v_lshlrev_b32_e32 v4, 29, v1
	;; [unrolled: 1-line block ×4, first 2 shown]
	v_cmp_ne_u32_e32 vcc_lo, 0, v2
	v_not_b32_e32 v2, v3
	v_cmp_gt_i32_e64 s10, 0, v3
	v_not_b32_e32 v3, v4
	v_lshlrev_b32_e32 v7, 26, v1
	v_xor_b32_e32 v0, vcc_lo, v0
	v_ashrrev_i32_e32 v2, 31, v2
	v_cmp_gt_i32_e32 vcc_lo, 0, v4
	v_not_b32_e32 v4, v5
	v_ashrrev_i32_e32 v3, 31, v3
	v_and_b32_e32 v0, exec_lo, v0
	v_xor_b32_e32 v2, s10, v2
	v_cmp_gt_i32_e64 s10, 0, v5
	v_not_b32_e32 v5, v6
	v_ashrrev_i32_e32 v4, 31, v4
	v_xor_b32_e32 v3, vcc_lo, v3
	v_and_b32_e32 v0, v0, v2
	v_cmp_gt_i32_e32 vcc_lo, 0, v6
	v_not_b32_e32 v2, v7
	v_ashrrev_i32_e32 v5, 31, v5
	v_xor_b32_e32 v4, s10, v4
	v_and_b32_e32 v0, v0, v3
	v_lshlrev_b32_e32 v3, 25, v1
	v_cmp_gt_i32_e64 s10, 0, v7
	v_ashrrev_i32_e32 v2, 31, v2
	v_xor_b32_e32 v5, vcc_lo, v5
	v_and_b32_e32 v0, v0, v4
	v_not_b32_e32 v6, v3
	v_lshlrev_b32_e32 v1, 24, v1
	v_bfe_u32 v4, v32, s14, 8
	v_xor_b32_e32 v2, s10, v2
	v_and_b32_e32 v0, v0, v5
	v_cmp_gt_i32_e32 vcc_lo, 0, v3
	v_ashrrev_i32_e32 v3, 31, v6
	v_not_b32_e32 v5, v1
	v_mul_u32_u24_e32 v4, 10, v4
	v_and_b32_e32 v0, v0, v2
	s_delay_alu instid0(VALU_DEP_4) | instskip(SKIP_3) | instid1(VALU_DEP_4)
	v_xor_b32_e32 v2, vcc_lo, v3
	v_cmp_gt_i32_e32 vcc_lo, 0, v1
	v_ashrrev_i32_e32 v1, 31, v5
	v_add_lshl_u32 v3, v4, v25, 2
	v_and_b32_e32 v0, v0, v2
	s_delay_alu instid0(VALU_DEP_3) | instskip(SKIP_3) | instid1(VALU_DEP_1)
	v_xor_b32_e32 v1, vcc_lo, v1
	ds_load_b32 v51, v3 offset:40
	v_add_nc_u32_e32 v53, 40, v3
	; wave barrier
	v_and_b32_e32 v0, v0, v1
	v_mbcnt_lo_u32_b32 v52, v0, 0
	v_cmp_ne_u32_e64 s10, 0, v0
	s_delay_alu instid0(VALU_DEP_2) | instskip(NEXT) | instid1(VALU_DEP_2)
	v_cmp_eq_u32_e32 vcc_lo, 0, v52
	s_and_b32 s15, s10, vcc_lo
	s_delay_alu instid0(SALU_CYCLE_1)
	s_and_saveexec_b32 s10, s15
	s_cbranch_execz .LBB230_16
; %bb.15:                               ;   in Loop: Header=BB230_4 Depth=2
	s_waitcnt lgkmcnt(0)
	v_bcnt_u32_b32 v0, v0, v51
	ds_store_b32 v53, v0
.LBB230_16:                             ;   in Loop: Header=BB230_4 Depth=2
	s_or_b32 exec_lo, exec_lo, s10
	v_bfe_u32 v0, v31, s14, 1
	v_lshrrev_b32_e32 v1, s14, v31
	; wave barrier
	s_delay_alu instid0(VALU_DEP_2) | instskip(NEXT) | instid1(VALU_DEP_1)
	v_add_co_u32 v0, s10, v0, -1
	v_cndmask_b32_e64 v2, 0, 1, s10
	s_delay_alu instid0(VALU_DEP_3)
	v_lshlrev_b32_e32 v3, 30, v1
	v_lshlrev_b32_e32 v4, 29, v1
	;; [unrolled: 1-line block ×4, first 2 shown]
	v_cmp_ne_u32_e32 vcc_lo, 0, v2
	v_not_b32_e32 v2, v3
	v_cmp_gt_i32_e64 s10, 0, v3
	v_not_b32_e32 v3, v4
	v_lshlrev_b32_e32 v7, 26, v1
	v_xor_b32_e32 v0, vcc_lo, v0
	v_ashrrev_i32_e32 v2, 31, v2
	v_cmp_gt_i32_e32 vcc_lo, 0, v4
	v_not_b32_e32 v4, v5
	v_ashrrev_i32_e32 v3, 31, v3
	v_and_b32_e32 v0, exec_lo, v0
	v_xor_b32_e32 v2, s10, v2
	v_cmp_gt_i32_e64 s10, 0, v5
	v_not_b32_e32 v5, v6
	v_ashrrev_i32_e32 v4, 31, v4
	v_xor_b32_e32 v3, vcc_lo, v3
	v_and_b32_e32 v0, v0, v2
	v_cmp_gt_i32_e32 vcc_lo, 0, v6
	v_not_b32_e32 v2, v7
	v_ashrrev_i32_e32 v5, 31, v5
	v_xor_b32_e32 v4, s10, v4
	v_and_b32_e32 v0, v0, v3
	v_lshlrev_b32_e32 v3, 25, v1
	v_cmp_gt_i32_e64 s10, 0, v7
	v_ashrrev_i32_e32 v2, 31, v2
	v_xor_b32_e32 v5, vcc_lo, v5
	v_and_b32_e32 v0, v0, v4
	v_not_b32_e32 v6, v3
	v_lshlrev_b32_e32 v1, 24, v1
	v_bfe_u32 v4, v31, s14, 8
	v_xor_b32_e32 v2, s10, v2
	v_and_b32_e32 v0, v0, v5
	v_cmp_gt_i32_e32 vcc_lo, 0, v3
	v_ashrrev_i32_e32 v3, 31, v6
	v_not_b32_e32 v5, v1
	v_mul_u32_u24_e32 v4, 10, v4
	v_and_b32_e32 v0, v0, v2
	s_delay_alu instid0(VALU_DEP_4) | instskip(SKIP_3) | instid1(VALU_DEP_4)
	v_xor_b32_e32 v2, vcc_lo, v3
	v_cmp_gt_i32_e32 vcc_lo, 0, v1
	v_ashrrev_i32_e32 v1, 31, v5
	v_add_lshl_u32 v3, v4, v25, 2
	v_and_b32_e32 v0, v0, v2
	s_delay_alu instid0(VALU_DEP_3) | instskip(SKIP_3) | instid1(VALU_DEP_1)
	v_xor_b32_e32 v1, vcc_lo, v1
	ds_load_b32 v54, v3 offset:40
	v_add_nc_u32_e32 v56, 40, v3
	; wave barrier
	v_and_b32_e32 v0, v0, v1
	v_mbcnt_lo_u32_b32 v55, v0, 0
	v_cmp_ne_u32_e64 s10, 0, v0
	s_delay_alu instid0(VALU_DEP_2) | instskip(NEXT) | instid1(VALU_DEP_2)
	v_cmp_eq_u32_e32 vcc_lo, 0, v55
	s_and_b32 s15, s10, vcc_lo
	s_delay_alu instid0(SALU_CYCLE_1)
	s_and_saveexec_b32 s10, s15
	s_cbranch_execz .LBB230_18
; %bb.17:                               ;   in Loop: Header=BB230_4 Depth=2
	s_waitcnt lgkmcnt(0)
	v_bcnt_u32_b32 v0, v0, v54
	ds_store_b32 v56, v0
.LBB230_18:                             ;   in Loop: Header=BB230_4 Depth=2
	s_or_b32 exec_lo, exec_lo, s10
	v_bfe_u32 v0, v30, s14, 1
	v_lshrrev_b32_e32 v1, s14, v30
	; wave barrier
	s_delay_alu instid0(VALU_DEP_2) | instskip(NEXT) | instid1(VALU_DEP_1)
	v_add_co_u32 v0, s10, v0, -1
	v_cndmask_b32_e64 v2, 0, 1, s10
	s_delay_alu instid0(VALU_DEP_3)
	v_lshlrev_b32_e32 v3, 30, v1
	v_lshlrev_b32_e32 v4, 29, v1
	;; [unrolled: 1-line block ×4, first 2 shown]
	v_cmp_ne_u32_e32 vcc_lo, 0, v2
	v_not_b32_e32 v2, v3
	v_cmp_gt_i32_e64 s10, 0, v3
	v_not_b32_e32 v3, v4
	v_lshlrev_b32_e32 v7, 26, v1
	v_xor_b32_e32 v0, vcc_lo, v0
	v_ashrrev_i32_e32 v2, 31, v2
	v_cmp_gt_i32_e32 vcc_lo, 0, v4
	v_not_b32_e32 v4, v5
	v_ashrrev_i32_e32 v3, 31, v3
	v_and_b32_e32 v0, exec_lo, v0
	v_xor_b32_e32 v2, s10, v2
	v_cmp_gt_i32_e64 s10, 0, v5
	v_not_b32_e32 v5, v6
	v_ashrrev_i32_e32 v4, 31, v4
	v_xor_b32_e32 v3, vcc_lo, v3
	v_and_b32_e32 v0, v0, v2
	v_cmp_gt_i32_e32 vcc_lo, 0, v6
	v_not_b32_e32 v2, v7
	v_ashrrev_i32_e32 v5, 31, v5
	v_xor_b32_e32 v4, s10, v4
	v_and_b32_e32 v0, v0, v3
	v_lshlrev_b32_e32 v3, 25, v1
	v_cmp_gt_i32_e64 s10, 0, v7
	v_ashrrev_i32_e32 v2, 31, v2
	v_xor_b32_e32 v5, vcc_lo, v5
	v_and_b32_e32 v0, v0, v4
	v_not_b32_e32 v6, v3
	v_lshlrev_b32_e32 v1, 24, v1
	v_bfe_u32 v4, v30, s14, 8
	v_xor_b32_e32 v2, s10, v2
	v_and_b32_e32 v0, v0, v5
	v_cmp_gt_i32_e32 vcc_lo, 0, v3
	v_ashrrev_i32_e32 v3, 31, v6
	v_not_b32_e32 v5, v1
	v_mul_u32_u24_e32 v4, 10, v4
	v_and_b32_e32 v0, v0, v2
	s_delay_alu instid0(VALU_DEP_4) | instskip(SKIP_3) | instid1(VALU_DEP_4)
	v_xor_b32_e32 v2, vcc_lo, v3
	v_cmp_gt_i32_e32 vcc_lo, 0, v1
	v_ashrrev_i32_e32 v1, 31, v5
	v_add_lshl_u32 v3, v4, v25, 2
	v_and_b32_e32 v0, v0, v2
	s_delay_alu instid0(VALU_DEP_3) | instskip(SKIP_3) | instid1(VALU_DEP_1)
	v_xor_b32_e32 v1, vcc_lo, v1
	ds_load_b32 v57, v3 offset:40
	v_add_nc_u32_e32 v59, 40, v3
	; wave barrier
	v_and_b32_e32 v0, v0, v1
	v_mbcnt_lo_u32_b32 v58, v0, 0
	v_cmp_ne_u32_e64 s10, 0, v0
	s_delay_alu instid0(VALU_DEP_2) | instskip(NEXT) | instid1(VALU_DEP_2)
	v_cmp_eq_u32_e32 vcc_lo, 0, v58
	s_and_b32 s15, s10, vcc_lo
	s_delay_alu instid0(SALU_CYCLE_1)
	s_and_saveexec_b32 s10, s15
	s_cbranch_execz .LBB230_20
; %bb.19:                               ;   in Loop: Header=BB230_4 Depth=2
	s_waitcnt lgkmcnt(0)
	v_bcnt_u32_b32 v0, v0, v57
	ds_store_b32 v59, v0
.LBB230_20:                             ;   in Loop: Header=BB230_4 Depth=2
	s_or_b32 exec_lo, exec_lo, s10
	; wave barrier
	s_waitcnt lgkmcnt(0)
	s_barrier
	buffer_gl0_inv
	ds_load_2addr_b64 v[4:7], v14 offset0:5 offset1:6
	ds_load_2addr_b64 v[0:3], v24 offset0:2 offset1:3
	s_waitcnt lgkmcnt(1)
	v_add_nc_u32_e32 v60, v5, v4
	s_delay_alu instid0(VALU_DEP_1) | instskip(SKIP_1) | instid1(VALU_DEP_1)
	v_add3_u32 v60, v60, v6, v7
	s_waitcnt lgkmcnt(0)
	v_add3_u32 v60, v60, v0, v1
	s_delay_alu instid0(VALU_DEP_1) | instskip(NEXT) | instid1(VALU_DEP_1)
	v_add3_u32 v3, v60, v2, v3
	v_mov_b32_dpp v60, v3 row_shr:1 row_mask:0xf bank_mask:0xf
	s_delay_alu instid0(VALU_DEP_1) | instskip(NEXT) | instid1(VALU_DEP_1)
	v_cndmask_b32_e64 v60, v60, 0, s0
	v_add_nc_u32_e32 v3, v60, v3
	s_delay_alu instid0(VALU_DEP_1) | instskip(NEXT) | instid1(VALU_DEP_1)
	v_mov_b32_dpp v60, v3 row_shr:2 row_mask:0xf bank_mask:0xf
	v_cndmask_b32_e64 v60, 0, v60, s1
	s_delay_alu instid0(VALU_DEP_1) | instskip(NEXT) | instid1(VALU_DEP_1)
	v_add_nc_u32_e32 v3, v3, v60
	v_mov_b32_dpp v60, v3 row_shr:4 row_mask:0xf bank_mask:0xf
	s_delay_alu instid0(VALU_DEP_1) | instskip(NEXT) | instid1(VALU_DEP_1)
	v_cndmask_b32_e64 v60, 0, v60, s2
	v_add_nc_u32_e32 v3, v3, v60
	s_delay_alu instid0(VALU_DEP_1) | instskip(NEXT) | instid1(VALU_DEP_1)
	v_mov_b32_dpp v60, v3 row_shr:8 row_mask:0xf bank_mask:0xf
	v_cndmask_b32_e64 v60, 0, v60, s3
	s_delay_alu instid0(VALU_DEP_1) | instskip(SKIP_3) | instid1(VALU_DEP_1)
	v_add_nc_u32_e32 v3, v3, v60
	ds_swizzle_b32 v60, v3 offset:swizzle(BROADCAST,32,15)
	s_waitcnt lgkmcnt(0)
	v_cndmask_b32_e64 v60, v60, 0, s4
	v_add_nc_u32_e32 v3, v3, v60
	s_and_saveexec_b32 s10, s5
	s_cbranch_execz .LBB230_22
; %bb.21:                               ;   in Loop: Header=BB230_4 Depth=2
	ds_store_b32 v26, v3
.LBB230_22:                             ;   in Loop: Header=BB230_4 Depth=2
	s_or_b32 exec_lo, exec_lo, s10
	s_waitcnt lgkmcnt(0)
	s_barrier
	buffer_gl0_inv
	s_and_saveexec_b32 s10, s6
	s_cbranch_execz .LBB230_24
; %bb.23:                               ;   in Loop: Header=BB230_4 Depth=2
	v_add_nc_u32_e32 v60, v14, v28
	ds_load_b32 v61, v60
	s_waitcnt lgkmcnt(0)
	v_mov_b32_dpp v62, v61 row_shr:1 row_mask:0xf bank_mask:0xf
	s_delay_alu instid0(VALU_DEP_1) | instskip(NEXT) | instid1(VALU_DEP_1)
	v_cndmask_b32_e64 v62, v62, 0, s0
	v_add_nc_u32_e32 v61, v62, v61
	s_delay_alu instid0(VALU_DEP_1) | instskip(NEXT) | instid1(VALU_DEP_1)
	v_mov_b32_dpp v62, v61 row_shr:2 row_mask:0xf bank_mask:0xf
	v_cndmask_b32_e64 v62, 0, v62, s1
	s_delay_alu instid0(VALU_DEP_1) | instskip(NEXT) | instid1(VALU_DEP_1)
	v_add_nc_u32_e32 v61, v61, v62
	v_mov_b32_dpp v62, v61 row_shr:4 row_mask:0xf bank_mask:0xf
	s_delay_alu instid0(VALU_DEP_1) | instskip(NEXT) | instid1(VALU_DEP_1)
	v_cndmask_b32_e64 v62, 0, v62, s2
	v_add_nc_u32_e32 v61, v61, v62
	s_delay_alu instid0(VALU_DEP_1) | instskip(NEXT) | instid1(VALU_DEP_1)
	v_mov_b32_dpp v62, v61 row_shr:8 row_mask:0xf bank_mask:0xf
	v_cndmask_b32_e64 v62, 0, v62, s3
	s_delay_alu instid0(VALU_DEP_1)
	v_add_nc_u32_e32 v61, v61, v62
	ds_store_b32 v60, v61
.LBB230_24:                             ;   in Loop: Header=BB230_4 Depth=2
	s_or_b32 exec_lo, exec_lo, s10
	v_mov_b32_e32 v60, 0
	s_waitcnt lgkmcnt(0)
	s_barrier
	buffer_gl0_inv
	s_and_saveexec_b32 s10, s7
	s_cbranch_execz .LBB230_26
; %bb.25:                               ;   in Loop: Header=BB230_4 Depth=2
	ds_load_b32 v60, v29
.LBB230_26:                             ;   in Loop: Header=BB230_4 Depth=2
	s_or_b32 exec_lo, exec_lo, s10
	s_waitcnt lgkmcnt(0)
	v_add_nc_u32_e32 v3, v60, v3
	s_cmp_gt_u32 s14, 23
	ds_bpermute_b32 v3, v27, v3
	s_waitcnt lgkmcnt(0)
	v_cndmask_b32_e64 v3, v3, v60, s8
	s_delay_alu instid0(VALU_DEP_1) | instskip(NEXT) | instid1(VALU_DEP_1)
	v_cndmask_b32_e64 v3, v3, 0, s9
	v_add_nc_u32_e32 v4, v3, v4
	s_delay_alu instid0(VALU_DEP_1) | instskip(NEXT) | instid1(VALU_DEP_1)
	v_add_nc_u32_e32 v5, v4, v5
	v_add_nc_u32_e32 v6, v5, v6
	s_delay_alu instid0(VALU_DEP_1) | instskip(NEXT) | instid1(VALU_DEP_1)
	v_add_nc_u32_e32 v60, v6, v7
	;; [unrolled: 3-line block ×3, first 2 shown]
	v_add_nc_u32_e32 v1, v0, v2
	ds_store_2addr_b64 v14, v[3:4], v[5:6] offset0:5 offset1:6
	ds_store_2addr_b64 v24, v[60:61], v[0:1] offset0:2 offset1:3
	s_waitcnt lgkmcnt(0)
	s_barrier
	buffer_gl0_inv
	ds_load_b32 v0, v38
	ds_load_b32 v1, v41
	;; [unrolled: 1-line block ×8, first 2 shown]
	s_waitcnt lgkmcnt(7)
	v_add_nc_u32_e32 v47, v0, v37
	s_waitcnt lgkmcnt(6)
	v_add3_u32 v44, v40, v39, v1
	s_waitcnt lgkmcnt(5)
	v_add3_u32 v41, v43, v42, v2
	;; [unrolled: 2-line block ×7, first 2 shown]
	s_cbranch_scc0 .LBB230_3
; %bb.27:                               ;   in Loop: Header=BB230_2 Depth=1
                                        ; implicit-def: $vgpr6
                                        ; implicit-def: $vgpr5
                                        ; implicit-def: $vgpr4
                                        ; implicit-def: $vgpr3
                                        ; implicit-def: $vgpr2
                                        ; implicit-def: $vgpr1
                                        ; implicit-def: $vgpr0
                                        ; implicit-def: $vgpr42
                                        ; implicit-def: $sgpr14
	s_branch .LBB230_1
.LBB230_28:
	v_lshlrev_b32_e32 v0, 2, v9
	s_add_u32 s0, s18, s12
	s_addc_u32 s1, s19, s13
	s_delay_alu instid0(VALU_DEP_1) | instskip(NEXT) | instid1(VALU_DEP_1)
	v_add_co_u32 v11, s2, s0, v0
	v_add_co_ci_u32_e64 v12, null, s1, 0, s2
	s_delay_alu instid0(VALU_DEP_2) | instskip(NEXT) | instid1(VALU_DEP_2)
	v_add_co_u32 v9, vcc_lo, 0x1000, v11
	v_add_co_ci_u32_e32 v10, vcc_lo, 0, v12, vcc_lo
	v_add_co_u32 v11, vcc_lo, 0x2000, v11
	v_add_co_ci_u32_e32 v12, vcc_lo, 0, v12, vcc_lo
	s_clause 0x7
	global_store_b32 v0, v5, s[0:1]
	global_store_b32 v0, v6, s[0:1] offset:1280
	global_store_b32 v0, v7, s[0:1] offset:2560
	;; [unrolled: 1-line block ×3, first 2 shown]
	global_store_b32 v[9:10], v1, off offset:1024
	global_store_b32 v[9:10], v2, off offset:2304
	;; [unrolled: 1-line block ×4, first 2 shown]
	s_nop 0
	s_sendmsg sendmsg(MSG_DEALLOC_VGPRS)
	s_endpgm
	.section	.rodata,"a",@progbits
	.p2align	6, 0x0
	.amdhsa_kernel _Z16sort_keys_kernelI22helper_blocked_stripediLj320ELj8ELj10EEvPKT0_PS1_
		.amdhsa_group_segment_fixed_size 10560
		.amdhsa_private_segment_fixed_size 0
		.amdhsa_kernarg_size 272
		.amdhsa_user_sgpr_count 15
		.amdhsa_user_sgpr_dispatch_ptr 0
		.amdhsa_user_sgpr_queue_ptr 0
		.amdhsa_user_sgpr_kernarg_segment_ptr 1
		.amdhsa_user_sgpr_dispatch_id 0
		.amdhsa_user_sgpr_private_segment_size 0
		.amdhsa_wavefront_size32 1
		.amdhsa_uses_dynamic_stack 0
		.amdhsa_enable_private_segment 0
		.amdhsa_system_sgpr_workgroup_id_x 1
		.amdhsa_system_sgpr_workgroup_id_y 0
		.amdhsa_system_sgpr_workgroup_id_z 0
		.amdhsa_system_sgpr_workgroup_info 0
		.amdhsa_system_vgpr_workitem_id 2
		.amdhsa_next_free_vgpr 63
		.amdhsa_next_free_sgpr 20
		.amdhsa_reserve_vcc 1
		.amdhsa_float_round_mode_32 0
		.amdhsa_float_round_mode_16_64 0
		.amdhsa_float_denorm_mode_32 3
		.amdhsa_float_denorm_mode_16_64 3
		.amdhsa_dx10_clamp 1
		.amdhsa_ieee_mode 1
		.amdhsa_fp16_overflow 0
		.amdhsa_workgroup_processor_mode 1
		.amdhsa_memory_ordered 1
		.amdhsa_forward_progress 0
		.amdhsa_shared_vgpr_count 0
		.amdhsa_exception_fp_ieee_invalid_op 0
		.amdhsa_exception_fp_denorm_src 0
		.amdhsa_exception_fp_ieee_div_zero 0
		.amdhsa_exception_fp_ieee_overflow 0
		.amdhsa_exception_fp_ieee_underflow 0
		.amdhsa_exception_fp_ieee_inexact 0
		.amdhsa_exception_int_div_zero 0
	.end_amdhsa_kernel
	.section	.text._Z16sort_keys_kernelI22helper_blocked_stripediLj320ELj8ELj10EEvPKT0_PS1_,"axG",@progbits,_Z16sort_keys_kernelI22helper_blocked_stripediLj320ELj8ELj10EEvPKT0_PS1_,comdat
.Lfunc_end230:
	.size	_Z16sort_keys_kernelI22helper_blocked_stripediLj320ELj8ELj10EEvPKT0_PS1_, .Lfunc_end230-_Z16sort_keys_kernelI22helper_blocked_stripediLj320ELj8ELj10EEvPKT0_PS1_
                                        ; -- End function
	.section	.AMDGPU.csdata,"",@progbits
; Kernel info:
; codeLenInByte = 4888
; NumSgprs: 22
; NumVgprs: 63
; ScratchSize: 0
; MemoryBound: 0
; FloatMode: 240
; IeeeMode: 1
; LDSByteSize: 10560 bytes/workgroup (compile time only)
; SGPRBlocks: 2
; VGPRBlocks: 7
; NumSGPRsForWavesPerEU: 22
; NumVGPRsForWavesPerEU: 63
; Occupancy: 15
; WaveLimiterHint : 1
; COMPUTE_PGM_RSRC2:SCRATCH_EN: 0
; COMPUTE_PGM_RSRC2:USER_SGPR: 15
; COMPUTE_PGM_RSRC2:TRAP_HANDLER: 0
; COMPUTE_PGM_RSRC2:TGID_X_EN: 1
; COMPUTE_PGM_RSRC2:TGID_Y_EN: 0
; COMPUTE_PGM_RSRC2:TGID_Z_EN: 0
; COMPUTE_PGM_RSRC2:TIDIG_COMP_CNT: 2
	.section	.text._Z17sort_pairs_kernelI22helper_blocked_stripediLj320ELj8ELj10EEvPKT0_PS1_,"axG",@progbits,_Z17sort_pairs_kernelI22helper_blocked_stripediLj320ELj8ELj10EEvPKT0_PS1_,comdat
	.protected	_Z17sort_pairs_kernelI22helper_blocked_stripediLj320ELj8ELj10EEvPKT0_PS1_ ; -- Begin function _Z17sort_pairs_kernelI22helper_blocked_stripediLj320ELj8ELj10EEvPKT0_PS1_
	.globl	_Z17sort_pairs_kernelI22helper_blocked_stripediLj320ELj8ELj10EEvPKT0_PS1_
	.p2align	8
	.type	_Z17sort_pairs_kernelI22helper_blocked_stripediLj320ELj8ELj10EEvPKT0_PS1_,@function
_Z17sort_pairs_kernelI22helper_blocked_stripediLj320ELj8ELj10EEvPKT0_PS1_: ; @_Z17sort_pairs_kernelI22helper_blocked_stripediLj320ELj8ELj10EEvPKT0_PS1_
; %bb.0:
	s_clause 0x1
	s_load_b128 s[16:19], s[0:1], 0x0
	s_load_b32 s9, s[0:1], 0x1c
	s_mov_b32 s11, 0
	s_mul_i32 s10, s15, 0xa00
	v_mbcnt_lo_u32_b32 v12, -1, 0
	s_lshl_b64 s[12:13], s[10:11], 2
	s_mov_b32 s10, s11
	s_delay_alu instid0(SALU_CYCLE_1) | instskip(NEXT) | instid1(VALU_DEP_2)
	v_dual_mov_b32 v10, s10 :: v_dual_and_b32 v9, 0x3ff, v0
	v_dual_mov_b32 v11, s11 :: v_dual_add_nc_u32 v16, -1, v12
	s_mov_b32 s14, s11
	s_delay_alu instid0(VALU_DEP_2)
	v_lshlrev_b32_e32 v22, 5, v9
	s_mov_b32 s15, s11
	v_and_b32_e32 v14, 15, v12
	v_and_b32_e32 v15, 16, v12
	v_cmp_gt_i32_e32 vcc_lo, 0, v16
	v_lshlrev_b32_e32 v17, 3, v9
	v_and_b32_e32 v18, 0x1e0, v9
	v_bfe_u32 v13, v0, 10, 10
	s_waitcnt lgkmcnt(0)
	s_add_u32 s0, s16, s12
	s_addc_u32 s1, s17, s13
	v_bfe_u32 v0, v0, 20, 10
	s_clause 0x1
	global_load_b128 v[5:8], v22, s[0:1]
	global_load_b128 v[1:4], v22, s[0:1] offset:16
	v_cmp_eq_u32_e64 s1, 0, v14
	v_cmp_lt_u32_e64 s2, 1, v14
	v_cmp_lt_u32_e64 s3, 3, v14
	;; [unrolled: 1-line block ×3, first 2 shown]
	v_cndmask_b32_e32 v14, v16, v12, vcc_lo
	v_cmp_eq_u32_e64 s5, 0, v15
	v_lshrrev_b32_e32 v15, 3, v9
	v_and_b32_e32 v17, 0xf00, v17
	s_lshr_b32 s10, s9, 16
	v_or_b32_e32 v16, v12, v18
	v_cmp_eq_u32_e64 s0, 0, v12
	v_and_b32_e32 v26, 60, v15
	v_or_b32_e32 v15, v12, v17
	v_lshrrev_b32_e32 v12, 5, v17
	v_mad_u32_u24 v0, v0, s10, v13
	s_and_b32 s16, s9, 0xffff
	v_min_u32_e32 v18, 0x120, v18
	v_lshlrev_b32_e32 v25, 2, v14
	v_and_b32_e32 v14, 0x1fc, v16
	v_or_b32_e32 v19, 32, v17
	v_or_b32_e32 v20, 64, v17
	;; [unrolled: 1-line block ×7, first 2 shown]
	v_add_lshl_u32 v29, v12, v15, 2
	v_mad_u64_u32 v[12:13], null, v0, s16, v[9:10]
	v_or_b32_e32 v18, 31, v18
	v_lshl_add_u32 v28, v16, 5, v14
	v_lshrrev_b32_e32 v14, 5, v19
	v_lshrrev_b32_e32 v16, 5, v20
	;; [unrolled: 1-line block ×8, first 2 shown]
	v_mov_b32_e32 v12, s14
	v_cmp_gt_u32_e64 s6, 10, v9
	v_cmp_lt_u32_e64 s7, 31, v9
	v_cmp_eq_u32_e64 s8, 0, v9
	v_mul_i32_i24_e32 v23, 0xffffffe4, v9
	v_add_nc_u32_e32 v24, 40, v22
	v_add_nc_u32_e32 v27, -4, v26
	v_cmp_eq_u32_e64 s9, v18, v9
	v_add_lshl_u32 v30, v14, v15, 2
	v_add_lshl_u32 v31, v16, v15, 2
	;; [unrolled: 1-line block ×7, first 2 shown]
	s_waitcnt vmcnt(1)
	v_dual_mov_b32 v13, s15 :: v_dual_add_nc_u32 v16, 1, v5
	v_add_nc_u32_e32 v17, 1, v6
	v_add_nc_u32_e32 v18, 1, v7
	;; [unrolled: 1-line block ×3, first 2 shown]
	s_waitcnt vmcnt(0)
	v_add_nc_u32_e32 v20, 1, v1
	v_add_nc_u32_e32 v21, 1, v2
	;; [unrolled: 1-line block ×4, first 2 shown]
	s_branch .LBB231_2
.LBB231_1:                              ;   in Loop: Header=BB231_2 Depth=1
	v_lshlrev_b32_e32 v4, 2, v61
	v_lshlrev_b32_e32 v5, 2, v58
	s_barrier
	v_lshlrev_b32_e32 v6, 2, v55
	buffer_gl0_inv
	ds_store_b32 v4, v15
	ds_store_b32 v5, v44
	v_lshlrev_b32_e32 v7, 2, v52
	v_lshlrev_b32_e32 v15, 2, v51
	;; [unrolled: 1-line block ×4, first 2 shown]
	ds_store_b32 v6, v43
	ds_store_b32 v7, v42
	v_lshlrev_b32_e32 v48, 2, v48
	ds_store_b32 v15, v17
	ds_store_b32 v46, v16
	;; [unrolled: 1-line block ×3, first 2 shown]
	v_add_nc_u32_e32 v14, v22, v23
	s_add_i32 s11, s11, 1
	ds_store_b32 v48, v8
	s_waitcnt lgkmcnt(0)
	s_barrier
	buffer_gl0_inv
	ds_load_2addr_stride64_b32 v[0:1], v14 offset1:5
	ds_load_2addr_stride64_b32 v[2:3], v14 offset0:10 offset1:15
	ds_load_2addr_stride64_b32 v[42:43], v14 offset0:20 offset1:25
	;; [unrolled: 1-line block ×3, first 2 shown]
	s_waitcnt lgkmcnt(0)
	s_barrier
	buffer_gl0_inv
	ds_store_b32 v4, v41
	ds_store_b32 v5, v40
	;; [unrolled: 1-line block ×8, first 2 shown]
	s_waitcnt lgkmcnt(0)
	s_barrier
	buffer_gl0_inv
	ds_load_2addr_stride64_b32 v[16:17], v14 offset1:5
	ds_load_2addr_stride64_b32 v[18:19], v14 offset0:10 offset1:15
	ds_load_2addr_stride64_b32 v[20:21], v14 offset0:20 offset1:25
	ds_load_2addr_stride64_b32 v[14:15], v14 offset0:30 offset1:35
	s_cmp_eq_u32 s11, 10
	v_xor_b32_e32 v5, 0x80000000, v0
	v_xor_b32_e32 v6, 0x80000000, v1
	;; [unrolled: 1-line block ×8, first 2 shown]
	s_cbranch_scc1 .LBB231_28
.LBB231_2:                              ; =>This Loop Header: Depth=1
                                        ;     Child Loop BB231_4 Depth 2
	v_xor_b32_e32 v0, 0x80000000, v5
	v_xor_b32_e32 v5, 0x80000000, v6
	;; [unrolled: 1-line block ×8, first 2 shown]
	ds_store_2addr_b32 v28, v0, v5 offset1:1
	ds_store_2addr_b32 v28, v6, v7 offset0:2 offset1:3
	ds_store_2addr_b32 v28, v1, v2 offset0:4 offset1:5
	;; [unrolled: 1-line block ×3, first 2 shown]
	; wave barrier
	ds_load_b32 v56, v29
	ds_load_b32 v0, v30 offset:128
	ds_load_b32 v1, v31 offset:256
	;; [unrolled: 1-line block ×7, first 2 shown]
	; wave barrier
	s_waitcnt lgkmcnt(15)
	ds_store_2addr_b32 v28, v16, v17 offset1:1
	s_waitcnt lgkmcnt(15)
	ds_store_2addr_b32 v28, v18, v19 offset0:2 offset1:3
	s_waitcnt lgkmcnt(15)
	ds_store_2addr_b32 v28, v20, v21 offset0:4 offset1:5
	;; [unrolled: 2-line block ×3, first 2 shown]
	; wave barrier
	ds_load_b32 v3, v29
	ds_load_b32 v4, v30 offset:128
	ds_load_b32 v5, v31 offset:256
	ds_load_b32 v6, v32 offset:384
	ds_load_b32 v7, v33 offset:512
	ds_load_b32 v45, v34 offset:640
	ds_load_b32 v46, v35 offset:768
	ds_load_b32 v47, v36 offset:896
	s_mov_b32 s14, 0
	s_waitcnt lgkmcnt(0)
	s_barrier
	s_branch .LBB231_4
.LBB231_3:                              ;   in Loop: Header=BB231_4 Depth=2
	v_lshrrev_b32_e32 v0, 3, v61
	v_lshrrev_b32_e32 v1, 3, v58
	;; [unrolled: 1-line block ×5, first 2 shown]
	v_and_b32_e32 v0, 0x1ffffffc, v0
	v_and_b32_e32 v1, 0x1ffffffc, v1
	;; [unrolled: 1-line block ×5, first 2 shown]
	v_lshl_add_u32 v3, v61, 2, v0
	v_lshrrev_b32_e32 v0, 3, v52
	v_lshl_add_u32 v4, v58, 2, v1
	v_lshrrev_b32_e32 v1, 3, v51
	;; [unrolled: 2-line block ×3, first 2 shown]
	v_and_b32_e32 v0, 0x1ffffffc, v0
	v_lshl_add_u32 v6, v49, 2, v6
	v_and_b32_e32 v1, 0x1ffffffc, v1
	v_lshl_add_u32 v7, v48, 2, v7
	;; [unrolled: 2-line block ×3, first 2 shown]
	s_delay_alu instid0(VALU_DEP_4) | instskip(SKIP_1) | instid1(VALU_DEP_3)
	v_lshl_add_u32 v46, v51, 2, v1
	s_barrier
	v_lshl_add_u32 v47, v50, 2, v2
	buffer_gl0_inv
	ds_store_b32 v3, v15
	ds_store_b32 v4, v44
	;; [unrolled: 1-line block ×8, first 2 shown]
	s_waitcnt lgkmcnt(0)
	s_barrier
	buffer_gl0_inv
	ds_load_b32 v56, v29
	ds_load_b32 v0, v30 offset:128
	ds_load_b32 v1, v31 offset:256
	;; [unrolled: 1-line block ×7, first 2 shown]
	s_waitcnt lgkmcnt(0)
	s_barrier
	buffer_gl0_inv
	ds_store_b32 v3, v41
	ds_store_b32 v4, v40
	;; [unrolled: 1-line block ×8, first 2 shown]
	s_waitcnt lgkmcnt(0)
	s_barrier
	buffer_gl0_inv
	ds_load_b32 v3, v29
	ds_load_b32 v4, v30 offset:128
	ds_load_b32 v5, v31 offset:256
	;; [unrolled: 1-line block ×7, first 2 shown]
	s_add_i32 s14, s14, 8
	s_waitcnt lgkmcnt(0)
	s_barrier
	s_cbranch_execz .LBB231_1
.LBB231_4:                              ;   Parent Loop BB231_2 Depth=1
                                        ; =>  This Inner Loop Header: Depth=2
	v_dual_mov_b32 v15, v56 :: v_dual_mov_b32 v8, v59
	v_dual_mov_b32 v16, v54 :: v_dual_mov_b32 v17, v53
	buffer_gl0_inv
	v_bfe_u32 v18, v15, s14, 1
	v_lshrrev_b32_e32 v19, s14, v15
	v_mov_b32_e32 v14, v57
	ds_store_2addr_b64 v22, v[10:11], v[12:13] offset0:5 offset1:6
	ds_store_2addr_b64 v24, v[10:11], v[12:13] offset0:2 offset1:3
	s_waitcnt lgkmcnt(0)
	v_add_co_u32 v18, s10, v18, -1
	v_lshlrev_b32_e32 v21, 30, v19
	v_cndmask_b32_e64 v20, 0, 1, s10
	v_dual_mov_b32 v43, v1 :: v_dual_lshlrev_b32 v38, 29, v19
	v_dual_mov_b32 v42, v2 :: v_dual_lshlrev_b32 v39, 28, v19
	s_delay_alu instid0(VALU_DEP_3)
	v_cmp_ne_u32_e32 vcc_lo, 0, v20
	v_not_b32_e32 v20, v21
	v_cmp_gt_i32_e64 s10, 0, v21
	v_not_b32_e32 v21, v38
	v_lshlrev_b32_e32 v40, 27, v19
	v_xor_b32_e32 v18, vcc_lo, v18
	v_ashrrev_i32_e32 v20, 31, v20
	v_cmp_gt_i32_e32 vcc_lo, 0, v38
	v_not_b32_e32 v38, v39
	v_ashrrev_i32_e32 v21, 31, v21
	v_and_b32_e32 v18, exec_lo, v18
	v_xor_b32_e32 v20, s10, v20
	v_dual_mov_b32 v44, v0 :: v_dual_lshlrev_b32 v41, 26, v19
	v_cmp_gt_i32_e64 s10, 0, v39
	v_not_b32_e32 v39, v40
	v_ashrrev_i32_e32 v38, 31, v38
	v_xor_b32_e32 v21, vcc_lo, v21
	v_and_b32_e32 v18, v18, v20
	v_cmp_gt_i32_e32 vcc_lo, 0, v40
	v_not_b32_e32 v20, v41
	v_ashrrev_i32_e32 v39, 31, v39
	v_xor_b32_e32 v38, s10, v38
	v_and_b32_e32 v18, v18, v21
	v_cmp_gt_i32_e64 s10, 0, v41
	v_mov_b32_e32 v41, v3
	v_ashrrev_i32_e32 v20, 31, v20
	v_xor_b32_e32 v39, vcc_lo, v39
	v_and_b32_e32 v18, v18, v38
	v_lshlrev_b32_e32 v21, 25, v19
	v_lshlrev_b32_e32 v19, 24, v19
	v_xor_b32_e32 v20, s10, v20
	s_barrier
	v_and_b32_e32 v18, v18, v39
	v_dual_mov_b32 v40, v4 :: v_dual_mov_b32 v39, v5
	buffer_gl0_inv
	v_dual_mov_b32 v18, v47 :: v_dual_and_b32 v1, v18, v20
	v_not_b32_e32 v38, v21
	v_cmp_gt_i32_e32 vcc_lo, 0, v21
	; wave barrier
	s_delay_alu instid0(VALU_DEP_2) | instskip(SKIP_1) | instid1(VALU_DEP_2)
	v_ashrrev_i32_e32 v21, 31, v38
	v_mov_b32_e32 v38, v6
	v_xor_b32_e32 v20, vcc_lo, v21
	s_delay_alu instid0(VALU_DEP_1) | instskip(SKIP_4) | instid1(VALU_DEP_3)
	v_dual_mov_b32 v21, v7 :: v_dual_and_b32 v0, v1, v20
	v_mov_b32_e32 v20, v45
	v_not_b32_e32 v2, v19
	v_cmp_gt_i32_e32 vcc_lo, 0, v19
	v_mov_b32_e32 v19, v46
	v_ashrrev_i32_e32 v2, 31, v2
	s_delay_alu instid0(VALU_DEP_1) | instskip(NEXT) | instid1(VALU_DEP_1)
	v_xor_b32_e32 v1, vcc_lo, v2
	v_and_b32_e32 v0, v0, v1
	v_bfe_u32 v1, v15, s14, 8
	s_delay_alu instid0(VALU_DEP_2) | instskip(NEXT) | instid1(VALU_DEP_2)
	v_mbcnt_lo_u32_b32 v45, v0, 0
	v_mad_u32_u24 v1, v1, 10, v37
	v_cmp_ne_u32_e64 s10, 0, v0
	s_delay_alu instid0(VALU_DEP_3) | instskip(NEXT) | instid1(VALU_DEP_3)
	v_cmp_eq_u32_e32 vcc_lo, 0, v45
	v_lshl_add_u32 v46, v1, 2, 40
	s_delay_alu instid0(VALU_DEP_3) | instskip(NEXT) | instid1(SALU_CYCLE_1)
	s_and_b32 s15, s10, vcc_lo
	s_and_saveexec_b32 s10, s15
	s_cbranch_execz .LBB231_6
; %bb.5:                                ;   in Loop: Header=BB231_4 Depth=2
	v_bcnt_u32_b32 v0, v0, 0
	ds_store_b32 v46, v0
.LBB231_6:                              ;   in Loop: Header=BB231_4 Depth=2
	s_or_b32 exec_lo, exec_lo, s10
	v_bfe_u32 v0, v44, s14, 1
	v_lshrrev_b32_e32 v1, s14, v44
	; wave barrier
	s_delay_alu instid0(VALU_DEP_2) | instskip(NEXT) | instid1(VALU_DEP_1)
	v_add_co_u32 v0, s10, v0, -1
	v_cndmask_b32_e64 v2, 0, 1, s10
	s_delay_alu instid0(VALU_DEP_3)
	v_lshlrev_b32_e32 v3, 30, v1
	v_lshlrev_b32_e32 v4, 29, v1
	;; [unrolled: 1-line block ×4, first 2 shown]
	v_cmp_ne_u32_e32 vcc_lo, 0, v2
	v_not_b32_e32 v2, v3
	v_cmp_gt_i32_e64 s10, 0, v3
	v_not_b32_e32 v3, v4
	v_lshlrev_b32_e32 v7, 26, v1
	v_xor_b32_e32 v0, vcc_lo, v0
	v_ashrrev_i32_e32 v2, 31, v2
	v_cmp_gt_i32_e32 vcc_lo, 0, v4
	v_not_b32_e32 v4, v5
	v_ashrrev_i32_e32 v3, 31, v3
	v_and_b32_e32 v0, exec_lo, v0
	v_xor_b32_e32 v2, s10, v2
	v_cmp_gt_i32_e64 s10, 0, v5
	v_not_b32_e32 v5, v6
	v_ashrrev_i32_e32 v4, 31, v4
	v_xor_b32_e32 v3, vcc_lo, v3
	v_and_b32_e32 v0, v0, v2
	v_cmp_gt_i32_e32 vcc_lo, 0, v6
	v_not_b32_e32 v2, v7
	v_ashrrev_i32_e32 v5, 31, v5
	v_xor_b32_e32 v4, s10, v4
	v_and_b32_e32 v0, v0, v3
	v_lshlrev_b32_e32 v3, 25, v1
	v_cmp_gt_i32_e64 s10, 0, v7
	v_ashrrev_i32_e32 v2, 31, v2
	v_xor_b32_e32 v5, vcc_lo, v5
	v_and_b32_e32 v0, v0, v4
	v_not_b32_e32 v6, v3
	v_lshlrev_b32_e32 v1, 24, v1
	v_bfe_u32 v4, v44, s14, 8
	v_xor_b32_e32 v2, s10, v2
	v_and_b32_e32 v0, v0, v5
	v_cmp_gt_i32_e32 vcc_lo, 0, v3
	v_ashrrev_i32_e32 v3, 31, v6
	v_not_b32_e32 v5, v1
	v_mul_u32_u24_e32 v4, 10, v4
	v_and_b32_e32 v0, v0, v2
	s_delay_alu instid0(VALU_DEP_4) | instskip(SKIP_3) | instid1(VALU_DEP_4)
	v_xor_b32_e32 v2, vcc_lo, v3
	v_cmp_gt_i32_e32 vcc_lo, 0, v1
	v_ashrrev_i32_e32 v1, 31, v5
	v_add_lshl_u32 v3, v4, v37, 2
	v_and_b32_e32 v0, v0, v2
	s_delay_alu instid0(VALU_DEP_3) | instskip(SKIP_3) | instid1(VALU_DEP_1)
	v_xor_b32_e32 v1, vcc_lo, v1
	ds_load_b32 v47, v3 offset:40
	v_add_nc_u32_e32 v49, 40, v3
	; wave barrier
	v_and_b32_e32 v0, v0, v1
	v_mbcnt_lo_u32_b32 v48, v0, 0
	v_cmp_ne_u32_e64 s10, 0, v0
	s_delay_alu instid0(VALU_DEP_2) | instskip(NEXT) | instid1(VALU_DEP_2)
	v_cmp_eq_u32_e32 vcc_lo, 0, v48
	s_and_b32 s15, s10, vcc_lo
	s_delay_alu instid0(SALU_CYCLE_1)
	s_and_saveexec_b32 s10, s15
	s_cbranch_execz .LBB231_8
; %bb.7:                                ;   in Loop: Header=BB231_4 Depth=2
	s_waitcnt lgkmcnt(0)
	v_bcnt_u32_b32 v0, v0, v47
	ds_store_b32 v49, v0
.LBB231_8:                              ;   in Loop: Header=BB231_4 Depth=2
	s_or_b32 exec_lo, exec_lo, s10
	v_bfe_u32 v0, v43, s14, 1
	v_lshrrev_b32_e32 v1, s14, v43
	; wave barrier
	s_delay_alu instid0(VALU_DEP_2) | instskip(NEXT) | instid1(VALU_DEP_1)
	v_add_co_u32 v0, s10, v0, -1
	v_cndmask_b32_e64 v2, 0, 1, s10
	s_delay_alu instid0(VALU_DEP_3)
	v_lshlrev_b32_e32 v3, 30, v1
	v_lshlrev_b32_e32 v4, 29, v1
	;; [unrolled: 1-line block ×4, first 2 shown]
	v_cmp_ne_u32_e32 vcc_lo, 0, v2
	v_not_b32_e32 v2, v3
	v_cmp_gt_i32_e64 s10, 0, v3
	v_not_b32_e32 v3, v4
	v_lshlrev_b32_e32 v7, 26, v1
	v_xor_b32_e32 v0, vcc_lo, v0
	v_ashrrev_i32_e32 v2, 31, v2
	v_cmp_gt_i32_e32 vcc_lo, 0, v4
	v_not_b32_e32 v4, v5
	v_ashrrev_i32_e32 v3, 31, v3
	v_and_b32_e32 v0, exec_lo, v0
	v_xor_b32_e32 v2, s10, v2
	v_cmp_gt_i32_e64 s10, 0, v5
	v_not_b32_e32 v5, v6
	v_ashrrev_i32_e32 v4, 31, v4
	v_xor_b32_e32 v3, vcc_lo, v3
	v_and_b32_e32 v0, v0, v2
	v_cmp_gt_i32_e32 vcc_lo, 0, v6
	v_not_b32_e32 v2, v7
	v_ashrrev_i32_e32 v5, 31, v5
	v_xor_b32_e32 v4, s10, v4
	v_and_b32_e32 v0, v0, v3
	v_lshlrev_b32_e32 v3, 25, v1
	v_cmp_gt_i32_e64 s10, 0, v7
	v_ashrrev_i32_e32 v2, 31, v2
	v_xor_b32_e32 v5, vcc_lo, v5
	v_and_b32_e32 v0, v0, v4
	v_not_b32_e32 v6, v3
	v_lshlrev_b32_e32 v1, 24, v1
	v_bfe_u32 v4, v43, s14, 8
	v_xor_b32_e32 v2, s10, v2
	v_and_b32_e32 v0, v0, v5
	v_cmp_gt_i32_e32 vcc_lo, 0, v3
	v_ashrrev_i32_e32 v3, 31, v6
	v_not_b32_e32 v5, v1
	v_mul_u32_u24_e32 v4, 10, v4
	v_and_b32_e32 v0, v0, v2
	s_delay_alu instid0(VALU_DEP_4) | instskip(SKIP_3) | instid1(VALU_DEP_4)
	v_xor_b32_e32 v2, vcc_lo, v3
	v_cmp_gt_i32_e32 vcc_lo, 0, v1
	v_ashrrev_i32_e32 v1, 31, v5
	v_add_lshl_u32 v3, v4, v37, 2
	v_and_b32_e32 v0, v0, v2
	s_delay_alu instid0(VALU_DEP_3) | instskip(SKIP_3) | instid1(VALU_DEP_1)
	v_xor_b32_e32 v1, vcc_lo, v1
	ds_load_b32 v50, v3 offset:40
	v_add_nc_u32_e32 v52, 40, v3
	; wave barrier
	v_and_b32_e32 v0, v0, v1
	v_mbcnt_lo_u32_b32 v51, v0, 0
	v_cmp_ne_u32_e64 s10, 0, v0
	s_delay_alu instid0(VALU_DEP_2) | instskip(NEXT) | instid1(VALU_DEP_2)
	v_cmp_eq_u32_e32 vcc_lo, 0, v51
	s_and_b32 s15, s10, vcc_lo
	s_delay_alu instid0(SALU_CYCLE_1)
	s_and_saveexec_b32 s10, s15
	s_cbranch_execz .LBB231_10
; %bb.9:                                ;   in Loop: Header=BB231_4 Depth=2
	s_waitcnt lgkmcnt(0)
	v_bcnt_u32_b32 v0, v0, v50
	ds_store_b32 v52, v0
.LBB231_10:                             ;   in Loop: Header=BB231_4 Depth=2
	s_or_b32 exec_lo, exec_lo, s10
	v_bfe_u32 v0, v42, s14, 1
	v_lshrrev_b32_e32 v1, s14, v42
	; wave barrier
	s_delay_alu instid0(VALU_DEP_2) | instskip(NEXT) | instid1(VALU_DEP_1)
	v_add_co_u32 v0, s10, v0, -1
	v_cndmask_b32_e64 v2, 0, 1, s10
	s_delay_alu instid0(VALU_DEP_3)
	v_lshlrev_b32_e32 v3, 30, v1
	v_lshlrev_b32_e32 v4, 29, v1
	;; [unrolled: 1-line block ×4, first 2 shown]
	v_cmp_ne_u32_e32 vcc_lo, 0, v2
	v_not_b32_e32 v2, v3
	v_cmp_gt_i32_e64 s10, 0, v3
	v_not_b32_e32 v3, v4
	v_lshlrev_b32_e32 v7, 26, v1
	v_xor_b32_e32 v0, vcc_lo, v0
	v_ashrrev_i32_e32 v2, 31, v2
	v_cmp_gt_i32_e32 vcc_lo, 0, v4
	v_not_b32_e32 v4, v5
	v_ashrrev_i32_e32 v3, 31, v3
	v_and_b32_e32 v0, exec_lo, v0
	v_xor_b32_e32 v2, s10, v2
	v_cmp_gt_i32_e64 s10, 0, v5
	v_not_b32_e32 v5, v6
	v_ashrrev_i32_e32 v4, 31, v4
	v_xor_b32_e32 v3, vcc_lo, v3
	v_and_b32_e32 v0, v0, v2
	v_cmp_gt_i32_e32 vcc_lo, 0, v6
	v_not_b32_e32 v2, v7
	v_ashrrev_i32_e32 v5, 31, v5
	v_xor_b32_e32 v4, s10, v4
	v_and_b32_e32 v0, v0, v3
	v_lshlrev_b32_e32 v3, 25, v1
	v_cmp_gt_i32_e64 s10, 0, v7
	v_ashrrev_i32_e32 v2, 31, v2
	v_xor_b32_e32 v5, vcc_lo, v5
	v_and_b32_e32 v0, v0, v4
	v_not_b32_e32 v6, v3
	v_lshlrev_b32_e32 v1, 24, v1
	v_bfe_u32 v4, v42, s14, 8
	v_xor_b32_e32 v2, s10, v2
	v_and_b32_e32 v0, v0, v5
	v_cmp_gt_i32_e32 vcc_lo, 0, v3
	v_ashrrev_i32_e32 v3, 31, v6
	v_not_b32_e32 v5, v1
	v_mul_u32_u24_e32 v4, 10, v4
	v_and_b32_e32 v0, v0, v2
	s_delay_alu instid0(VALU_DEP_4) | instskip(SKIP_3) | instid1(VALU_DEP_4)
	v_xor_b32_e32 v2, vcc_lo, v3
	v_cmp_gt_i32_e32 vcc_lo, 0, v1
	v_ashrrev_i32_e32 v1, 31, v5
	v_add_lshl_u32 v3, v4, v37, 2
	v_and_b32_e32 v0, v0, v2
	s_delay_alu instid0(VALU_DEP_3) | instskip(SKIP_3) | instid1(VALU_DEP_1)
	v_xor_b32_e32 v1, vcc_lo, v1
	ds_load_b32 v53, v3 offset:40
	v_add_nc_u32_e32 v55, 40, v3
	; wave barrier
	v_and_b32_e32 v0, v0, v1
	v_mbcnt_lo_u32_b32 v54, v0, 0
	v_cmp_ne_u32_e64 s10, 0, v0
	s_delay_alu instid0(VALU_DEP_2) | instskip(NEXT) | instid1(VALU_DEP_2)
	v_cmp_eq_u32_e32 vcc_lo, 0, v54
	s_and_b32 s15, s10, vcc_lo
	s_delay_alu instid0(SALU_CYCLE_1)
	s_and_saveexec_b32 s10, s15
	s_cbranch_execz .LBB231_12
; %bb.11:                               ;   in Loop: Header=BB231_4 Depth=2
	s_waitcnt lgkmcnt(0)
	v_bcnt_u32_b32 v0, v0, v53
	ds_store_b32 v55, v0
.LBB231_12:                             ;   in Loop: Header=BB231_4 Depth=2
	s_or_b32 exec_lo, exec_lo, s10
	v_bfe_u32 v0, v17, s14, 1
	v_lshrrev_b32_e32 v1, s14, v17
	; wave barrier
	s_delay_alu instid0(VALU_DEP_2) | instskip(NEXT) | instid1(VALU_DEP_1)
	v_add_co_u32 v0, s10, v0, -1
	v_cndmask_b32_e64 v2, 0, 1, s10
	s_delay_alu instid0(VALU_DEP_3)
	v_lshlrev_b32_e32 v3, 30, v1
	v_lshlrev_b32_e32 v4, 29, v1
	;; [unrolled: 1-line block ×4, first 2 shown]
	v_cmp_ne_u32_e32 vcc_lo, 0, v2
	v_not_b32_e32 v2, v3
	v_cmp_gt_i32_e64 s10, 0, v3
	v_not_b32_e32 v3, v4
	v_lshlrev_b32_e32 v7, 26, v1
	v_xor_b32_e32 v0, vcc_lo, v0
	v_ashrrev_i32_e32 v2, 31, v2
	v_cmp_gt_i32_e32 vcc_lo, 0, v4
	v_not_b32_e32 v4, v5
	v_ashrrev_i32_e32 v3, 31, v3
	v_and_b32_e32 v0, exec_lo, v0
	v_xor_b32_e32 v2, s10, v2
	v_cmp_gt_i32_e64 s10, 0, v5
	v_not_b32_e32 v5, v6
	v_ashrrev_i32_e32 v4, 31, v4
	v_xor_b32_e32 v3, vcc_lo, v3
	v_and_b32_e32 v0, v0, v2
	v_cmp_gt_i32_e32 vcc_lo, 0, v6
	v_not_b32_e32 v2, v7
	v_ashrrev_i32_e32 v5, 31, v5
	v_xor_b32_e32 v4, s10, v4
	v_and_b32_e32 v0, v0, v3
	v_lshlrev_b32_e32 v3, 25, v1
	v_cmp_gt_i32_e64 s10, 0, v7
	v_ashrrev_i32_e32 v2, 31, v2
	v_xor_b32_e32 v5, vcc_lo, v5
	v_and_b32_e32 v0, v0, v4
	v_not_b32_e32 v6, v3
	v_lshlrev_b32_e32 v1, 24, v1
	v_bfe_u32 v4, v17, s14, 8
	v_xor_b32_e32 v2, s10, v2
	v_and_b32_e32 v0, v0, v5
	v_cmp_gt_i32_e32 vcc_lo, 0, v3
	v_ashrrev_i32_e32 v3, 31, v6
	v_not_b32_e32 v5, v1
	v_mul_u32_u24_e32 v4, 10, v4
	v_and_b32_e32 v0, v0, v2
	s_delay_alu instid0(VALU_DEP_4) | instskip(SKIP_3) | instid1(VALU_DEP_4)
	v_xor_b32_e32 v2, vcc_lo, v3
	v_cmp_gt_i32_e32 vcc_lo, 0, v1
	v_ashrrev_i32_e32 v1, 31, v5
	v_add_lshl_u32 v3, v4, v37, 2
	v_and_b32_e32 v0, v0, v2
	s_delay_alu instid0(VALU_DEP_3) | instskip(SKIP_3) | instid1(VALU_DEP_1)
	v_xor_b32_e32 v1, vcc_lo, v1
	ds_load_b32 v56, v3 offset:40
	v_add_nc_u32_e32 v58, 40, v3
	; wave barrier
	v_and_b32_e32 v0, v0, v1
	v_mbcnt_lo_u32_b32 v57, v0, 0
	v_cmp_ne_u32_e64 s10, 0, v0
	s_delay_alu instid0(VALU_DEP_2) | instskip(NEXT) | instid1(VALU_DEP_2)
	v_cmp_eq_u32_e32 vcc_lo, 0, v57
	s_and_b32 s15, s10, vcc_lo
	s_delay_alu instid0(SALU_CYCLE_1)
	s_and_saveexec_b32 s10, s15
	s_cbranch_execz .LBB231_14
; %bb.13:                               ;   in Loop: Header=BB231_4 Depth=2
	s_waitcnt lgkmcnt(0)
	v_bcnt_u32_b32 v0, v0, v56
	ds_store_b32 v58, v0
.LBB231_14:                             ;   in Loop: Header=BB231_4 Depth=2
	s_or_b32 exec_lo, exec_lo, s10
	v_bfe_u32 v0, v16, s14, 1
	v_lshrrev_b32_e32 v1, s14, v16
	; wave barrier
	s_delay_alu instid0(VALU_DEP_2) | instskip(NEXT) | instid1(VALU_DEP_1)
	v_add_co_u32 v0, s10, v0, -1
	v_cndmask_b32_e64 v2, 0, 1, s10
	s_delay_alu instid0(VALU_DEP_3)
	v_lshlrev_b32_e32 v3, 30, v1
	v_lshlrev_b32_e32 v4, 29, v1
	;; [unrolled: 1-line block ×4, first 2 shown]
	v_cmp_ne_u32_e32 vcc_lo, 0, v2
	v_not_b32_e32 v2, v3
	v_cmp_gt_i32_e64 s10, 0, v3
	v_not_b32_e32 v3, v4
	v_lshlrev_b32_e32 v7, 26, v1
	v_xor_b32_e32 v0, vcc_lo, v0
	v_ashrrev_i32_e32 v2, 31, v2
	v_cmp_gt_i32_e32 vcc_lo, 0, v4
	v_not_b32_e32 v4, v5
	v_ashrrev_i32_e32 v3, 31, v3
	v_and_b32_e32 v0, exec_lo, v0
	v_xor_b32_e32 v2, s10, v2
	v_cmp_gt_i32_e64 s10, 0, v5
	v_not_b32_e32 v5, v6
	v_ashrrev_i32_e32 v4, 31, v4
	v_xor_b32_e32 v3, vcc_lo, v3
	v_and_b32_e32 v0, v0, v2
	v_cmp_gt_i32_e32 vcc_lo, 0, v6
	v_not_b32_e32 v2, v7
	v_ashrrev_i32_e32 v5, 31, v5
	v_xor_b32_e32 v4, s10, v4
	v_and_b32_e32 v0, v0, v3
	v_lshlrev_b32_e32 v3, 25, v1
	v_cmp_gt_i32_e64 s10, 0, v7
	v_ashrrev_i32_e32 v2, 31, v2
	v_xor_b32_e32 v5, vcc_lo, v5
	v_and_b32_e32 v0, v0, v4
	v_not_b32_e32 v6, v3
	v_lshlrev_b32_e32 v1, 24, v1
	v_bfe_u32 v4, v16, s14, 8
	v_xor_b32_e32 v2, s10, v2
	v_and_b32_e32 v0, v0, v5
	v_cmp_gt_i32_e32 vcc_lo, 0, v3
	v_ashrrev_i32_e32 v3, 31, v6
	v_not_b32_e32 v5, v1
	v_mul_u32_u24_e32 v4, 10, v4
	v_and_b32_e32 v0, v0, v2
	s_delay_alu instid0(VALU_DEP_4) | instskip(SKIP_3) | instid1(VALU_DEP_4)
	v_xor_b32_e32 v2, vcc_lo, v3
	v_cmp_gt_i32_e32 vcc_lo, 0, v1
	v_ashrrev_i32_e32 v1, 31, v5
	v_add_lshl_u32 v3, v4, v37, 2
	v_and_b32_e32 v0, v0, v2
	s_delay_alu instid0(VALU_DEP_3) | instskip(SKIP_3) | instid1(VALU_DEP_1)
	v_xor_b32_e32 v1, vcc_lo, v1
	ds_load_b32 v59, v3 offset:40
	v_add_nc_u32_e32 v61, 40, v3
	; wave barrier
	v_and_b32_e32 v0, v0, v1
	v_mbcnt_lo_u32_b32 v60, v0, 0
	v_cmp_ne_u32_e64 s10, 0, v0
	s_delay_alu instid0(VALU_DEP_2) | instskip(NEXT) | instid1(VALU_DEP_2)
	v_cmp_eq_u32_e32 vcc_lo, 0, v60
	s_and_b32 s15, s10, vcc_lo
	s_delay_alu instid0(SALU_CYCLE_1)
	s_and_saveexec_b32 s10, s15
	s_cbranch_execz .LBB231_16
; %bb.15:                               ;   in Loop: Header=BB231_4 Depth=2
	s_waitcnt lgkmcnt(0)
	v_bcnt_u32_b32 v0, v0, v59
	ds_store_b32 v61, v0
.LBB231_16:                             ;   in Loop: Header=BB231_4 Depth=2
	s_or_b32 exec_lo, exec_lo, s10
	v_bfe_u32 v0, v14, s14, 1
	v_lshrrev_b32_e32 v1, s14, v14
	; wave barrier
	s_delay_alu instid0(VALU_DEP_2) | instskip(NEXT) | instid1(VALU_DEP_1)
	v_add_co_u32 v0, s10, v0, -1
	v_cndmask_b32_e64 v2, 0, 1, s10
	s_delay_alu instid0(VALU_DEP_3)
	v_lshlrev_b32_e32 v3, 30, v1
	v_lshlrev_b32_e32 v4, 29, v1
	;; [unrolled: 1-line block ×4, first 2 shown]
	v_cmp_ne_u32_e32 vcc_lo, 0, v2
	v_not_b32_e32 v2, v3
	v_cmp_gt_i32_e64 s10, 0, v3
	v_not_b32_e32 v3, v4
	v_lshlrev_b32_e32 v7, 26, v1
	v_xor_b32_e32 v0, vcc_lo, v0
	v_ashrrev_i32_e32 v2, 31, v2
	v_cmp_gt_i32_e32 vcc_lo, 0, v4
	v_not_b32_e32 v4, v5
	v_ashrrev_i32_e32 v3, 31, v3
	v_and_b32_e32 v0, exec_lo, v0
	v_xor_b32_e32 v2, s10, v2
	v_cmp_gt_i32_e64 s10, 0, v5
	v_not_b32_e32 v5, v6
	v_ashrrev_i32_e32 v4, 31, v4
	v_xor_b32_e32 v3, vcc_lo, v3
	v_and_b32_e32 v0, v0, v2
	v_cmp_gt_i32_e32 vcc_lo, 0, v6
	v_not_b32_e32 v2, v7
	v_ashrrev_i32_e32 v5, 31, v5
	v_xor_b32_e32 v4, s10, v4
	v_and_b32_e32 v0, v0, v3
	v_lshlrev_b32_e32 v3, 25, v1
	v_cmp_gt_i32_e64 s10, 0, v7
	v_ashrrev_i32_e32 v2, 31, v2
	v_xor_b32_e32 v5, vcc_lo, v5
	v_and_b32_e32 v0, v0, v4
	v_not_b32_e32 v6, v3
	v_lshlrev_b32_e32 v1, 24, v1
	v_bfe_u32 v4, v14, s14, 8
	v_xor_b32_e32 v2, s10, v2
	v_and_b32_e32 v0, v0, v5
	v_cmp_gt_i32_e32 vcc_lo, 0, v3
	v_ashrrev_i32_e32 v3, 31, v6
	v_not_b32_e32 v5, v1
	v_mul_u32_u24_e32 v4, 10, v4
	v_and_b32_e32 v0, v0, v2
	s_delay_alu instid0(VALU_DEP_4) | instskip(SKIP_3) | instid1(VALU_DEP_4)
	v_xor_b32_e32 v2, vcc_lo, v3
	v_cmp_gt_i32_e32 vcc_lo, 0, v1
	v_ashrrev_i32_e32 v1, 31, v5
	v_add_lshl_u32 v3, v4, v37, 2
	v_and_b32_e32 v0, v0, v2
	s_delay_alu instid0(VALU_DEP_3) | instskip(SKIP_3) | instid1(VALU_DEP_1)
	v_xor_b32_e32 v1, vcc_lo, v1
	ds_load_b32 v62, v3 offset:40
	v_add_nc_u32_e32 v64, 40, v3
	; wave barrier
	v_and_b32_e32 v0, v0, v1
	v_mbcnt_lo_u32_b32 v63, v0, 0
	v_cmp_ne_u32_e64 s10, 0, v0
	s_delay_alu instid0(VALU_DEP_2) | instskip(NEXT) | instid1(VALU_DEP_2)
	v_cmp_eq_u32_e32 vcc_lo, 0, v63
	s_and_b32 s15, s10, vcc_lo
	s_delay_alu instid0(SALU_CYCLE_1)
	s_and_saveexec_b32 s10, s15
	s_cbranch_execz .LBB231_18
; %bb.17:                               ;   in Loop: Header=BB231_4 Depth=2
	s_waitcnt lgkmcnt(0)
	v_bcnt_u32_b32 v0, v0, v62
	ds_store_b32 v64, v0
.LBB231_18:                             ;   in Loop: Header=BB231_4 Depth=2
	s_or_b32 exec_lo, exec_lo, s10
	v_bfe_u32 v0, v8, s14, 1
	v_lshrrev_b32_e32 v1, s14, v8
	; wave barrier
	s_delay_alu instid0(VALU_DEP_2) | instskip(NEXT) | instid1(VALU_DEP_1)
	v_add_co_u32 v0, s10, v0, -1
	v_cndmask_b32_e64 v2, 0, 1, s10
	s_delay_alu instid0(VALU_DEP_3)
	v_lshlrev_b32_e32 v3, 30, v1
	v_lshlrev_b32_e32 v4, 29, v1
	;; [unrolled: 1-line block ×4, first 2 shown]
	v_cmp_ne_u32_e32 vcc_lo, 0, v2
	v_not_b32_e32 v2, v3
	v_cmp_gt_i32_e64 s10, 0, v3
	v_not_b32_e32 v3, v4
	v_lshlrev_b32_e32 v7, 26, v1
	v_xor_b32_e32 v0, vcc_lo, v0
	v_ashrrev_i32_e32 v2, 31, v2
	v_cmp_gt_i32_e32 vcc_lo, 0, v4
	v_not_b32_e32 v4, v5
	v_ashrrev_i32_e32 v3, 31, v3
	v_and_b32_e32 v0, exec_lo, v0
	v_xor_b32_e32 v2, s10, v2
	v_cmp_gt_i32_e64 s10, 0, v5
	v_not_b32_e32 v5, v6
	v_ashrrev_i32_e32 v4, 31, v4
	v_xor_b32_e32 v3, vcc_lo, v3
	v_and_b32_e32 v0, v0, v2
	v_cmp_gt_i32_e32 vcc_lo, 0, v6
	v_not_b32_e32 v2, v7
	v_ashrrev_i32_e32 v5, 31, v5
	v_xor_b32_e32 v4, s10, v4
	v_and_b32_e32 v0, v0, v3
	v_lshlrev_b32_e32 v3, 25, v1
	v_cmp_gt_i32_e64 s10, 0, v7
	v_ashrrev_i32_e32 v2, 31, v2
	v_xor_b32_e32 v5, vcc_lo, v5
	v_and_b32_e32 v0, v0, v4
	v_not_b32_e32 v6, v3
	v_lshlrev_b32_e32 v1, 24, v1
	v_bfe_u32 v4, v8, s14, 8
	v_xor_b32_e32 v2, s10, v2
	v_and_b32_e32 v0, v0, v5
	v_cmp_gt_i32_e32 vcc_lo, 0, v3
	v_ashrrev_i32_e32 v3, 31, v6
	v_not_b32_e32 v5, v1
	v_mul_u32_u24_e32 v4, 10, v4
	v_and_b32_e32 v0, v0, v2
	s_delay_alu instid0(VALU_DEP_4) | instskip(SKIP_3) | instid1(VALU_DEP_4)
	v_xor_b32_e32 v2, vcc_lo, v3
	v_cmp_gt_i32_e32 vcc_lo, 0, v1
	v_ashrrev_i32_e32 v1, 31, v5
	v_add_lshl_u32 v3, v4, v37, 2
	v_and_b32_e32 v0, v0, v2
	s_delay_alu instid0(VALU_DEP_3) | instskip(SKIP_3) | instid1(VALU_DEP_1)
	v_xor_b32_e32 v1, vcc_lo, v1
	ds_load_b32 v65, v3 offset:40
	v_add_nc_u32_e32 v67, 40, v3
	; wave barrier
	v_and_b32_e32 v0, v0, v1
	v_mbcnt_lo_u32_b32 v66, v0, 0
	v_cmp_ne_u32_e64 s10, 0, v0
	s_delay_alu instid0(VALU_DEP_2) | instskip(NEXT) | instid1(VALU_DEP_2)
	v_cmp_eq_u32_e32 vcc_lo, 0, v66
	s_and_b32 s15, s10, vcc_lo
	s_delay_alu instid0(SALU_CYCLE_1)
	s_and_saveexec_b32 s10, s15
	s_cbranch_execz .LBB231_20
; %bb.19:                               ;   in Loop: Header=BB231_4 Depth=2
	s_waitcnt lgkmcnt(0)
	v_bcnt_u32_b32 v0, v0, v65
	ds_store_b32 v67, v0
.LBB231_20:                             ;   in Loop: Header=BB231_4 Depth=2
	s_or_b32 exec_lo, exec_lo, s10
	; wave barrier
	s_waitcnt lgkmcnt(0)
	s_barrier
	buffer_gl0_inv
	ds_load_2addr_b64 v[4:7], v22 offset0:5 offset1:6
	ds_load_2addr_b64 v[0:3], v24 offset0:2 offset1:3
	s_waitcnt lgkmcnt(1)
	v_add_nc_u32_e32 v68, v5, v4
	s_delay_alu instid0(VALU_DEP_1) | instskip(SKIP_1) | instid1(VALU_DEP_1)
	v_add3_u32 v68, v68, v6, v7
	s_waitcnt lgkmcnt(0)
	v_add3_u32 v68, v68, v0, v1
	s_delay_alu instid0(VALU_DEP_1) | instskip(NEXT) | instid1(VALU_DEP_1)
	v_add3_u32 v3, v68, v2, v3
	v_mov_b32_dpp v68, v3 row_shr:1 row_mask:0xf bank_mask:0xf
	s_delay_alu instid0(VALU_DEP_1) | instskip(NEXT) | instid1(VALU_DEP_1)
	v_cndmask_b32_e64 v68, v68, 0, s1
	v_add_nc_u32_e32 v3, v68, v3
	s_delay_alu instid0(VALU_DEP_1) | instskip(NEXT) | instid1(VALU_DEP_1)
	v_mov_b32_dpp v68, v3 row_shr:2 row_mask:0xf bank_mask:0xf
	v_cndmask_b32_e64 v68, 0, v68, s2
	s_delay_alu instid0(VALU_DEP_1) | instskip(NEXT) | instid1(VALU_DEP_1)
	v_add_nc_u32_e32 v3, v3, v68
	v_mov_b32_dpp v68, v3 row_shr:4 row_mask:0xf bank_mask:0xf
	s_delay_alu instid0(VALU_DEP_1) | instskip(NEXT) | instid1(VALU_DEP_1)
	v_cndmask_b32_e64 v68, 0, v68, s3
	v_add_nc_u32_e32 v3, v3, v68
	s_delay_alu instid0(VALU_DEP_1) | instskip(NEXT) | instid1(VALU_DEP_1)
	v_mov_b32_dpp v68, v3 row_shr:8 row_mask:0xf bank_mask:0xf
	v_cndmask_b32_e64 v68, 0, v68, s4
	s_delay_alu instid0(VALU_DEP_1) | instskip(SKIP_3) | instid1(VALU_DEP_1)
	v_add_nc_u32_e32 v3, v3, v68
	ds_swizzle_b32 v68, v3 offset:swizzle(BROADCAST,32,15)
	s_waitcnt lgkmcnt(0)
	v_cndmask_b32_e64 v68, v68, 0, s5
	v_add_nc_u32_e32 v3, v3, v68
	s_and_saveexec_b32 s10, s9
	s_cbranch_execz .LBB231_22
; %bb.21:                               ;   in Loop: Header=BB231_4 Depth=2
	ds_store_b32 v26, v3
.LBB231_22:                             ;   in Loop: Header=BB231_4 Depth=2
	s_or_b32 exec_lo, exec_lo, s10
	s_waitcnt lgkmcnt(0)
	s_barrier
	buffer_gl0_inv
	s_and_saveexec_b32 s10, s6
	s_cbranch_execz .LBB231_24
; %bb.23:                               ;   in Loop: Header=BB231_4 Depth=2
	v_add_nc_u32_e32 v68, v22, v23
	ds_load_b32 v69, v68
	s_waitcnt lgkmcnt(0)
	v_mov_b32_dpp v70, v69 row_shr:1 row_mask:0xf bank_mask:0xf
	s_delay_alu instid0(VALU_DEP_1) | instskip(NEXT) | instid1(VALU_DEP_1)
	v_cndmask_b32_e64 v70, v70, 0, s1
	v_add_nc_u32_e32 v69, v70, v69
	s_delay_alu instid0(VALU_DEP_1) | instskip(NEXT) | instid1(VALU_DEP_1)
	v_mov_b32_dpp v70, v69 row_shr:2 row_mask:0xf bank_mask:0xf
	v_cndmask_b32_e64 v70, 0, v70, s2
	s_delay_alu instid0(VALU_DEP_1) | instskip(NEXT) | instid1(VALU_DEP_1)
	v_add_nc_u32_e32 v69, v69, v70
	v_mov_b32_dpp v70, v69 row_shr:4 row_mask:0xf bank_mask:0xf
	s_delay_alu instid0(VALU_DEP_1) | instskip(NEXT) | instid1(VALU_DEP_1)
	v_cndmask_b32_e64 v70, 0, v70, s3
	v_add_nc_u32_e32 v69, v69, v70
	s_delay_alu instid0(VALU_DEP_1) | instskip(NEXT) | instid1(VALU_DEP_1)
	v_mov_b32_dpp v70, v69 row_shr:8 row_mask:0xf bank_mask:0xf
	v_cndmask_b32_e64 v70, 0, v70, s4
	s_delay_alu instid0(VALU_DEP_1)
	v_add_nc_u32_e32 v69, v69, v70
	ds_store_b32 v68, v69
.LBB231_24:                             ;   in Loop: Header=BB231_4 Depth=2
	s_or_b32 exec_lo, exec_lo, s10
	v_mov_b32_e32 v68, 0
	s_waitcnt lgkmcnt(0)
	s_barrier
	buffer_gl0_inv
	s_and_saveexec_b32 s10, s7
	s_cbranch_execz .LBB231_26
; %bb.25:                               ;   in Loop: Header=BB231_4 Depth=2
	ds_load_b32 v68, v27
.LBB231_26:                             ;   in Loop: Header=BB231_4 Depth=2
	s_or_b32 exec_lo, exec_lo, s10
	s_waitcnt lgkmcnt(0)
	v_add_nc_u32_e32 v3, v68, v3
	s_cmp_gt_u32 s14, 23
	ds_bpermute_b32 v3, v25, v3
	s_waitcnt lgkmcnt(0)
	v_cndmask_b32_e64 v3, v3, v68, s0
	s_delay_alu instid0(VALU_DEP_1) | instskip(NEXT) | instid1(VALU_DEP_1)
	v_cndmask_b32_e64 v3, v3, 0, s8
	v_add_nc_u32_e32 v4, v3, v4
	s_delay_alu instid0(VALU_DEP_1) | instskip(NEXT) | instid1(VALU_DEP_1)
	v_add_nc_u32_e32 v5, v4, v5
	v_add_nc_u32_e32 v6, v5, v6
	s_delay_alu instid0(VALU_DEP_1) | instskip(NEXT) | instid1(VALU_DEP_1)
	v_add_nc_u32_e32 v68, v6, v7
	;; [unrolled: 3-line block ×3, first 2 shown]
	v_add_nc_u32_e32 v1, v0, v2
	ds_store_2addr_b64 v22, v[3:4], v[5:6] offset0:5 offset1:6
	ds_store_2addr_b64 v24, v[68:69], v[0:1] offset0:2 offset1:3
	s_waitcnt lgkmcnt(0)
	s_barrier
	buffer_gl0_inv
	ds_load_b32 v0, v46
	ds_load_b32 v1, v49
	;; [unrolled: 1-line block ×8, first 2 shown]
	s_waitcnt lgkmcnt(7)
	v_add_nc_u32_e32 v61, v0, v45
	s_waitcnt lgkmcnt(6)
	v_add3_u32 v58, v48, v47, v1
	s_waitcnt lgkmcnt(5)
	v_add3_u32 v55, v51, v50, v2
	;; [unrolled: 2-line block ×7, first 2 shown]
	s_cbranch_scc0 .LBB231_3
; %bb.27:                               ;   in Loop: Header=BB231_2 Depth=1
                                        ; implicit-def: $vgpr59
                                        ; implicit-def: $vgpr57
                                        ; implicit-def: $vgpr54
                                        ; implicit-def: $vgpr53
                                        ; implicit-def: $vgpr2
                                        ; implicit-def: $vgpr1
                                        ; implicit-def: $vgpr0
                                        ; implicit-def: $vgpr56
                                        ; implicit-def: $vgpr47
                                        ; implicit-def: $vgpr46
                                        ; implicit-def: $vgpr45
                                        ; implicit-def: $vgpr7
                                        ; implicit-def: $vgpr6
                                        ; implicit-def: $vgpr5
                                        ; implicit-def: $vgpr4
                                        ; implicit-def: $vgpr3
                                        ; implicit-def: $sgpr14
	s_branch .LBB231_1
.LBB231_28:
	v_lshlrev_b32_e32 v9, 2, v9
	s_add_u32 s0, s18, s12
	s_waitcnt lgkmcnt(1)
	v_add_nc_u32_e32 v11, v2, v21
	s_addc_u32 s1, s19, s13
	s_waitcnt lgkmcnt(0)
	v_add_nc_u32_e32 v12, v3, v14
	v_add_co_u32 v2, s2, s0, v9
	s_delay_alu instid0(VALU_DEP_1) | instskip(SKIP_1) | instid1(VALU_DEP_3)
	v_add_co_ci_u32_e64 v3, null, s1, 0, s2
	v_add_nc_u32_e32 v5, v5, v16
	v_add_co_u32 v0, vcc_lo, 0x1000, v2
	v_add_nc_u32_e32 v6, v6, v17
	v_add_nc_u32_e32 v7, v7, v18
	;; [unrolled: 1-line block ×3, first 2 shown]
	v_add_co_ci_u32_e32 v1, vcc_lo, 0, v3, vcc_lo
	v_add_nc_u32_e32 v8, v8, v19
	v_add_co_u32 v2, vcc_lo, 0x2000, v2
	v_add_nc_u32_e32 v4, v4, v15
	v_add_co_ci_u32_e32 v3, vcc_lo, 0, v3, vcc_lo
	s_clause 0x7
	global_store_b32 v9, v5, s[0:1]
	global_store_b32 v9, v6, s[0:1] offset:1280
	global_store_b32 v9, v7, s[0:1] offset:2560
	;; [unrolled: 1-line block ×3, first 2 shown]
	global_store_b32 v[0:1], v10, off offset:1024
	global_store_b32 v[0:1], v11, off offset:2304
	;; [unrolled: 1-line block ×4, first 2 shown]
	s_nop 0
	s_sendmsg sendmsg(MSG_DEALLOC_VGPRS)
	s_endpgm
	.section	.rodata,"a",@progbits
	.p2align	6, 0x0
	.amdhsa_kernel _Z17sort_pairs_kernelI22helper_blocked_stripediLj320ELj8ELj10EEvPKT0_PS1_
		.amdhsa_group_segment_fixed_size 10560
		.amdhsa_private_segment_fixed_size 0
		.amdhsa_kernarg_size 272
		.amdhsa_user_sgpr_count 15
		.amdhsa_user_sgpr_dispatch_ptr 0
		.amdhsa_user_sgpr_queue_ptr 0
		.amdhsa_user_sgpr_kernarg_segment_ptr 1
		.amdhsa_user_sgpr_dispatch_id 0
		.amdhsa_user_sgpr_private_segment_size 0
		.amdhsa_wavefront_size32 1
		.amdhsa_uses_dynamic_stack 0
		.amdhsa_enable_private_segment 0
		.amdhsa_system_sgpr_workgroup_id_x 1
		.amdhsa_system_sgpr_workgroup_id_y 0
		.amdhsa_system_sgpr_workgroup_id_z 0
		.amdhsa_system_sgpr_workgroup_info 0
		.amdhsa_system_vgpr_workitem_id 2
		.amdhsa_next_free_vgpr 71
		.amdhsa_next_free_sgpr 20
		.amdhsa_reserve_vcc 1
		.amdhsa_float_round_mode_32 0
		.amdhsa_float_round_mode_16_64 0
		.amdhsa_float_denorm_mode_32 3
		.amdhsa_float_denorm_mode_16_64 3
		.amdhsa_dx10_clamp 1
		.amdhsa_ieee_mode 1
		.amdhsa_fp16_overflow 0
		.amdhsa_workgroup_processor_mode 1
		.amdhsa_memory_ordered 1
		.amdhsa_forward_progress 0
		.amdhsa_shared_vgpr_count 0
		.amdhsa_exception_fp_ieee_invalid_op 0
		.amdhsa_exception_fp_denorm_src 0
		.amdhsa_exception_fp_ieee_div_zero 0
		.amdhsa_exception_fp_ieee_overflow 0
		.amdhsa_exception_fp_ieee_underflow 0
		.amdhsa_exception_fp_ieee_inexact 0
		.amdhsa_exception_int_div_zero 0
	.end_amdhsa_kernel
	.section	.text._Z17sort_pairs_kernelI22helper_blocked_stripediLj320ELj8ELj10EEvPKT0_PS1_,"axG",@progbits,_Z17sort_pairs_kernelI22helper_blocked_stripediLj320ELj8ELj10EEvPKT0_PS1_,comdat
.Lfunc_end231:
	.size	_Z17sort_pairs_kernelI22helper_blocked_stripediLj320ELj8ELj10EEvPKT0_PS1_, .Lfunc_end231-_Z17sort_pairs_kernelI22helper_blocked_stripediLj320ELj8ELj10EEvPKT0_PS1_
                                        ; -- End function
	.section	.AMDGPU.csdata,"",@progbits
; Kernel info:
; codeLenInByte = 5328
; NumSgprs: 22
; NumVgprs: 71
; ScratchSize: 0
; MemoryBound: 0
; FloatMode: 240
; IeeeMode: 1
; LDSByteSize: 10560 bytes/workgroup (compile time only)
; SGPRBlocks: 2
; VGPRBlocks: 8
; NumSGPRsForWavesPerEU: 22
; NumVGPRsForWavesPerEU: 71
; Occupancy: 15
; WaveLimiterHint : 1
; COMPUTE_PGM_RSRC2:SCRATCH_EN: 0
; COMPUTE_PGM_RSRC2:USER_SGPR: 15
; COMPUTE_PGM_RSRC2:TRAP_HANDLER: 0
; COMPUTE_PGM_RSRC2:TGID_X_EN: 1
; COMPUTE_PGM_RSRC2:TGID_Y_EN: 0
; COMPUTE_PGM_RSRC2:TGID_Z_EN: 0
; COMPUTE_PGM_RSRC2:TIDIG_COMP_CNT: 2
	.section	.text._Z16sort_keys_kernelI22helper_blocked_stripediLj512ELj1ELj10EEvPKT0_PS1_,"axG",@progbits,_Z16sort_keys_kernelI22helper_blocked_stripediLj512ELj1ELj10EEvPKT0_PS1_,comdat
	.protected	_Z16sort_keys_kernelI22helper_blocked_stripediLj512ELj1ELj10EEvPKT0_PS1_ ; -- Begin function _Z16sort_keys_kernelI22helper_blocked_stripediLj512ELj1ELj10EEvPKT0_PS1_
	.globl	_Z16sort_keys_kernelI22helper_blocked_stripediLj512ELj1ELj10EEvPKT0_PS1_
	.p2align	8
	.type	_Z16sort_keys_kernelI22helper_blocked_stripediLj512ELj1ELj10EEvPKT0_PS1_,@function
_Z16sort_keys_kernelI22helper_blocked_stripediLj512ELj1ELj10EEvPKT0_PS1_: ; @_Z16sort_keys_kernelI22helper_blocked_stripediLj512ELj1ELj10EEvPKT0_PS1_
; %bb.0:
	s_clause 0x1
	s_load_b128 s[16:19], s[0:1], 0x0
	s_load_b32 s8, s[0:1], 0x1c
	s_mov_b32 s21, 0
	s_lshl_b32 s20, s15, 9
	s_mov_b32 s14, s21
	s_mov_b32 s15, s21
	v_dual_mov_b32 v9, s14 :: v_dual_and_b32 v8, 0x3ff, v0
	s_lshl_b64 s[12:13], s[20:21], 2
	v_mov_b32_e32 v10, s15
	v_mbcnt_lo_u32_b32 v3, -1, 0
	s_delay_alu instid0(VALU_DEP_3) | instskip(SKIP_2) | instid1(VALU_DEP_3)
	v_lshlrev_b32_e32 v1, 2, v8
	s_mov_b32 s20, s21
	v_lshlrev_b32_e32 v13, 5, v8
	v_dual_mov_b32 v11, s20 :: v_dual_add_nc_u32 v6, -1, v3
	v_and_b32_e32 v4, 15, v3
	v_dual_mov_b32 v12, s21 :: v_dual_and_b32 v5, 16, v3
	v_mul_i32_i24_e32 v20, 0xffffffe4, v8
	s_waitcnt lgkmcnt(0)
	s_add_u32 s0, s16, s12
	s_addc_u32 s1, s17, s13
	v_cmp_gt_i32_e64 s7, 0, v6
	global_load_b32 v2, v1, s[0:1]
	v_bfe_u32 v1, v0, 10, 10
	v_bfe_u32 v0, v0, 20, 10
	s_lshr_b32 s9, s8, 16
	v_cmp_eq_u32_e64 s0, 0, v4
	v_cmp_lt_u32_e64 s1, 1, v4
	v_cmp_lt_u32_e64 s2, 3, v4
	v_mad_u32_u24 v7, v0, s9, v1
	v_cmp_lt_u32_e64 s3, 7, v4
	v_cmp_eq_u32_e64 s4, 0, v5
	v_and_b32_e32 v4, 0x1e0, v8
	v_cndmask_b32_e64 v5, v6, v3, s7
	v_lshrrev_b32_e32 v6, 3, v8
	s_and_b32 s8, s8, 0xffff
	v_cmp_eq_u32_e32 vcc_lo, 0, v3
	v_mad_u64_u32 v[0:1], null, v7, s8, v[8:9]
	v_or_b32_e32 v17, 31, v4
	v_and_b32_e32 v14, 60, v6
	v_or_b32_e32 v1, v3, v4
	v_cmp_gt_u32_e64 s5, 16, v8
	v_cmp_lt_u32_e64 s6, 31, v8
	v_cmp_eq_u32_e64 s7, 0, v8
	v_add_nc_u32_e32 v15, 64, v13
	v_lshlrev_b32_e32 v16, 2, v5
	v_cmp_eq_u32_e64 s8, v17, v8
	v_add_nc_u32_e32 v17, -4, v14
	v_lshlrev_b32_e32 v18, 2, v1
	v_lshrrev_b32_e32 v19, 5, v0
	v_add_nc_u32_e32 v20, v13, v20
	s_mov_b32 s16, 10
	s_waitcnt vmcnt(0)
	v_xor_b32_e32 v21, 0x80000000, v2
	s_branch .LBB232_2
.LBB232_1:                              ;   in Loop: Header=BB232_2 Depth=1
	s_or_b32 exec_lo, exec_lo, s9
	s_waitcnt lgkmcnt(0)
	v_add_nc_u32_e32 v3, v24, v3
	s_add_i32 s16, s16, -1
	s_delay_alu instid0(SALU_CYCLE_1) | instskip(SKIP_3) | instid1(VALU_DEP_1)
	s_cmp_eq_u32 s16, 0
	ds_bpermute_b32 v3, v16, v3
	s_waitcnt lgkmcnt(0)
	v_cndmask_b32_e32 v3, v3, v24, vcc_lo
	v_cndmask_b32_e64 v3, v3, 0, s7
	s_delay_alu instid0(VALU_DEP_1) | instskip(NEXT) | instid1(VALU_DEP_1)
	v_add_nc_u32_e32 v4, v3, v4
	v_add_nc_u32_e32 v5, v4, v5
	s_delay_alu instid0(VALU_DEP_1) | instskip(NEXT) | instid1(VALU_DEP_1)
	v_add_nc_u32_e32 v6, v5, v6
	v_add_nc_u32_e32 v24, v6, v7
	;; [unrolled: 3-line block ×3, first 2 shown]
	s_delay_alu instid0(VALU_DEP_1)
	v_add_nc_u32_e32 v1, v0, v2
	ds_store_2addr_b64 v13, v[3:4], v[5:6] offset0:8 offset1:9
	ds_store_2addr_b64 v15, v[24:25], v[0:1] offset0:2 offset1:3
	s_waitcnt lgkmcnt(0)
	s_barrier
	buffer_gl0_inv
	ds_load_b32 v0, v23
	v_lshlrev_b32_e32 v1, 2, v22
	s_waitcnt lgkmcnt(0)
	s_barrier
	buffer_gl0_inv
	v_lshl_add_u32 v0, v0, 2, v1
	ds_store_b32 v0, v21
	s_waitcnt lgkmcnt(0)
	s_barrier
	buffer_gl0_inv
	ds_load_b32 v21, v20
	s_cbranch_scc1 .LBB232_34
.LBB232_2:                              ; =>This Inner Loop Header: Depth=1
	s_waitcnt lgkmcnt(0)
	s_delay_alu instid0(VALU_DEP_1)
	v_and_b32_e32 v0, 1, v21
	v_lshlrev_b32_e32 v1, 30, v21
	v_lshlrev_b32_e32 v2, 29, v21
	;; [unrolled: 1-line block ×4, first 2 shown]
	v_add_co_u32 v0, s9, v0, -1
	s_delay_alu instid0(VALU_DEP_1)
	v_cndmask_b32_e64 v3, 0, 1, s9
	v_not_b32_e32 v7, v1
	v_cmp_gt_i32_e64 s10, 0, v1
	v_not_b32_e32 v1, v2
	v_lshlrev_b32_e32 v6, 26, v21
	v_cmp_ne_u32_e64 s9, 0, v3
	v_ashrrev_i32_e32 v7, 31, v7
	v_lshlrev_b32_e32 v3, 25, v21
	v_ashrrev_i32_e32 v1, 31, v1
	v_cmp_gt_i32_e64 s11, 0, v5
	v_xor_b32_e32 v0, s9, v0
	v_cmp_gt_i32_e64 s9, 0, v2
	v_not_b32_e32 v2, v4
	v_xor_b32_e32 v7, s10, v7
	v_cmp_gt_i32_e64 s10, 0, v4
	v_and_b32_e32 v0, exec_lo, v0
	v_xor_b32_e32 v1, s9, v1
	v_ashrrev_i32_e32 v2, 31, v2
	v_not_b32_e32 v4, v5
	v_not_b32_e32 v5, v6
	v_and_b32_e32 v0, v0, v7
	v_cmp_gt_i32_e64 s9, 0, v6
	v_xor_b32_e32 v2, s10, v2
	v_not_b32_e32 v6, v3
	ds_store_2addr_b64 v13, v[11:12], v[9:10] offset0:8 offset1:9
	ds_store_2addr_b64 v15, v[11:12], v[9:10] offset0:2 offset1:3
	v_and_b32_e32 v0, v0, v1
	v_ashrrev_i32_e32 v1, 31, v4
	v_ashrrev_i32_e32 v4, 31, v5
	v_lshlrev_b32_e32 v5, 24, v21
	s_waitcnt lgkmcnt(0)
	v_and_b32_e32 v0, v0, v2
	v_xor_b32_e32 v1, s11, v1
	v_xor_b32_e32 v2, s9, v4
	v_cmp_gt_i32_e64 s9, 0, v3
	v_not_b32_e32 v3, v5
	v_ashrrev_i32_e32 v4, 31, v6
	v_and_b32_e32 v0, v0, v1
	v_cmp_gt_i32_e64 s10, 0, v5
	s_barrier
	v_ashrrev_i32_e32 v1, 31, v3
	v_xor_b32_e32 v3, s9, v4
	v_and_b32_e32 v0, v0, v2
	buffer_gl0_inv
	v_xor_b32_e32 v1, s10, v1
	; wave barrier
	v_and_b32_e32 v0, v0, v3
	s_delay_alu instid0(VALU_DEP_1) | instskip(SKIP_1) | instid1(VALU_DEP_2)
	v_and_b32_e32 v0, v0, v1
	v_and_b32_e32 v1, 0xff, v21
	v_mbcnt_lo_u32_b32 v22, v0, 0
	s_delay_alu instid0(VALU_DEP_2) | instskip(SKIP_1) | instid1(VALU_DEP_3)
	v_lshl_add_u32 v1, v1, 4, v19
	v_cmp_ne_u32_e64 s10, 0, v0
	v_cmp_eq_u32_e64 s9, 0, v22
	s_delay_alu instid0(VALU_DEP_3) | instskip(NEXT) | instid1(VALU_DEP_2)
	v_lshl_add_u32 v23, v1, 2, 64
	s_and_b32 s10, s10, s9
	s_delay_alu instid0(SALU_CYCLE_1)
	s_and_saveexec_b32 s9, s10
	s_cbranch_execz .LBB232_4
; %bb.3:                                ;   in Loop: Header=BB232_2 Depth=1
	v_bcnt_u32_b32 v0, v0, 0
	ds_store_b32 v23, v0
.LBB232_4:                              ;   in Loop: Header=BB232_2 Depth=1
	s_or_b32 exec_lo, exec_lo, s9
	; wave barrier
	s_waitcnt lgkmcnt(0)
	s_barrier
	buffer_gl0_inv
	ds_load_2addr_b64 v[4:7], v13 offset0:8 offset1:9
	ds_load_2addr_b64 v[0:3], v15 offset0:2 offset1:3
	s_waitcnt lgkmcnt(1)
	v_add_nc_u32_e32 v24, v5, v4
	s_delay_alu instid0(VALU_DEP_1) | instskip(SKIP_1) | instid1(VALU_DEP_1)
	v_add3_u32 v24, v24, v6, v7
	s_waitcnt lgkmcnt(0)
	v_add3_u32 v24, v24, v0, v1
	s_delay_alu instid0(VALU_DEP_1) | instskip(NEXT) | instid1(VALU_DEP_1)
	v_add3_u32 v3, v24, v2, v3
	v_mov_b32_dpp v24, v3 row_shr:1 row_mask:0xf bank_mask:0xf
	s_delay_alu instid0(VALU_DEP_1) | instskip(NEXT) | instid1(VALU_DEP_1)
	v_cndmask_b32_e64 v24, v24, 0, s0
	v_add_nc_u32_e32 v3, v24, v3
	s_delay_alu instid0(VALU_DEP_1) | instskip(NEXT) | instid1(VALU_DEP_1)
	v_mov_b32_dpp v24, v3 row_shr:2 row_mask:0xf bank_mask:0xf
	v_cndmask_b32_e64 v24, 0, v24, s1
	s_delay_alu instid0(VALU_DEP_1) | instskip(NEXT) | instid1(VALU_DEP_1)
	v_add_nc_u32_e32 v3, v3, v24
	v_mov_b32_dpp v24, v3 row_shr:4 row_mask:0xf bank_mask:0xf
	s_delay_alu instid0(VALU_DEP_1) | instskip(NEXT) | instid1(VALU_DEP_1)
	v_cndmask_b32_e64 v24, 0, v24, s2
	v_add_nc_u32_e32 v3, v3, v24
	s_delay_alu instid0(VALU_DEP_1) | instskip(NEXT) | instid1(VALU_DEP_1)
	v_mov_b32_dpp v24, v3 row_shr:8 row_mask:0xf bank_mask:0xf
	v_cndmask_b32_e64 v24, 0, v24, s3
	s_delay_alu instid0(VALU_DEP_1) | instskip(SKIP_3) | instid1(VALU_DEP_1)
	v_add_nc_u32_e32 v3, v3, v24
	ds_swizzle_b32 v24, v3 offset:swizzle(BROADCAST,32,15)
	s_waitcnt lgkmcnt(0)
	v_cndmask_b32_e64 v24, v24, 0, s4
	v_add_nc_u32_e32 v3, v3, v24
	s_and_saveexec_b32 s9, s8
	s_cbranch_execz .LBB232_6
; %bb.5:                                ;   in Loop: Header=BB232_2 Depth=1
	ds_store_b32 v14, v3
.LBB232_6:                              ;   in Loop: Header=BB232_2 Depth=1
	s_or_b32 exec_lo, exec_lo, s9
	s_waitcnt lgkmcnt(0)
	s_barrier
	buffer_gl0_inv
	s_and_saveexec_b32 s9, s5
	s_cbranch_execz .LBB232_8
; %bb.7:                                ;   in Loop: Header=BB232_2 Depth=1
	ds_load_b32 v24, v20
	s_waitcnt lgkmcnt(0)
	v_mov_b32_dpp v25, v24 row_shr:1 row_mask:0xf bank_mask:0xf
	s_delay_alu instid0(VALU_DEP_1) | instskip(NEXT) | instid1(VALU_DEP_1)
	v_cndmask_b32_e64 v25, v25, 0, s0
	v_add_nc_u32_e32 v24, v25, v24
	s_delay_alu instid0(VALU_DEP_1) | instskip(NEXT) | instid1(VALU_DEP_1)
	v_mov_b32_dpp v25, v24 row_shr:2 row_mask:0xf bank_mask:0xf
	v_cndmask_b32_e64 v25, 0, v25, s1
	s_delay_alu instid0(VALU_DEP_1) | instskip(NEXT) | instid1(VALU_DEP_1)
	v_add_nc_u32_e32 v24, v24, v25
	v_mov_b32_dpp v25, v24 row_shr:4 row_mask:0xf bank_mask:0xf
	s_delay_alu instid0(VALU_DEP_1) | instskip(NEXT) | instid1(VALU_DEP_1)
	v_cndmask_b32_e64 v25, 0, v25, s2
	v_add_nc_u32_e32 v24, v24, v25
	s_delay_alu instid0(VALU_DEP_1) | instskip(NEXT) | instid1(VALU_DEP_1)
	v_mov_b32_dpp v25, v24 row_shr:8 row_mask:0xf bank_mask:0xf
	v_cndmask_b32_e64 v25, 0, v25, s3
	s_delay_alu instid0(VALU_DEP_1)
	v_add_nc_u32_e32 v24, v24, v25
	ds_store_b32 v20, v24
.LBB232_8:                              ;   in Loop: Header=BB232_2 Depth=1
	s_or_b32 exec_lo, exec_lo, s9
	v_mov_b32_e32 v24, 0
	s_waitcnt lgkmcnt(0)
	s_barrier
	buffer_gl0_inv
	s_and_saveexec_b32 s9, s6
	s_cbranch_execz .LBB232_10
; %bb.9:                                ;   in Loop: Header=BB232_2 Depth=1
	ds_load_b32 v24, v17
.LBB232_10:                             ;   in Loop: Header=BB232_2 Depth=1
	s_or_b32 exec_lo, exec_lo, s9
	s_waitcnt lgkmcnt(0)
	v_add_nc_u32_e32 v3, v24, v3
	ds_bpermute_b32 v3, v16, v3
	s_waitcnt lgkmcnt(0)
	v_cndmask_b32_e32 v3, v3, v24, vcc_lo
	s_delay_alu instid0(VALU_DEP_1) | instskip(NEXT) | instid1(VALU_DEP_1)
	v_cndmask_b32_e64 v3, v3, 0, s7
	v_add_nc_u32_e32 v4, v3, v4
	s_delay_alu instid0(VALU_DEP_1) | instskip(NEXT) | instid1(VALU_DEP_1)
	v_add_nc_u32_e32 v5, v4, v5
	v_add_nc_u32_e32 v6, v5, v6
	s_delay_alu instid0(VALU_DEP_1) | instskip(NEXT) | instid1(VALU_DEP_1)
	v_add_nc_u32_e32 v24, v6, v7
	;; [unrolled: 3-line block ×3, first 2 shown]
	v_add_nc_u32_e32 v1, v0, v2
	ds_store_2addr_b64 v13, v[3:4], v[5:6] offset0:8 offset1:9
	ds_store_2addr_b64 v15, v[24:25], v[0:1] offset0:2 offset1:3
	s_waitcnt lgkmcnt(0)
	s_barrier
	buffer_gl0_inv
	ds_load_b32 v0, v23
	v_lshlrev_b32_e32 v1, 2, v22
	s_waitcnt lgkmcnt(0)
	s_barrier
	buffer_gl0_inv
	v_lshl_add_u32 v0, v0, 2, v1
	ds_store_b32 v0, v21
	s_waitcnt lgkmcnt(0)
	s_barrier
	buffer_gl0_inv
	ds_load_b32 v21, v18
	s_waitcnt lgkmcnt(0)
	s_barrier
	buffer_gl0_inv
	ds_store_2addr_b64 v13, v[11:12], v[9:10] offset0:8 offset1:9
	ds_store_2addr_b64 v15, v[11:12], v[9:10] offset0:2 offset1:3
	s_waitcnt lgkmcnt(0)
	s_barrier
	buffer_gl0_inv
	; wave barrier
	v_bfe_u32 v0, v21, 8, 1
	v_lshrrev_b32_e32 v1, 8, v21
	s_delay_alu instid0(VALU_DEP_2) | instskip(NEXT) | instid1(VALU_DEP_1)
	v_add_co_u32 v0, s9, v0, -1
	v_cndmask_b32_e64 v2, 0, 1, s9
	s_delay_alu instid0(VALU_DEP_3)
	v_lshlrev_b32_e32 v3, 30, v1
	v_lshlrev_b32_e32 v4, 29, v1
	;; [unrolled: 1-line block ×4, first 2 shown]
	v_cmp_ne_u32_e64 s9, 0, v2
	v_not_b32_e32 v2, v3
	v_cmp_gt_i32_e64 s10, 0, v3
	v_not_b32_e32 v3, v4
	v_lshlrev_b32_e32 v7, 26, v1
	v_xor_b32_e32 v0, s9, v0
	v_ashrrev_i32_e32 v2, 31, v2
	v_cmp_gt_i32_e64 s9, 0, v4
	v_not_b32_e32 v4, v5
	v_ashrrev_i32_e32 v3, 31, v3
	v_and_b32_e32 v0, exec_lo, v0
	v_xor_b32_e32 v2, s10, v2
	v_cmp_gt_i32_e64 s10, 0, v5
	v_not_b32_e32 v5, v6
	v_ashrrev_i32_e32 v4, 31, v4
	v_xor_b32_e32 v3, s9, v3
	v_and_b32_e32 v0, v0, v2
	v_lshlrev_b32_e32 v22, 25, v1
	v_cmp_gt_i32_e64 s9, 0, v6
	v_not_b32_e32 v2, v7
	v_ashrrev_i32_e32 v5, 31, v5
	v_xor_b32_e32 v4, s10, v4
	v_and_b32_e32 v0, v0, v3
	v_lshlrev_b32_e32 v1, 24, v1
	v_cmp_gt_i32_e64 s10, 0, v7
	v_not_b32_e32 v3, v22
	v_ashrrev_i32_e32 v2, 31, v2
	v_xor_b32_e32 v5, s9, v5
	v_and_b32_e32 v0, v0, v4
	v_cmp_gt_i32_e64 s9, 0, v22
	v_not_b32_e32 v4, v1
	v_ashrrev_i32_e32 v3, 31, v3
	v_xor_b32_e32 v2, s10, v2
	v_and_b32_e32 v0, v0, v5
	v_cmp_gt_i32_e64 s10, 0, v1
	v_ashrrev_i32_e32 v1, 31, v4
	v_xor_b32_e32 v3, s9, v3
	s_delay_alu instid0(VALU_DEP_4) | instskip(SKIP_1) | instid1(VALU_DEP_4)
	v_and_b32_e32 v0, v0, v2
	v_lshrrev_b32_e32 v2, 4, v21
	v_xor_b32_e32 v1, s10, v1
	s_delay_alu instid0(VALU_DEP_3) | instskip(NEXT) | instid1(VALU_DEP_1)
	v_and_b32_e32 v0, v0, v3
	v_and_b32_e32 v0, v0, v1
	s_delay_alu instid0(VALU_DEP_4) | instskip(NEXT) | instid1(VALU_DEP_2)
	v_and_b32_e32 v1, 0xff0, v2
	v_mbcnt_lo_u32_b32 v22, v0, 0
	s_delay_alu instid0(VALU_DEP_2) | instskip(SKIP_1) | instid1(VALU_DEP_3)
	v_add_nc_u32_e32 v1, v1, v19
	v_cmp_ne_u32_e64 s10, 0, v0
	v_cmp_eq_u32_e64 s9, 0, v22
	s_delay_alu instid0(VALU_DEP_3) | instskip(NEXT) | instid1(VALU_DEP_2)
	v_lshl_add_u32 v23, v1, 2, 64
	s_and_b32 s10, s10, s9
	s_delay_alu instid0(SALU_CYCLE_1)
	s_and_saveexec_b32 s9, s10
	s_cbranch_execz .LBB232_12
; %bb.11:                               ;   in Loop: Header=BB232_2 Depth=1
	v_bcnt_u32_b32 v0, v0, 0
	ds_store_b32 v23, v0
.LBB232_12:                             ;   in Loop: Header=BB232_2 Depth=1
	s_or_b32 exec_lo, exec_lo, s9
	; wave barrier
	s_waitcnt lgkmcnt(0)
	s_barrier
	buffer_gl0_inv
	ds_load_2addr_b64 v[4:7], v13 offset0:8 offset1:9
	ds_load_2addr_b64 v[0:3], v15 offset0:2 offset1:3
	s_waitcnt lgkmcnt(1)
	v_add_nc_u32_e32 v24, v5, v4
	s_delay_alu instid0(VALU_DEP_1) | instskip(SKIP_1) | instid1(VALU_DEP_1)
	v_add3_u32 v24, v24, v6, v7
	s_waitcnt lgkmcnt(0)
	v_add3_u32 v24, v24, v0, v1
	s_delay_alu instid0(VALU_DEP_1) | instskip(NEXT) | instid1(VALU_DEP_1)
	v_add3_u32 v3, v24, v2, v3
	v_mov_b32_dpp v24, v3 row_shr:1 row_mask:0xf bank_mask:0xf
	s_delay_alu instid0(VALU_DEP_1) | instskip(NEXT) | instid1(VALU_DEP_1)
	v_cndmask_b32_e64 v24, v24, 0, s0
	v_add_nc_u32_e32 v3, v24, v3
	s_delay_alu instid0(VALU_DEP_1) | instskip(NEXT) | instid1(VALU_DEP_1)
	v_mov_b32_dpp v24, v3 row_shr:2 row_mask:0xf bank_mask:0xf
	v_cndmask_b32_e64 v24, 0, v24, s1
	s_delay_alu instid0(VALU_DEP_1) | instskip(NEXT) | instid1(VALU_DEP_1)
	v_add_nc_u32_e32 v3, v3, v24
	v_mov_b32_dpp v24, v3 row_shr:4 row_mask:0xf bank_mask:0xf
	s_delay_alu instid0(VALU_DEP_1) | instskip(NEXT) | instid1(VALU_DEP_1)
	v_cndmask_b32_e64 v24, 0, v24, s2
	v_add_nc_u32_e32 v3, v3, v24
	s_delay_alu instid0(VALU_DEP_1) | instskip(NEXT) | instid1(VALU_DEP_1)
	v_mov_b32_dpp v24, v3 row_shr:8 row_mask:0xf bank_mask:0xf
	v_cndmask_b32_e64 v24, 0, v24, s3
	s_delay_alu instid0(VALU_DEP_1) | instskip(SKIP_3) | instid1(VALU_DEP_1)
	v_add_nc_u32_e32 v3, v3, v24
	ds_swizzle_b32 v24, v3 offset:swizzle(BROADCAST,32,15)
	s_waitcnt lgkmcnt(0)
	v_cndmask_b32_e64 v24, v24, 0, s4
	v_add_nc_u32_e32 v3, v3, v24
	s_and_saveexec_b32 s9, s8
	s_cbranch_execz .LBB232_14
; %bb.13:                               ;   in Loop: Header=BB232_2 Depth=1
	ds_store_b32 v14, v3
.LBB232_14:                             ;   in Loop: Header=BB232_2 Depth=1
	s_or_b32 exec_lo, exec_lo, s9
	s_waitcnt lgkmcnt(0)
	s_barrier
	buffer_gl0_inv
	s_and_saveexec_b32 s9, s5
	s_cbranch_execz .LBB232_16
; %bb.15:                               ;   in Loop: Header=BB232_2 Depth=1
	ds_load_b32 v24, v20
	s_waitcnt lgkmcnt(0)
	v_mov_b32_dpp v25, v24 row_shr:1 row_mask:0xf bank_mask:0xf
	s_delay_alu instid0(VALU_DEP_1) | instskip(NEXT) | instid1(VALU_DEP_1)
	v_cndmask_b32_e64 v25, v25, 0, s0
	v_add_nc_u32_e32 v24, v25, v24
	s_delay_alu instid0(VALU_DEP_1) | instskip(NEXT) | instid1(VALU_DEP_1)
	v_mov_b32_dpp v25, v24 row_shr:2 row_mask:0xf bank_mask:0xf
	v_cndmask_b32_e64 v25, 0, v25, s1
	s_delay_alu instid0(VALU_DEP_1) | instskip(NEXT) | instid1(VALU_DEP_1)
	v_add_nc_u32_e32 v24, v24, v25
	v_mov_b32_dpp v25, v24 row_shr:4 row_mask:0xf bank_mask:0xf
	s_delay_alu instid0(VALU_DEP_1) | instskip(NEXT) | instid1(VALU_DEP_1)
	v_cndmask_b32_e64 v25, 0, v25, s2
	v_add_nc_u32_e32 v24, v24, v25
	s_delay_alu instid0(VALU_DEP_1) | instskip(NEXT) | instid1(VALU_DEP_1)
	v_mov_b32_dpp v25, v24 row_shr:8 row_mask:0xf bank_mask:0xf
	v_cndmask_b32_e64 v25, 0, v25, s3
	s_delay_alu instid0(VALU_DEP_1)
	v_add_nc_u32_e32 v24, v24, v25
	ds_store_b32 v20, v24
.LBB232_16:                             ;   in Loop: Header=BB232_2 Depth=1
	s_or_b32 exec_lo, exec_lo, s9
	v_mov_b32_e32 v24, 0
	s_waitcnt lgkmcnt(0)
	s_barrier
	buffer_gl0_inv
	s_and_saveexec_b32 s9, s6
	s_cbranch_execz .LBB232_18
; %bb.17:                               ;   in Loop: Header=BB232_2 Depth=1
	ds_load_b32 v24, v17
.LBB232_18:                             ;   in Loop: Header=BB232_2 Depth=1
	s_or_b32 exec_lo, exec_lo, s9
	s_waitcnt lgkmcnt(0)
	v_add_nc_u32_e32 v3, v24, v3
	ds_bpermute_b32 v3, v16, v3
	s_waitcnt lgkmcnt(0)
	v_cndmask_b32_e32 v3, v3, v24, vcc_lo
	s_delay_alu instid0(VALU_DEP_1) | instskip(NEXT) | instid1(VALU_DEP_1)
	v_cndmask_b32_e64 v3, v3, 0, s7
	v_add_nc_u32_e32 v4, v3, v4
	s_delay_alu instid0(VALU_DEP_1) | instskip(NEXT) | instid1(VALU_DEP_1)
	v_add_nc_u32_e32 v5, v4, v5
	v_add_nc_u32_e32 v6, v5, v6
	s_delay_alu instid0(VALU_DEP_1) | instskip(NEXT) | instid1(VALU_DEP_1)
	v_add_nc_u32_e32 v24, v6, v7
	;; [unrolled: 3-line block ×3, first 2 shown]
	v_add_nc_u32_e32 v1, v0, v2
	ds_store_2addr_b64 v13, v[3:4], v[5:6] offset0:8 offset1:9
	ds_store_2addr_b64 v15, v[24:25], v[0:1] offset0:2 offset1:3
	s_waitcnt lgkmcnt(0)
	s_barrier
	buffer_gl0_inv
	ds_load_b32 v0, v23
	v_lshlrev_b32_e32 v1, 2, v22
	s_waitcnt lgkmcnt(0)
	s_barrier
	buffer_gl0_inv
	v_lshl_add_u32 v0, v0, 2, v1
	ds_store_b32 v0, v21
	s_waitcnt lgkmcnt(0)
	s_barrier
	buffer_gl0_inv
	ds_load_b32 v21, v18
	s_waitcnt lgkmcnt(0)
	s_barrier
	buffer_gl0_inv
	v_bfe_u32 v0, v21, 16, 1
	v_lshrrev_b32_e32 v1, 16, v21
	s_delay_alu instid0(VALU_DEP_2) | instskip(NEXT) | instid1(VALU_DEP_1)
	v_add_co_u32 v0, s9, v0, -1
	v_cndmask_b32_e64 v2, 0, 1, s9
	s_delay_alu instid0(VALU_DEP_3)
	v_lshlrev_b32_e32 v3, 30, v1
	v_lshlrev_b32_e32 v4, 29, v1
	;; [unrolled: 1-line block ×4, first 2 shown]
	v_cmp_ne_u32_e64 s9, 0, v2
	v_not_b32_e32 v2, v3
	v_cmp_gt_i32_e64 s10, 0, v3
	v_not_b32_e32 v3, v4
	v_lshlrev_b32_e32 v7, 26, v1
	v_xor_b32_e32 v0, s9, v0
	v_ashrrev_i32_e32 v2, 31, v2
	v_cmp_gt_i32_e64 s9, 0, v4
	v_not_b32_e32 v4, v5
	v_ashrrev_i32_e32 v3, 31, v3
	v_and_b32_e32 v0, exec_lo, v0
	v_xor_b32_e32 v2, s10, v2
	v_cmp_gt_i32_e64 s10, 0, v5
	v_not_b32_e32 v5, v6
	v_ashrrev_i32_e32 v4, 31, v4
	v_xor_b32_e32 v3, s9, v3
	v_and_b32_e32 v0, v0, v2
	v_lshlrev_b32_e32 v22, 25, v1
	v_cmp_gt_i32_e64 s9, 0, v6
	v_not_b32_e32 v2, v7
	v_ashrrev_i32_e32 v5, 31, v5
	v_xor_b32_e32 v4, s10, v4
	v_and_b32_e32 v0, v0, v3
	v_lshlrev_b32_e32 v1, 24, v1
	v_cmp_gt_i32_e64 s10, 0, v7
	v_not_b32_e32 v3, v22
	v_ashrrev_i32_e32 v2, 31, v2
	v_xor_b32_e32 v5, s9, v5
	v_and_b32_e32 v0, v0, v4
	v_cmp_gt_i32_e64 s9, 0, v22
	v_not_b32_e32 v4, v1
	v_ashrrev_i32_e32 v3, 31, v3
	v_xor_b32_e32 v2, s10, v2
	v_and_b32_e32 v0, v0, v5
	v_cmp_gt_i32_e64 s10, 0, v1
	v_ashrrev_i32_e32 v1, 31, v4
	v_xor_b32_e32 v3, s9, v3
	v_lshrrev_b32_e32 v6, 12, v21
	v_and_b32_e32 v0, v0, v2
	s_delay_alu instid0(VALU_DEP_4) | instskip(SKIP_1) | instid1(VALU_DEP_3)
	v_xor_b32_e32 v5, s10, v1
	v_dual_mov_b32 v1, s20 :: v_dual_mov_b32 v2, s21
	v_dual_mov_b32 v3, s14 :: v_dual_and_b32 v0, v0, v3
	v_mov_b32_e32 v4, s15
	ds_store_2addr_b64 v13, v[1:2], v[3:4] offset0:8 offset1:9
	ds_store_2addr_b64 v15, v[1:2], v[3:4] offset0:2 offset1:3
	v_and_b32_e32 v0, v0, v5
	v_and_b32_e32 v5, 0xff0, v6
	s_waitcnt lgkmcnt(0)
	s_barrier
	buffer_gl0_inv
	v_mbcnt_lo_u32_b32 v22, v0, 0
	v_add_nc_u32_e32 v1, v5, v19
	v_cmp_ne_u32_e64 s10, 0, v0
	; wave barrier
	s_delay_alu instid0(VALU_DEP_3) | instskip(NEXT) | instid1(VALU_DEP_3)
	v_cmp_eq_u32_e64 s9, 0, v22
	v_lshl_add_u32 v23, v1, 2, 64
	s_delay_alu instid0(VALU_DEP_2) | instskip(NEXT) | instid1(SALU_CYCLE_1)
	s_and_b32 s10, s10, s9
	s_and_saveexec_b32 s9, s10
	s_cbranch_execz .LBB232_20
; %bb.19:                               ;   in Loop: Header=BB232_2 Depth=1
	v_bcnt_u32_b32 v0, v0, 0
	ds_store_b32 v23, v0
.LBB232_20:                             ;   in Loop: Header=BB232_2 Depth=1
	s_or_b32 exec_lo, exec_lo, s9
	; wave barrier
	s_waitcnt lgkmcnt(0)
	s_barrier
	buffer_gl0_inv
	ds_load_2addr_b64 v[4:7], v13 offset0:8 offset1:9
	ds_load_2addr_b64 v[0:3], v15 offset0:2 offset1:3
	s_waitcnt lgkmcnt(1)
	v_add_nc_u32_e32 v24, v5, v4
	s_delay_alu instid0(VALU_DEP_1) | instskip(SKIP_1) | instid1(VALU_DEP_1)
	v_add3_u32 v24, v24, v6, v7
	s_waitcnt lgkmcnt(0)
	v_add3_u32 v24, v24, v0, v1
	s_delay_alu instid0(VALU_DEP_1) | instskip(NEXT) | instid1(VALU_DEP_1)
	v_add3_u32 v3, v24, v2, v3
	v_mov_b32_dpp v24, v3 row_shr:1 row_mask:0xf bank_mask:0xf
	s_delay_alu instid0(VALU_DEP_1) | instskip(NEXT) | instid1(VALU_DEP_1)
	v_cndmask_b32_e64 v24, v24, 0, s0
	v_add_nc_u32_e32 v3, v24, v3
	s_delay_alu instid0(VALU_DEP_1) | instskip(NEXT) | instid1(VALU_DEP_1)
	v_mov_b32_dpp v24, v3 row_shr:2 row_mask:0xf bank_mask:0xf
	v_cndmask_b32_e64 v24, 0, v24, s1
	s_delay_alu instid0(VALU_DEP_1) | instskip(NEXT) | instid1(VALU_DEP_1)
	v_add_nc_u32_e32 v3, v3, v24
	v_mov_b32_dpp v24, v3 row_shr:4 row_mask:0xf bank_mask:0xf
	s_delay_alu instid0(VALU_DEP_1) | instskip(NEXT) | instid1(VALU_DEP_1)
	v_cndmask_b32_e64 v24, 0, v24, s2
	v_add_nc_u32_e32 v3, v3, v24
	s_delay_alu instid0(VALU_DEP_1) | instskip(NEXT) | instid1(VALU_DEP_1)
	v_mov_b32_dpp v24, v3 row_shr:8 row_mask:0xf bank_mask:0xf
	v_cndmask_b32_e64 v24, 0, v24, s3
	s_delay_alu instid0(VALU_DEP_1) | instskip(SKIP_3) | instid1(VALU_DEP_1)
	v_add_nc_u32_e32 v3, v3, v24
	ds_swizzle_b32 v24, v3 offset:swizzle(BROADCAST,32,15)
	s_waitcnt lgkmcnt(0)
	v_cndmask_b32_e64 v24, v24, 0, s4
	v_add_nc_u32_e32 v3, v3, v24
	s_and_saveexec_b32 s9, s8
	s_cbranch_execz .LBB232_22
; %bb.21:                               ;   in Loop: Header=BB232_2 Depth=1
	ds_store_b32 v14, v3
.LBB232_22:                             ;   in Loop: Header=BB232_2 Depth=1
	s_or_b32 exec_lo, exec_lo, s9
	s_waitcnt lgkmcnt(0)
	s_barrier
	buffer_gl0_inv
	s_and_saveexec_b32 s9, s5
	s_cbranch_execz .LBB232_24
; %bb.23:                               ;   in Loop: Header=BB232_2 Depth=1
	ds_load_b32 v24, v20
	s_waitcnt lgkmcnt(0)
	v_mov_b32_dpp v25, v24 row_shr:1 row_mask:0xf bank_mask:0xf
	s_delay_alu instid0(VALU_DEP_1) | instskip(NEXT) | instid1(VALU_DEP_1)
	v_cndmask_b32_e64 v25, v25, 0, s0
	v_add_nc_u32_e32 v24, v25, v24
	s_delay_alu instid0(VALU_DEP_1) | instskip(NEXT) | instid1(VALU_DEP_1)
	v_mov_b32_dpp v25, v24 row_shr:2 row_mask:0xf bank_mask:0xf
	v_cndmask_b32_e64 v25, 0, v25, s1
	s_delay_alu instid0(VALU_DEP_1) | instskip(NEXT) | instid1(VALU_DEP_1)
	v_add_nc_u32_e32 v24, v24, v25
	v_mov_b32_dpp v25, v24 row_shr:4 row_mask:0xf bank_mask:0xf
	s_delay_alu instid0(VALU_DEP_1) | instskip(NEXT) | instid1(VALU_DEP_1)
	v_cndmask_b32_e64 v25, 0, v25, s2
	v_add_nc_u32_e32 v24, v24, v25
	s_delay_alu instid0(VALU_DEP_1) | instskip(NEXT) | instid1(VALU_DEP_1)
	v_mov_b32_dpp v25, v24 row_shr:8 row_mask:0xf bank_mask:0xf
	v_cndmask_b32_e64 v25, 0, v25, s3
	s_delay_alu instid0(VALU_DEP_1)
	v_add_nc_u32_e32 v24, v24, v25
	ds_store_b32 v20, v24
.LBB232_24:                             ;   in Loop: Header=BB232_2 Depth=1
	s_or_b32 exec_lo, exec_lo, s9
	v_mov_b32_e32 v24, 0
	s_waitcnt lgkmcnt(0)
	s_barrier
	buffer_gl0_inv
	s_and_saveexec_b32 s9, s6
	s_cbranch_execz .LBB232_26
; %bb.25:                               ;   in Loop: Header=BB232_2 Depth=1
	ds_load_b32 v24, v17
.LBB232_26:                             ;   in Loop: Header=BB232_2 Depth=1
	s_or_b32 exec_lo, exec_lo, s9
	s_waitcnt lgkmcnt(0)
	v_add_nc_u32_e32 v3, v24, v3
	ds_bpermute_b32 v3, v16, v3
	s_waitcnt lgkmcnt(0)
	v_cndmask_b32_e32 v3, v3, v24, vcc_lo
	s_delay_alu instid0(VALU_DEP_1) | instskip(NEXT) | instid1(VALU_DEP_1)
	v_cndmask_b32_e64 v3, v3, 0, s7
	v_add_nc_u32_e32 v4, v3, v4
	s_delay_alu instid0(VALU_DEP_1) | instskip(NEXT) | instid1(VALU_DEP_1)
	v_add_nc_u32_e32 v5, v4, v5
	v_add_nc_u32_e32 v6, v5, v6
	s_delay_alu instid0(VALU_DEP_1) | instskip(NEXT) | instid1(VALU_DEP_1)
	v_add_nc_u32_e32 v24, v6, v7
	v_add_nc_u32_e32 v25, v24, v0
	s_delay_alu instid0(VALU_DEP_1) | instskip(NEXT) | instid1(VALU_DEP_1)
	v_add_nc_u32_e32 v0, v25, v1
	v_add_nc_u32_e32 v1, v0, v2
	ds_store_2addr_b64 v13, v[3:4], v[5:6] offset0:8 offset1:9
	ds_store_2addr_b64 v15, v[24:25], v[0:1] offset0:2 offset1:3
	s_waitcnt lgkmcnt(0)
	s_barrier
	buffer_gl0_inv
	ds_load_b32 v0, v23
	v_lshlrev_b32_e32 v1, 2, v22
	s_waitcnt lgkmcnt(0)
	s_barrier
	buffer_gl0_inv
	v_lshl_add_u32 v0, v0, 2, v1
	ds_store_b32 v0, v21
	s_waitcnt lgkmcnt(0)
	s_barrier
	buffer_gl0_inv
	ds_load_b32 v21, v18
	s_waitcnt lgkmcnt(0)
	s_barrier
	buffer_gl0_inv
	v_bfe_u32 v0, v21, 24, 1
	v_lshrrev_b32_e32 v5, 24, v21
	s_delay_alu instid0(VALU_DEP_2) | instskip(NEXT) | instid1(VALU_DEP_1)
	v_add_co_u32 v0, s9, v0, -1
	v_cndmask_b32_e64 v1, 0, 1, s9
	s_delay_alu instid0(VALU_DEP_3)
	v_lshlrev_b32_e32 v2, 30, v5
	v_lshlrev_b32_e32 v3, 29, v5
	v_lshlrev_b32_e32 v4, 28, v5
	v_lshlrev_b32_e32 v6, 27, v5
	v_cmp_ne_u32_e64 s9, 0, v1
	v_not_b32_e32 v1, v2
	v_cmp_gt_i32_e64 s10, 0, v2
	v_not_b32_e32 v2, v3
	v_lshlrev_b32_e32 v7, 26, v5
	v_xor_b32_e32 v0, s9, v0
	v_ashrrev_i32_e32 v1, 31, v1
	v_cmp_gt_i32_e64 s9, 0, v3
	v_not_b32_e32 v3, v4
	v_ashrrev_i32_e32 v2, 31, v2
	v_and_b32_e32 v0, exec_lo, v0
	v_xor_b32_e32 v1, s10, v1
	v_cmp_gt_i32_e64 s10, 0, v4
	v_not_b32_e32 v4, v6
	v_ashrrev_i32_e32 v3, 31, v3
	v_xor_b32_e32 v2, s9, v2
	v_and_b32_e32 v0, v0, v1
	v_lshlrev_b32_e32 v22, 25, v5
	v_cmp_gt_i32_e64 s9, 0, v6
	v_not_b32_e32 v1, v7
	v_ashrrev_i32_e32 v4, 31, v4
	v_xor_b32_e32 v3, s10, v3
	v_and_b32_e32 v0, v0, v2
	v_cmp_gt_i32_e64 s10, 0, v7
	v_not_b32_e32 v2, v22
	v_ashrrev_i32_e32 v1, 31, v1
	v_xor_b32_e32 v4, s9, v4
	v_and_b32_e32 v0, v0, v3
	v_not_b32_e32 v3, v21
	v_cmp_gt_i32_e64 s9, 0, v22
	v_ashrrev_i32_e32 v2, 31, v2
	v_xor_b32_e32 v1, s10, v1
	v_and_b32_e32 v0, v0, v4
	v_cmp_gt_i32_e64 s10, 0, v21
	v_ashrrev_i32_e32 v3, 31, v3
	v_xor_b32_e32 v2, s9, v2
	s_delay_alu instid0(VALU_DEP_4) | instskip(NEXT) | instid1(VALU_DEP_3)
	v_and_b32_e32 v0, v0, v1
	v_xor_b32_e32 v3, s10, v3
	s_delay_alu instid0(VALU_DEP_2) | instskip(SKIP_1) | instid1(VALU_DEP_2)
	v_dual_mov_b32 v1, s20 :: v_dual_and_b32 v0, v0, v2
	v_mov_b32_e32 v2, s21
	v_dual_mov_b32 v3, s14 :: v_dual_and_b32 v0, v0, v3
	v_mov_b32_e32 v4, s15
	ds_store_2addr_b64 v13, v[1:2], v[3:4] offset0:8 offset1:9
	ds_store_2addr_b64 v15, v[1:2], v[3:4] offset0:2 offset1:3
	v_mbcnt_lo_u32_b32 v22, v0, 0
	v_lshl_add_u32 v1, v5, 4, v19
	v_cmp_ne_u32_e64 s10, 0, v0
	s_waitcnt lgkmcnt(0)
	s_barrier
	v_cmp_eq_u32_e64 s9, 0, v22
	v_lshl_add_u32 v23, v1, 2, 64
	buffer_gl0_inv
	; wave barrier
	s_and_b32 s10, s10, s9
	s_delay_alu instid0(SALU_CYCLE_1)
	s_and_saveexec_b32 s9, s10
	s_cbranch_execz .LBB232_28
; %bb.27:                               ;   in Loop: Header=BB232_2 Depth=1
	v_bcnt_u32_b32 v0, v0, 0
	ds_store_b32 v23, v0
.LBB232_28:                             ;   in Loop: Header=BB232_2 Depth=1
	s_or_b32 exec_lo, exec_lo, s9
	; wave barrier
	s_waitcnt lgkmcnt(0)
	s_barrier
	buffer_gl0_inv
	ds_load_2addr_b64 v[4:7], v13 offset0:8 offset1:9
	ds_load_2addr_b64 v[0:3], v15 offset0:2 offset1:3
	s_waitcnt lgkmcnt(1)
	v_add_nc_u32_e32 v24, v5, v4
	s_delay_alu instid0(VALU_DEP_1) | instskip(SKIP_1) | instid1(VALU_DEP_1)
	v_add3_u32 v24, v24, v6, v7
	s_waitcnt lgkmcnt(0)
	v_add3_u32 v24, v24, v0, v1
	s_delay_alu instid0(VALU_DEP_1) | instskip(NEXT) | instid1(VALU_DEP_1)
	v_add3_u32 v3, v24, v2, v3
	v_mov_b32_dpp v24, v3 row_shr:1 row_mask:0xf bank_mask:0xf
	s_delay_alu instid0(VALU_DEP_1) | instskip(NEXT) | instid1(VALU_DEP_1)
	v_cndmask_b32_e64 v24, v24, 0, s0
	v_add_nc_u32_e32 v3, v24, v3
	s_delay_alu instid0(VALU_DEP_1) | instskip(NEXT) | instid1(VALU_DEP_1)
	v_mov_b32_dpp v24, v3 row_shr:2 row_mask:0xf bank_mask:0xf
	v_cndmask_b32_e64 v24, 0, v24, s1
	s_delay_alu instid0(VALU_DEP_1) | instskip(NEXT) | instid1(VALU_DEP_1)
	v_add_nc_u32_e32 v3, v3, v24
	v_mov_b32_dpp v24, v3 row_shr:4 row_mask:0xf bank_mask:0xf
	s_delay_alu instid0(VALU_DEP_1) | instskip(NEXT) | instid1(VALU_DEP_1)
	v_cndmask_b32_e64 v24, 0, v24, s2
	v_add_nc_u32_e32 v3, v3, v24
	s_delay_alu instid0(VALU_DEP_1) | instskip(NEXT) | instid1(VALU_DEP_1)
	v_mov_b32_dpp v24, v3 row_shr:8 row_mask:0xf bank_mask:0xf
	v_cndmask_b32_e64 v24, 0, v24, s3
	s_delay_alu instid0(VALU_DEP_1) | instskip(SKIP_3) | instid1(VALU_DEP_1)
	v_add_nc_u32_e32 v3, v3, v24
	ds_swizzle_b32 v24, v3 offset:swizzle(BROADCAST,32,15)
	s_waitcnt lgkmcnt(0)
	v_cndmask_b32_e64 v24, v24, 0, s4
	v_add_nc_u32_e32 v3, v3, v24
	s_and_saveexec_b32 s9, s8
	s_cbranch_execz .LBB232_30
; %bb.29:                               ;   in Loop: Header=BB232_2 Depth=1
	ds_store_b32 v14, v3
.LBB232_30:                             ;   in Loop: Header=BB232_2 Depth=1
	s_or_b32 exec_lo, exec_lo, s9
	s_waitcnt lgkmcnt(0)
	s_barrier
	buffer_gl0_inv
	s_and_saveexec_b32 s9, s5
	s_cbranch_execz .LBB232_32
; %bb.31:                               ;   in Loop: Header=BB232_2 Depth=1
	ds_load_b32 v24, v20
	s_waitcnt lgkmcnt(0)
	v_mov_b32_dpp v25, v24 row_shr:1 row_mask:0xf bank_mask:0xf
	s_delay_alu instid0(VALU_DEP_1) | instskip(NEXT) | instid1(VALU_DEP_1)
	v_cndmask_b32_e64 v25, v25, 0, s0
	v_add_nc_u32_e32 v24, v25, v24
	s_delay_alu instid0(VALU_DEP_1) | instskip(NEXT) | instid1(VALU_DEP_1)
	v_mov_b32_dpp v25, v24 row_shr:2 row_mask:0xf bank_mask:0xf
	v_cndmask_b32_e64 v25, 0, v25, s1
	s_delay_alu instid0(VALU_DEP_1) | instskip(NEXT) | instid1(VALU_DEP_1)
	v_add_nc_u32_e32 v24, v24, v25
	v_mov_b32_dpp v25, v24 row_shr:4 row_mask:0xf bank_mask:0xf
	s_delay_alu instid0(VALU_DEP_1) | instskip(NEXT) | instid1(VALU_DEP_1)
	v_cndmask_b32_e64 v25, 0, v25, s2
	v_add_nc_u32_e32 v24, v24, v25
	s_delay_alu instid0(VALU_DEP_1) | instskip(NEXT) | instid1(VALU_DEP_1)
	v_mov_b32_dpp v25, v24 row_shr:8 row_mask:0xf bank_mask:0xf
	v_cndmask_b32_e64 v25, 0, v25, s3
	s_delay_alu instid0(VALU_DEP_1)
	v_add_nc_u32_e32 v24, v24, v25
	ds_store_b32 v20, v24
.LBB232_32:                             ;   in Loop: Header=BB232_2 Depth=1
	s_or_b32 exec_lo, exec_lo, s9
	v_mov_b32_e32 v24, 0
	s_waitcnt lgkmcnt(0)
	s_barrier
	buffer_gl0_inv
	s_and_saveexec_b32 s9, s6
	s_cbranch_execz .LBB232_1
; %bb.33:                               ;   in Loop: Header=BB232_2 Depth=1
	ds_load_b32 v24, v17
	s_branch .LBB232_1
.LBB232_34:
	s_waitcnt lgkmcnt(0)
	v_xor_b32_e32 v0, 0x80000000, v21
	v_lshlrev_b32_e32 v1, 2, v8
	s_add_u32 s0, s18, s12
	s_addc_u32 s1, s19, s13
	global_store_b32 v1, v0, s[0:1]
	s_nop 0
	s_sendmsg sendmsg(MSG_DEALLOC_VGPRS)
	s_endpgm
	.section	.rodata,"a",@progbits
	.p2align	6, 0x0
	.amdhsa_kernel _Z16sort_keys_kernelI22helper_blocked_stripediLj512ELj1ELj10EEvPKT0_PS1_
		.amdhsa_group_segment_fixed_size 16448
		.amdhsa_private_segment_fixed_size 0
		.amdhsa_kernarg_size 272
		.amdhsa_user_sgpr_count 15
		.amdhsa_user_sgpr_dispatch_ptr 0
		.amdhsa_user_sgpr_queue_ptr 0
		.amdhsa_user_sgpr_kernarg_segment_ptr 1
		.amdhsa_user_sgpr_dispatch_id 0
		.amdhsa_user_sgpr_private_segment_size 0
		.amdhsa_wavefront_size32 1
		.amdhsa_uses_dynamic_stack 0
		.amdhsa_enable_private_segment 0
		.amdhsa_system_sgpr_workgroup_id_x 1
		.amdhsa_system_sgpr_workgroup_id_y 0
		.amdhsa_system_sgpr_workgroup_id_z 0
		.amdhsa_system_sgpr_workgroup_info 0
		.amdhsa_system_vgpr_workitem_id 2
		.amdhsa_next_free_vgpr 26
		.amdhsa_next_free_sgpr 22
		.amdhsa_reserve_vcc 1
		.amdhsa_float_round_mode_32 0
		.amdhsa_float_round_mode_16_64 0
		.amdhsa_float_denorm_mode_32 3
		.amdhsa_float_denorm_mode_16_64 3
		.amdhsa_dx10_clamp 1
		.amdhsa_ieee_mode 1
		.amdhsa_fp16_overflow 0
		.amdhsa_workgroup_processor_mode 1
		.amdhsa_memory_ordered 1
		.amdhsa_forward_progress 0
		.amdhsa_shared_vgpr_count 0
		.amdhsa_exception_fp_ieee_invalid_op 0
		.amdhsa_exception_fp_denorm_src 0
		.amdhsa_exception_fp_ieee_div_zero 0
		.amdhsa_exception_fp_ieee_overflow 0
		.amdhsa_exception_fp_ieee_underflow 0
		.amdhsa_exception_fp_ieee_inexact 0
		.amdhsa_exception_int_div_zero 0
	.end_amdhsa_kernel
	.section	.text._Z16sort_keys_kernelI22helper_blocked_stripediLj512ELj1ELj10EEvPKT0_PS1_,"axG",@progbits,_Z16sort_keys_kernelI22helper_blocked_stripediLj512ELj1ELj10EEvPKT0_PS1_,comdat
.Lfunc_end232:
	.size	_Z16sort_keys_kernelI22helper_blocked_stripediLj512ELj1ELj10EEvPKT0_PS1_, .Lfunc_end232-_Z16sort_keys_kernelI22helper_blocked_stripediLj512ELj1ELj10EEvPKT0_PS1_
                                        ; -- End function
	.section	.AMDGPU.csdata,"",@progbits
; Kernel info:
; codeLenInByte = 4332
; NumSgprs: 24
; NumVgprs: 26
; ScratchSize: 0
; MemoryBound: 0
; FloatMode: 240
; IeeeMode: 1
; LDSByteSize: 16448 bytes/workgroup (compile time only)
; SGPRBlocks: 2
; VGPRBlocks: 3
; NumSGPRsForWavesPerEU: 24
; NumVGPRsForWavesPerEU: 26
; Occupancy: 16
; WaveLimiterHint : 0
; COMPUTE_PGM_RSRC2:SCRATCH_EN: 0
; COMPUTE_PGM_RSRC2:USER_SGPR: 15
; COMPUTE_PGM_RSRC2:TRAP_HANDLER: 0
; COMPUTE_PGM_RSRC2:TGID_X_EN: 1
; COMPUTE_PGM_RSRC2:TGID_Y_EN: 0
; COMPUTE_PGM_RSRC2:TGID_Z_EN: 0
; COMPUTE_PGM_RSRC2:TIDIG_COMP_CNT: 2
	.section	.text._Z17sort_pairs_kernelI22helper_blocked_stripediLj512ELj1ELj10EEvPKT0_PS1_,"axG",@progbits,_Z17sort_pairs_kernelI22helper_blocked_stripediLj512ELj1ELj10EEvPKT0_PS1_,comdat
	.protected	_Z17sort_pairs_kernelI22helper_blocked_stripediLj512ELj1ELj10EEvPKT0_PS1_ ; -- Begin function _Z17sort_pairs_kernelI22helper_blocked_stripediLj512ELj1ELj10EEvPKT0_PS1_
	.globl	_Z17sort_pairs_kernelI22helper_blocked_stripediLj512ELj1ELj10EEvPKT0_PS1_
	.p2align	8
	.type	_Z17sort_pairs_kernelI22helper_blocked_stripediLj512ELj1ELj10EEvPKT0_PS1_,@function
_Z17sort_pairs_kernelI22helper_blocked_stripediLj512ELj1ELj10EEvPKT0_PS1_: ; @_Z17sort_pairs_kernelI22helper_blocked_stripediLj512ELj1ELj10EEvPKT0_PS1_
; %bb.0:
	s_clause 0x1
	s_load_b128 s[16:19], s[0:1], 0x0
	s_load_b32 s8, s[0:1], 0x1c
	s_mov_b32 s21, 0
	s_lshl_b32 s20, s15, 9
	s_mov_b32 s14, s21
	s_mov_b32 s15, s21
	v_dual_mov_b32 v9, s14 :: v_dual_and_b32 v8, 0x3ff, v0
	s_lshl_b64 s[12:13], s[20:21], 2
	v_mov_b32_e32 v10, s15
	v_mbcnt_lo_u32_b32 v3, -1, 0
	s_delay_alu instid0(VALU_DEP_3) | instskip(SKIP_2) | instid1(VALU_DEP_3)
	v_lshlrev_b32_e32 v1, 2, v8
	s_mov_b32 s20, s21
	v_lshlrev_b32_e32 v13, 5, v8
	v_dual_mov_b32 v11, s20 :: v_dual_add_nc_u32 v6, -1, v3
	v_and_b32_e32 v4, 15, v3
	v_dual_mov_b32 v12, s21 :: v_dual_and_b32 v5, 16, v3
	v_mul_i32_i24_e32 v20, 0xffffffe4, v8
	s_waitcnt lgkmcnt(0)
	s_add_u32 s0, s16, s12
	s_addc_u32 s1, s17, s13
	v_cmp_gt_i32_e64 s7, 0, v6
	global_load_b32 v2, v1, s[0:1]
	v_bfe_u32 v1, v0, 10, 10
	v_bfe_u32 v0, v0, 20, 10
	s_lshr_b32 s9, s8, 16
	v_cmp_eq_u32_e64 s0, 0, v4
	v_cmp_lt_u32_e64 s1, 1, v4
	v_cmp_lt_u32_e64 s2, 3, v4
	v_mad_u32_u24 v7, v0, s9, v1
	v_cmp_lt_u32_e64 s3, 7, v4
	v_cmp_eq_u32_e64 s4, 0, v5
	v_and_b32_e32 v4, 0x1e0, v8
	v_cndmask_b32_e64 v5, v6, v3, s7
	v_lshrrev_b32_e32 v6, 3, v8
	s_and_b32 s8, s8, 0xffff
	v_cmp_eq_u32_e32 vcc_lo, 0, v3
	v_mad_u64_u32 v[0:1], null, v7, s8, v[8:9]
	v_or_b32_e32 v17, 31, v4
	v_and_b32_e32 v14, 60, v6
	v_or_b32_e32 v1, v3, v4
	v_cmp_gt_u32_e64 s5, 16, v8
	v_cmp_lt_u32_e64 s6, 31, v8
	v_cmp_eq_u32_e64 s7, 0, v8
	v_add_nc_u32_e32 v15, 64, v13
	v_lshlrev_b32_e32 v16, 2, v5
	v_cmp_eq_u32_e64 s8, v17, v8
	v_add_nc_u32_e32 v17, -4, v14
	v_lshlrev_b32_e32 v18, 2, v1
	v_lshrrev_b32_e32 v19, 5, v0
	v_add_nc_u32_e32 v20, v13, v20
	s_mov_b32 s16, 10
	s_waitcnt vmcnt(0)
	v_add_nc_u32_e32 v21, 1, v2
	v_xor_b32_e32 v22, 0x80000000, v2
	s_branch .LBB233_2
.LBB233_1:                              ;   in Loop: Header=BB233_2 Depth=1
	s_or_b32 exec_lo, exec_lo, s9
	s_waitcnt lgkmcnt(0)
	v_add_nc_u32_e32 v3, v25, v3
	s_add_i32 s16, s16, -1
	s_delay_alu instid0(SALU_CYCLE_1) | instskip(SKIP_3) | instid1(VALU_DEP_1)
	s_cmp_lg_u32 s16, 0
	ds_bpermute_b32 v3, v16, v3
	s_waitcnt lgkmcnt(0)
	v_cndmask_b32_e32 v3, v3, v25, vcc_lo
	v_cndmask_b32_e64 v3, v3, 0, s7
	s_delay_alu instid0(VALU_DEP_1) | instskip(NEXT) | instid1(VALU_DEP_1)
	v_add_nc_u32_e32 v4, v3, v4
	v_add_nc_u32_e32 v5, v4, v5
	s_delay_alu instid0(VALU_DEP_1) | instskip(NEXT) | instid1(VALU_DEP_1)
	v_add_nc_u32_e32 v6, v5, v6
	v_add_nc_u32_e32 v25, v6, v7
	;; [unrolled: 3-line block ×3, first 2 shown]
	s_delay_alu instid0(VALU_DEP_1)
	v_add_nc_u32_e32 v1, v0, v2
	ds_store_2addr_b64 v13, v[3:4], v[5:6] offset0:8 offset1:9
	ds_store_2addr_b64 v15, v[25:26], v[0:1] offset0:2 offset1:3
	s_waitcnt lgkmcnt(0)
	s_barrier
	buffer_gl0_inv
	ds_load_b32 v0, v24
	v_lshlrev_b32_e32 v1, 2, v22
	s_waitcnt lgkmcnt(0)
	s_barrier
	buffer_gl0_inv
	v_lshl_add_u32 v0, v0, 2, v1
	ds_store_b32 v0, v21
	s_waitcnt lgkmcnt(0)
	s_barrier
	buffer_gl0_inv
	ds_load_b32 v22, v20
	s_waitcnt lgkmcnt(0)
	s_barrier
	buffer_gl0_inv
	ds_store_b32 v0, v23
	s_waitcnt lgkmcnt(0)
	s_barrier
	buffer_gl0_inv
	ds_load_b32 v21, v20
	s_cbranch_scc0 .LBB233_34
.LBB233_2:                              ; =>This Inner Loop Header: Depth=1
	s_delay_alu instid0(VALU_DEP_1)
	v_and_b32_e32 v0, 1, v22
	v_lshlrev_b32_e32 v1, 30, v22
	v_lshlrev_b32_e32 v2, 29, v22
	;; [unrolled: 1-line block ×4, first 2 shown]
	v_add_co_u32 v0, s9, v0, -1
	s_delay_alu instid0(VALU_DEP_1)
	v_cndmask_b32_e64 v3, 0, 1, s9
	v_not_b32_e32 v7, v1
	v_cmp_gt_i32_e64 s10, 0, v1
	v_not_b32_e32 v1, v2
	v_lshlrev_b32_e32 v6, 26, v22
	v_cmp_ne_u32_e64 s9, 0, v3
	v_ashrrev_i32_e32 v7, 31, v7
	v_lshlrev_b32_e32 v3, 25, v22
	v_ashrrev_i32_e32 v1, 31, v1
	v_cmp_gt_i32_e64 s11, 0, v5
	v_xor_b32_e32 v0, s9, v0
	v_cmp_gt_i32_e64 s9, 0, v2
	v_not_b32_e32 v2, v4
	v_xor_b32_e32 v7, s10, v7
	v_cmp_gt_i32_e64 s10, 0, v4
	v_and_b32_e32 v0, exec_lo, v0
	v_xor_b32_e32 v1, s9, v1
	v_ashrrev_i32_e32 v2, 31, v2
	v_not_b32_e32 v4, v5
	v_not_b32_e32 v5, v6
	v_and_b32_e32 v0, v0, v7
	v_cmp_gt_i32_e64 s9, 0, v6
	v_xor_b32_e32 v2, s10, v2
	v_not_b32_e32 v6, v3
	ds_store_2addr_b64 v13, v[11:12], v[9:10] offset0:8 offset1:9
	ds_store_2addr_b64 v15, v[11:12], v[9:10] offset0:2 offset1:3
	v_and_b32_e32 v0, v0, v1
	v_ashrrev_i32_e32 v1, 31, v4
	v_ashrrev_i32_e32 v4, 31, v5
	v_lshlrev_b32_e32 v5, 24, v22
	s_waitcnt lgkmcnt(0)
	v_and_b32_e32 v0, v0, v2
	v_xor_b32_e32 v1, s11, v1
	v_xor_b32_e32 v2, s9, v4
	v_cmp_gt_i32_e64 s9, 0, v3
	v_not_b32_e32 v3, v5
	v_ashrrev_i32_e32 v4, 31, v6
	v_and_b32_e32 v0, v0, v1
	v_cmp_gt_i32_e64 s10, 0, v5
	s_barrier
	v_ashrrev_i32_e32 v1, 31, v3
	v_xor_b32_e32 v3, s9, v4
	v_and_b32_e32 v0, v0, v2
	buffer_gl0_inv
	v_xor_b32_e32 v1, s10, v1
	; wave barrier
	v_and_b32_e32 v0, v0, v3
	s_delay_alu instid0(VALU_DEP_1) | instskip(SKIP_1) | instid1(VALU_DEP_2)
	v_and_b32_e32 v0, v0, v1
	v_and_b32_e32 v1, 0xff, v22
	v_mbcnt_lo_u32_b32 v23, v0, 0
	s_delay_alu instid0(VALU_DEP_2) | instskip(SKIP_1) | instid1(VALU_DEP_3)
	v_lshl_add_u32 v1, v1, 4, v19
	v_cmp_ne_u32_e64 s10, 0, v0
	v_cmp_eq_u32_e64 s9, 0, v23
	s_delay_alu instid0(VALU_DEP_3) | instskip(NEXT) | instid1(VALU_DEP_2)
	v_lshl_add_u32 v24, v1, 2, 64
	s_and_b32 s10, s10, s9
	s_delay_alu instid0(SALU_CYCLE_1)
	s_and_saveexec_b32 s9, s10
	s_cbranch_execz .LBB233_4
; %bb.3:                                ;   in Loop: Header=BB233_2 Depth=1
	v_bcnt_u32_b32 v0, v0, 0
	ds_store_b32 v24, v0
.LBB233_4:                              ;   in Loop: Header=BB233_2 Depth=1
	s_or_b32 exec_lo, exec_lo, s9
	; wave barrier
	s_waitcnt lgkmcnt(0)
	s_barrier
	buffer_gl0_inv
	ds_load_2addr_b64 v[4:7], v13 offset0:8 offset1:9
	ds_load_2addr_b64 v[0:3], v15 offset0:2 offset1:3
	s_waitcnt lgkmcnt(1)
	v_add_nc_u32_e32 v25, v5, v4
	s_delay_alu instid0(VALU_DEP_1) | instskip(SKIP_1) | instid1(VALU_DEP_1)
	v_add3_u32 v25, v25, v6, v7
	s_waitcnt lgkmcnt(0)
	v_add3_u32 v25, v25, v0, v1
	s_delay_alu instid0(VALU_DEP_1) | instskip(NEXT) | instid1(VALU_DEP_1)
	v_add3_u32 v3, v25, v2, v3
	v_mov_b32_dpp v25, v3 row_shr:1 row_mask:0xf bank_mask:0xf
	s_delay_alu instid0(VALU_DEP_1) | instskip(NEXT) | instid1(VALU_DEP_1)
	v_cndmask_b32_e64 v25, v25, 0, s0
	v_add_nc_u32_e32 v3, v25, v3
	s_delay_alu instid0(VALU_DEP_1) | instskip(NEXT) | instid1(VALU_DEP_1)
	v_mov_b32_dpp v25, v3 row_shr:2 row_mask:0xf bank_mask:0xf
	v_cndmask_b32_e64 v25, 0, v25, s1
	s_delay_alu instid0(VALU_DEP_1) | instskip(NEXT) | instid1(VALU_DEP_1)
	v_add_nc_u32_e32 v3, v3, v25
	v_mov_b32_dpp v25, v3 row_shr:4 row_mask:0xf bank_mask:0xf
	s_delay_alu instid0(VALU_DEP_1) | instskip(NEXT) | instid1(VALU_DEP_1)
	v_cndmask_b32_e64 v25, 0, v25, s2
	v_add_nc_u32_e32 v3, v3, v25
	s_delay_alu instid0(VALU_DEP_1) | instskip(NEXT) | instid1(VALU_DEP_1)
	v_mov_b32_dpp v25, v3 row_shr:8 row_mask:0xf bank_mask:0xf
	v_cndmask_b32_e64 v25, 0, v25, s3
	s_delay_alu instid0(VALU_DEP_1) | instskip(SKIP_3) | instid1(VALU_DEP_1)
	v_add_nc_u32_e32 v3, v3, v25
	ds_swizzle_b32 v25, v3 offset:swizzle(BROADCAST,32,15)
	s_waitcnt lgkmcnt(0)
	v_cndmask_b32_e64 v25, v25, 0, s4
	v_add_nc_u32_e32 v3, v3, v25
	s_and_saveexec_b32 s9, s8
	s_cbranch_execz .LBB233_6
; %bb.5:                                ;   in Loop: Header=BB233_2 Depth=1
	ds_store_b32 v14, v3
.LBB233_6:                              ;   in Loop: Header=BB233_2 Depth=1
	s_or_b32 exec_lo, exec_lo, s9
	s_waitcnt lgkmcnt(0)
	s_barrier
	buffer_gl0_inv
	s_and_saveexec_b32 s9, s5
	s_cbranch_execz .LBB233_8
; %bb.7:                                ;   in Loop: Header=BB233_2 Depth=1
	ds_load_b32 v25, v20
	s_waitcnt lgkmcnt(0)
	v_mov_b32_dpp v26, v25 row_shr:1 row_mask:0xf bank_mask:0xf
	s_delay_alu instid0(VALU_DEP_1) | instskip(NEXT) | instid1(VALU_DEP_1)
	v_cndmask_b32_e64 v26, v26, 0, s0
	v_add_nc_u32_e32 v25, v26, v25
	s_delay_alu instid0(VALU_DEP_1) | instskip(NEXT) | instid1(VALU_DEP_1)
	v_mov_b32_dpp v26, v25 row_shr:2 row_mask:0xf bank_mask:0xf
	v_cndmask_b32_e64 v26, 0, v26, s1
	s_delay_alu instid0(VALU_DEP_1) | instskip(NEXT) | instid1(VALU_DEP_1)
	v_add_nc_u32_e32 v25, v25, v26
	v_mov_b32_dpp v26, v25 row_shr:4 row_mask:0xf bank_mask:0xf
	s_delay_alu instid0(VALU_DEP_1) | instskip(NEXT) | instid1(VALU_DEP_1)
	v_cndmask_b32_e64 v26, 0, v26, s2
	v_add_nc_u32_e32 v25, v25, v26
	s_delay_alu instid0(VALU_DEP_1) | instskip(NEXT) | instid1(VALU_DEP_1)
	v_mov_b32_dpp v26, v25 row_shr:8 row_mask:0xf bank_mask:0xf
	v_cndmask_b32_e64 v26, 0, v26, s3
	s_delay_alu instid0(VALU_DEP_1)
	v_add_nc_u32_e32 v25, v25, v26
	ds_store_b32 v20, v25
.LBB233_8:                              ;   in Loop: Header=BB233_2 Depth=1
	s_or_b32 exec_lo, exec_lo, s9
	v_mov_b32_e32 v25, 0
	s_waitcnt lgkmcnt(0)
	s_barrier
	buffer_gl0_inv
	s_and_saveexec_b32 s9, s6
	s_cbranch_execz .LBB233_10
; %bb.9:                                ;   in Loop: Header=BB233_2 Depth=1
	ds_load_b32 v25, v17
.LBB233_10:                             ;   in Loop: Header=BB233_2 Depth=1
	s_or_b32 exec_lo, exec_lo, s9
	s_waitcnt lgkmcnt(0)
	v_add_nc_u32_e32 v3, v25, v3
	ds_bpermute_b32 v3, v16, v3
	s_waitcnt lgkmcnt(0)
	v_cndmask_b32_e32 v3, v3, v25, vcc_lo
	s_delay_alu instid0(VALU_DEP_1) | instskip(NEXT) | instid1(VALU_DEP_1)
	v_cndmask_b32_e64 v3, v3, 0, s7
	v_add_nc_u32_e32 v4, v3, v4
	s_delay_alu instid0(VALU_DEP_1) | instskip(NEXT) | instid1(VALU_DEP_1)
	v_add_nc_u32_e32 v5, v4, v5
	v_add_nc_u32_e32 v6, v5, v6
	s_delay_alu instid0(VALU_DEP_1) | instskip(NEXT) | instid1(VALU_DEP_1)
	v_add_nc_u32_e32 v25, v6, v7
	;; [unrolled: 3-line block ×3, first 2 shown]
	v_add_nc_u32_e32 v1, v0, v2
	ds_store_2addr_b64 v13, v[3:4], v[5:6] offset0:8 offset1:9
	ds_store_2addr_b64 v15, v[25:26], v[0:1] offset0:2 offset1:3
	s_waitcnt lgkmcnt(0)
	s_barrier
	buffer_gl0_inv
	ds_load_b32 v0, v24
	v_lshlrev_b32_e32 v1, 2, v23
	s_waitcnt lgkmcnt(0)
	s_barrier
	buffer_gl0_inv
	v_lshl_add_u32 v0, v0, 2, v1
	ds_store_b32 v0, v22
	s_waitcnt lgkmcnt(0)
	s_barrier
	buffer_gl0_inv
	ds_load_b32 v22, v18
	s_waitcnt lgkmcnt(0)
	s_barrier
	buffer_gl0_inv
	ds_store_b32 v0, v21
	s_waitcnt lgkmcnt(0)
	s_barrier
	buffer_gl0_inv
	v_bfe_u32 v1, v22, 8, 1
	v_lshrrev_b32_e32 v2, 8, v22
	s_delay_alu instid0(VALU_DEP_2) | instskip(NEXT) | instid1(VALU_DEP_1)
	v_add_co_u32 v1, s9, v1, -1
	v_cndmask_b32_e64 v3, 0, 1, s9
	s_delay_alu instid0(VALU_DEP_3)
	v_lshlrev_b32_e32 v4, 30, v2
	v_lshlrev_b32_e32 v5, 29, v2
	v_lshlrev_b32_e32 v6, 28, v2
	v_lshlrev_b32_e32 v7, 27, v2
	v_cmp_ne_u32_e64 s9, 0, v3
	v_not_b32_e32 v3, v4
	v_cmp_gt_i32_e64 s10, 0, v4
	v_not_b32_e32 v4, v5
	v_lshlrev_b32_e32 v23, 26, v2
	v_xor_b32_e32 v1, s9, v1
	v_ashrrev_i32_e32 v3, 31, v3
	v_cmp_gt_i32_e64 s9, 0, v5
	v_not_b32_e32 v5, v6
	v_ashrrev_i32_e32 v4, 31, v4
	v_and_b32_e32 v1, exec_lo, v1
	v_xor_b32_e32 v3, s10, v3
	v_cmp_gt_i32_e64 s10, 0, v6
	v_not_b32_e32 v6, v7
	v_ashrrev_i32_e32 v5, 31, v5
	v_xor_b32_e32 v4, s9, v4
	v_and_b32_e32 v1, v1, v3
	v_lshlrev_b32_e32 v24, 25, v2
	v_cmp_gt_i32_e64 s9, 0, v7
	v_not_b32_e32 v3, v23
	v_ashrrev_i32_e32 v6, 31, v6
	v_xor_b32_e32 v5, s10, v5
	v_and_b32_e32 v1, v1, v4
	v_lshlrev_b32_e32 v2, 24, v2
	v_cmp_gt_i32_e64 s10, 0, v23
	v_not_b32_e32 v4, v24
	v_ashrrev_i32_e32 v3, 31, v3
	v_xor_b32_e32 v6, s9, v6
	v_and_b32_e32 v1, v1, v5
	v_cmp_gt_i32_e64 s9, 0, v24
	v_not_b32_e32 v5, v2
	v_ashrrev_i32_e32 v4, 31, v4
	v_xor_b32_e32 v3, s10, v3
	v_and_b32_e32 v1, v1, v6
	v_cmp_gt_i32_e64 s10, 0, v2
	v_ashrrev_i32_e32 v2, 31, v5
	v_xor_b32_e32 v4, s9, v4
	ds_load_b32 v23, v18
	v_and_b32_e32 v1, v1, v3
	s_waitcnt lgkmcnt(0)
	v_xor_b32_e32 v0, s10, v2
	v_lshrrev_b32_e32 v2, 4, v22
	s_barrier
	v_and_b32_e32 v1, v1, v4
	buffer_gl0_inv
	ds_store_2addr_b64 v13, v[11:12], v[9:10] offset0:8 offset1:9
	ds_store_2addr_b64 v15, v[11:12], v[9:10] offset0:2 offset1:3
	s_waitcnt lgkmcnt(0)
	s_barrier
	v_and_b32_e32 v0, v1, v0
	v_and_b32_e32 v1, 0xff0, v2
	buffer_gl0_inv
	; wave barrier
	v_mbcnt_lo_u32_b32 v21, v0, 0
	v_add_nc_u32_e32 v1, v1, v19
	v_cmp_ne_u32_e64 s10, 0, v0
	s_delay_alu instid0(VALU_DEP_3) | instskip(NEXT) | instid1(VALU_DEP_3)
	v_cmp_eq_u32_e64 s9, 0, v21
	v_lshl_add_u32 v24, v1, 2, 64
	s_delay_alu instid0(VALU_DEP_2) | instskip(NEXT) | instid1(SALU_CYCLE_1)
	s_and_b32 s10, s10, s9
	s_and_saveexec_b32 s9, s10
	s_cbranch_execz .LBB233_12
; %bb.11:                               ;   in Loop: Header=BB233_2 Depth=1
	v_bcnt_u32_b32 v0, v0, 0
	ds_store_b32 v24, v0
.LBB233_12:                             ;   in Loop: Header=BB233_2 Depth=1
	s_or_b32 exec_lo, exec_lo, s9
	; wave barrier
	s_waitcnt lgkmcnt(0)
	s_barrier
	buffer_gl0_inv
	ds_load_2addr_b64 v[4:7], v13 offset0:8 offset1:9
	ds_load_2addr_b64 v[0:3], v15 offset0:2 offset1:3
	s_waitcnt lgkmcnt(1)
	v_add_nc_u32_e32 v25, v5, v4
	s_delay_alu instid0(VALU_DEP_1) | instskip(SKIP_1) | instid1(VALU_DEP_1)
	v_add3_u32 v25, v25, v6, v7
	s_waitcnt lgkmcnt(0)
	v_add3_u32 v25, v25, v0, v1
	s_delay_alu instid0(VALU_DEP_1) | instskip(NEXT) | instid1(VALU_DEP_1)
	v_add3_u32 v3, v25, v2, v3
	v_mov_b32_dpp v25, v3 row_shr:1 row_mask:0xf bank_mask:0xf
	s_delay_alu instid0(VALU_DEP_1) | instskip(NEXT) | instid1(VALU_DEP_1)
	v_cndmask_b32_e64 v25, v25, 0, s0
	v_add_nc_u32_e32 v3, v25, v3
	s_delay_alu instid0(VALU_DEP_1) | instskip(NEXT) | instid1(VALU_DEP_1)
	v_mov_b32_dpp v25, v3 row_shr:2 row_mask:0xf bank_mask:0xf
	v_cndmask_b32_e64 v25, 0, v25, s1
	s_delay_alu instid0(VALU_DEP_1) | instskip(NEXT) | instid1(VALU_DEP_1)
	v_add_nc_u32_e32 v3, v3, v25
	v_mov_b32_dpp v25, v3 row_shr:4 row_mask:0xf bank_mask:0xf
	s_delay_alu instid0(VALU_DEP_1) | instskip(NEXT) | instid1(VALU_DEP_1)
	v_cndmask_b32_e64 v25, 0, v25, s2
	v_add_nc_u32_e32 v3, v3, v25
	s_delay_alu instid0(VALU_DEP_1) | instskip(NEXT) | instid1(VALU_DEP_1)
	v_mov_b32_dpp v25, v3 row_shr:8 row_mask:0xf bank_mask:0xf
	v_cndmask_b32_e64 v25, 0, v25, s3
	s_delay_alu instid0(VALU_DEP_1) | instskip(SKIP_3) | instid1(VALU_DEP_1)
	v_add_nc_u32_e32 v3, v3, v25
	ds_swizzle_b32 v25, v3 offset:swizzle(BROADCAST,32,15)
	s_waitcnt lgkmcnt(0)
	v_cndmask_b32_e64 v25, v25, 0, s4
	v_add_nc_u32_e32 v3, v3, v25
	s_and_saveexec_b32 s9, s8
	s_cbranch_execz .LBB233_14
; %bb.13:                               ;   in Loop: Header=BB233_2 Depth=1
	ds_store_b32 v14, v3
.LBB233_14:                             ;   in Loop: Header=BB233_2 Depth=1
	s_or_b32 exec_lo, exec_lo, s9
	s_waitcnt lgkmcnt(0)
	s_barrier
	buffer_gl0_inv
	s_and_saveexec_b32 s9, s5
	s_cbranch_execz .LBB233_16
; %bb.15:                               ;   in Loop: Header=BB233_2 Depth=1
	ds_load_b32 v25, v20
	s_waitcnt lgkmcnt(0)
	v_mov_b32_dpp v26, v25 row_shr:1 row_mask:0xf bank_mask:0xf
	s_delay_alu instid0(VALU_DEP_1) | instskip(NEXT) | instid1(VALU_DEP_1)
	v_cndmask_b32_e64 v26, v26, 0, s0
	v_add_nc_u32_e32 v25, v26, v25
	s_delay_alu instid0(VALU_DEP_1) | instskip(NEXT) | instid1(VALU_DEP_1)
	v_mov_b32_dpp v26, v25 row_shr:2 row_mask:0xf bank_mask:0xf
	v_cndmask_b32_e64 v26, 0, v26, s1
	s_delay_alu instid0(VALU_DEP_1) | instskip(NEXT) | instid1(VALU_DEP_1)
	v_add_nc_u32_e32 v25, v25, v26
	v_mov_b32_dpp v26, v25 row_shr:4 row_mask:0xf bank_mask:0xf
	s_delay_alu instid0(VALU_DEP_1) | instskip(NEXT) | instid1(VALU_DEP_1)
	v_cndmask_b32_e64 v26, 0, v26, s2
	v_add_nc_u32_e32 v25, v25, v26
	s_delay_alu instid0(VALU_DEP_1) | instskip(NEXT) | instid1(VALU_DEP_1)
	v_mov_b32_dpp v26, v25 row_shr:8 row_mask:0xf bank_mask:0xf
	v_cndmask_b32_e64 v26, 0, v26, s3
	s_delay_alu instid0(VALU_DEP_1)
	v_add_nc_u32_e32 v25, v25, v26
	ds_store_b32 v20, v25
.LBB233_16:                             ;   in Loop: Header=BB233_2 Depth=1
	s_or_b32 exec_lo, exec_lo, s9
	v_mov_b32_e32 v25, 0
	s_waitcnt lgkmcnt(0)
	s_barrier
	buffer_gl0_inv
	s_and_saveexec_b32 s9, s6
	s_cbranch_execz .LBB233_18
; %bb.17:                               ;   in Loop: Header=BB233_2 Depth=1
	ds_load_b32 v25, v17
.LBB233_18:                             ;   in Loop: Header=BB233_2 Depth=1
	s_or_b32 exec_lo, exec_lo, s9
	s_waitcnt lgkmcnt(0)
	v_add_nc_u32_e32 v3, v25, v3
	ds_bpermute_b32 v3, v16, v3
	s_waitcnt lgkmcnt(0)
	v_cndmask_b32_e32 v3, v3, v25, vcc_lo
	s_delay_alu instid0(VALU_DEP_1) | instskip(NEXT) | instid1(VALU_DEP_1)
	v_cndmask_b32_e64 v3, v3, 0, s7
	v_add_nc_u32_e32 v4, v3, v4
	s_delay_alu instid0(VALU_DEP_1) | instskip(NEXT) | instid1(VALU_DEP_1)
	v_add_nc_u32_e32 v5, v4, v5
	v_add_nc_u32_e32 v6, v5, v6
	s_delay_alu instid0(VALU_DEP_1) | instskip(NEXT) | instid1(VALU_DEP_1)
	v_add_nc_u32_e32 v25, v6, v7
	;; [unrolled: 3-line block ×3, first 2 shown]
	v_add_nc_u32_e32 v1, v0, v2
	ds_store_2addr_b64 v13, v[3:4], v[5:6] offset0:8 offset1:9
	ds_store_2addr_b64 v15, v[25:26], v[0:1] offset0:2 offset1:3
	s_waitcnt lgkmcnt(0)
	s_barrier
	buffer_gl0_inv
	ds_load_b32 v0, v24
	v_lshlrev_b32_e32 v1, 2, v21
	s_waitcnt lgkmcnt(0)
	s_barrier
	buffer_gl0_inv
	v_lshl_add_u32 v0, v0, 2, v1
	v_dual_mov_b32 v1, s20 :: v_dual_mov_b32 v2, s21
	ds_store_b32 v0, v22
	s_waitcnt lgkmcnt(0)
	s_barrier
	buffer_gl0_inv
	ds_load_b32 v21, v18
	s_waitcnt lgkmcnt(0)
	s_barrier
	buffer_gl0_inv
	ds_store_b32 v0, v23
	s_waitcnt lgkmcnt(0)
	s_barrier
	buffer_gl0_inv
	v_bfe_u32 v3, v21, 16, 1
	v_lshrrev_b32_e32 v4, 16, v21
	s_delay_alu instid0(VALU_DEP_2) | instskip(NEXT) | instid1(VALU_DEP_1)
	v_add_co_u32 v3, s9, v3, -1
	v_cndmask_b32_e64 v5, 0, 1, s9
	s_delay_alu instid0(VALU_DEP_3)
	v_lshlrev_b32_e32 v6, 30, v4
	v_lshlrev_b32_e32 v7, 29, v4
	;; [unrolled: 1-line block ×4, first 2 shown]
	v_cmp_ne_u32_e64 s9, 0, v5
	v_not_b32_e32 v5, v6
	v_cmp_gt_i32_e64 s10, 0, v6
	v_not_b32_e32 v6, v7
	v_lshlrev_b32_e32 v25, 26, v4
	v_xor_b32_e32 v3, s9, v3
	v_ashrrev_i32_e32 v5, 31, v5
	v_cmp_gt_i32_e64 s9, 0, v7
	v_not_b32_e32 v7, v22
	v_ashrrev_i32_e32 v6, 31, v6
	v_and_b32_e32 v3, exec_lo, v3
	v_xor_b32_e32 v5, s10, v5
	v_cmp_gt_i32_e64 s10, 0, v22
	v_not_b32_e32 v22, v24
	v_ashrrev_i32_e32 v7, 31, v7
	v_xor_b32_e32 v6, s9, v6
	v_and_b32_e32 v3, v3, v5
	v_lshlrev_b32_e32 v26, 25, v4
	v_cmp_gt_i32_e64 s9, 0, v24
	v_not_b32_e32 v5, v25
	v_ashrrev_i32_e32 v22, 31, v22
	v_xor_b32_e32 v7, s10, v7
	v_and_b32_e32 v3, v3, v6
	v_lshlrev_b32_e32 v4, 24, v4
	v_cmp_gt_i32_e64 s10, 0, v25
	v_not_b32_e32 v6, v26
	v_ashrrev_i32_e32 v5, 31, v5
	v_xor_b32_e32 v22, s9, v22
	v_and_b32_e32 v3, v3, v7
	v_cmp_gt_i32_e64 s9, 0, v26
	v_not_b32_e32 v7, v4
	v_ashrrev_i32_e32 v6, 31, v6
	v_xor_b32_e32 v5, s10, v5
	v_and_b32_e32 v3, v3, v22
	v_cmp_gt_i32_e64 s10, 0, v4
	v_ashrrev_i32_e32 v4, 31, v7
	v_xor_b32_e32 v6, s9, v6
	ds_load_b32 v22, v18
	v_and_b32_e32 v3, v3, v5
	s_waitcnt lgkmcnt(0)
	v_xor_b32_e32 v0, s10, v4
	s_barrier
	buffer_gl0_inv
	v_and_b32_e32 v5, v3, v6
	v_mov_b32_e32 v3, s14
	v_lshrrev_b32_e32 v6, 12, v21
	v_mov_b32_e32 v4, s15
	ds_store_2addr_b64 v13, v[1:2], v[3:4] offset0:8 offset1:9
	ds_store_2addr_b64 v15, v[1:2], v[3:4] offset0:2 offset1:3
	v_and_b32_e32 v0, v5, v0
	v_and_b32_e32 v5, 0xff0, v6
	s_waitcnt lgkmcnt(0)
	s_barrier
	buffer_gl0_inv
	v_mbcnt_lo_u32_b32 v23, v0, 0
	v_add_nc_u32_e32 v1, v5, v19
	v_cmp_ne_u32_e64 s10, 0, v0
	; wave barrier
	s_delay_alu instid0(VALU_DEP_3) | instskip(NEXT) | instid1(VALU_DEP_3)
	v_cmp_eq_u32_e64 s9, 0, v23
	v_lshl_add_u32 v24, v1, 2, 64
	s_delay_alu instid0(VALU_DEP_2) | instskip(NEXT) | instid1(SALU_CYCLE_1)
	s_and_b32 s10, s10, s9
	s_and_saveexec_b32 s9, s10
	s_cbranch_execz .LBB233_20
; %bb.19:                               ;   in Loop: Header=BB233_2 Depth=1
	v_bcnt_u32_b32 v0, v0, 0
	ds_store_b32 v24, v0
.LBB233_20:                             ;   in Loop: Header=BB233_2 Depth=1
	s_or_b32 exec_lo, exec_lo, s9
	; wave barrier
	s_waitcnt lgkmcnt(0)
	s_barrier
	buffer_gl0_inv
	ds_load_2addr_b64 v[4:7], v13 offset0:8 offset1:9
	ds_load_2addr_b64 v[0:3], v15 offset0:2 offset1:3
	s_waitcnt lgkmcnt(1)
	v_add_nc_u32_e32 v25, v5, v4
	s_delay_alu instid0(VALU_DEP_1) | instskip(SKIP_1) | instid1(VALU_DEP_1)
	v_add3_u32 v25, v25, v6, v7
	s_waitcnt lgkmcnt(0)
	v_add3_u32 v25, v25, v0, v1
	s_delay_alu instid0(VALU_DEP_1) | instskip(NEXT) | instid1(VALU_DEP_1)
	v_add3_u32 v3, v25, v2, v3
	v_mov_b32_dpp v25, v3 row_shr:1 row_mask:0xf bank_mask:0xf
	s_delay_alu instid0(VALU_DEP_1) | instskip(NEXT) | instid1(VALU_DEP_1)
	v_cndmask_b32_e64 v25, v25, 0, s0
	v_add_nc_u32_e32 v3, v25, v3
	s_delay_alu instid0(VALU_DEP_1) | instskip(NEXT) | instid1(VALU_DEP_1)
	v_mov_b32_dpp v25, v3 row_shr:2 row_mask:0xf bank_mask:0xf
	v_cndmask_b32_e64 v25, 0, v25, s1
	s_delay_alu instid0(VALU_DEP_1) | instskip(NEXT) | instid1(VALU_DEP_1)
	v_add_nc_u32_e32 v3, v3, v25
	v_mov_b32_dpp v25, v3 row_shr:4 row_mask:0xf bank_mask:0xf
	s_delay_alu instid0(VALU_DEP_1) | instskip(NEXT) | instid1(VALU_DEP_1)
	v_cndmask_b32_e64 v25, 0, v25, s2
	v_add_nc_u32_e32 v3, v3, v25
	s_delay_alu instid0(VALU_DEP_1) | instskip(NEXT) | instid1(VALU_DEP_1)
	v_mov_b32_dpp v25, v3 row_shr:8 row_mask:0xf bank_mask:0xf
	v_cndmask_b32_e64 v25, 0, v25, s3
	s_delay_alu instid0(VALU_DEP_1) | instskip(SKIP_3) | instid1(VALU_DEP_1)
	v_add_nc_u32_e32 v3, v3, v25
	ds_swizzle_b32 v25, v3 offset:swizzle(BROADCAST,32,15)
	s_waitcnt lgkmcnt(0)
	v_cndmask_b32_e64 v25, v25, 0, s4
	v_add_nc_u32_e32 v3, v3, v25
	s_and_saveexec_b32 s9, s8
	s_cbranch_execz .LBB233_22
; %bb.21:                               ;   in Loop: Header=BB233_2 Depth=1
	ds_store_b32 v14, v3
.LBB233_22:                             ;   in Loop: Header=BB233_2 Depth=1
	s_or_b32 exec_lo, exec_lo, s9
	s_waitcnt lgkmcnt(0)
	s_barrier
	buffer_gl0_inv
	s_and_saveexec_b32 s9, s5
	s_cbranch_execz .LBB233_24
; %bb.23:                               ;   in Loop: Header=BB233_2 Depth=1
	ds_load_b32 v25, v20
	s_waitcnt lgkmcnt(0)
	v_mov_b32_dpp v26, v25 row_shr:1 row_mask:0xf bank_mask:0xf
	s_delay_alu instid0(VALU_DEP_1) | instskip(NEXT) | instid1(VALU_DEP_1)
	v_cndmask_b32_e64 v26, v26, 0, s0
	v_add_nc_u32_e32 v25, v26, v25
	s_delay_alu instid0(VALU_DEP_1) | instskip(NEXT) | instid1(VALU_DEP_1)
	v_mov_b32_dpp v26, v25 row_shr:2 row_mask:0xf bank_mask:0xf
	v_cndmask_b32_e64 v26, 0, v26, s1
	s_delay_alu instid0(VALU_DEP_1) | instskip(NEXT) | instid1(VALU_DEP_1)
	v_add_nc_u32_e32 v25, v25, v26
	v_mov_b32_dpp v26, v25 row_shr:4 row_mask:0xf bank_mask:0xf
	s_delay_alu instid0(VALU_DEP_1) | instskip(NEXT) | instid1(VALU_DEP_1)
	v_cndmask_b32_e64 v26, 0, v26, s2
	v_add_nc_u32_e32 v25, v25, v26
	s_delay_alu instid0(VALU_DEP_1) | instskip(NEXT) | instid1(VALU_DEP_1)
	v_mov_b32_dpp v26, v25 row_shr:8 row_mask:0xf bank_mask:0xf
	v_cndmask_b32_e64 v26, 0, v26, s3
	s_delay_alu instid0(VALU_DEP_1)
	v_add_nc_u32_e32 v25, v25, v26
	ds_store_b32 v20, v25
.LBB233_24:                             ;   in Loop: Header=BB233_2 Depth=1
	s_or_b32 exec_lo, exec_lo, s9
	v_mov_b32_e32 v25, 0
	s_waitcnt lgkmcnt(0)
	s_barrier
	buffer_gl0_inv
	s_and_saveexec_b32 s9, s6
	s_cbranch_execz .LBB233_26
; %bb.25:                               ;   in Loop: Header=BB233_2 Depth=1
	ds_load_b32 v25, v17
.LBB233_26:                             ;   in Loop: Header=BB233_2 Depth=1
	s_or_b32 exec_lo, exec_lo, s9
	s_waitcnt lgkmcnt(0)
	v_add_nc_u32_e32 v3, v25, v3
	ds_bpermute_b32 v3, v16, v3
	s_waitcnt lgkmcnt(0)
	v_cndmask_b32_e32 v3, v3, v25, vcc_lo
	s_delay_alu instid0(VALU_DEP_1) | instskip(NEXT) | instid1(VALU_DEP_1)
	v_cndmask_b32_e64 v3, v3, 0, s7
	v_add_nc_u32_e32 v4, v3, v4
	s_delay_alu instid0(VALU_DEP_1) | instskip(NEXT) | instid1(VALU_DEP_1)
	v_add_nc_u32_e32 v5, v4, v5
	v_add_nc_u32_e32 v6, v5, v6
	s_delay_alu instid0(VALU_DEP_1) | instskip(NEXT) | instid1(VALU_DEP_1)
	v_add_nc_u32_e32 v25, v6, v7
	v_add_nc_u32_e32 v26, v25, v0
	s_delay_alu instid0(VALU_DEP_1) | instskip(NEXT) | instid1(VALU_DEP_1)
	v_add_nc_u32_e32 v0, v26, v1
	v_add_nc_u32_e32 v1, v0, v2
	ds_store_2addr_b64 v13, v[3:4], v[5:6] offset0:8 offset1:9
	ds_store_2addr_b64 v15, v[25:26], v[0:1] offset0:2 offset1:3
	s_waitcnt lgkmcnt(0)
	s_barrier
	buffer_gl0_inv
	ds_load_b32 v0, v24
	v_lshlrev_b32_e32 v1, 2, v23
	s_waitcnt lgkmcnt(0)
	s_barrier
	buffer_gl0_inv
	v_lshl_add_u32 v0, v0, 2, v1
	ds_store_b32 v0, v21
	s_waitcnt lgkmcnt(0)
	s_barrier
	buffer_gl0_inv
	ds_load_b32 v21, v18
	s_waitcnt lgkmcnt(0)
	s_barrier
	buffer_gl0_inv
	ds_store_b32 v0, v22
	s_waitcnt lgkmcnt(0)
	s_barrier
	buffer_gl0_inv
	v_bfe_u32 v1, v21, 24, 1
	v_lshrrev_b32_e32 v5, 24, v21
	s_delay_alu instid0(VALU_DEP_2) | instskip(NEXT) | instid1(VALU_DEP_1)
	v_add_co_u32 v1, s9, v1, -1
	v_cndmask_b32_e64 v2, 0, 1, s9
	s_delay_alu instid0(VALU_DEP_3)
	v_lshlrev_b32_e32 v3, 30, v5
	v_lshlrev_b32_e32 v4, 29, v5
	;; [unrolled: 1-line block ×4, first 2 shown]
	v_cmp_ne_u32_e64 s9, 0, v2
	v_not_b32_e32 v2, v3
	v_cmp_gt_i32_e64 s10, 0, v3
	v_not_b32_e32 v3, v4
	v_lshlrev_b32_e32 v23, 26, v5
	v_xor_b32_e32 v1, s9, v1
	v_ashrrev_i32_e32 v2, 31, v2
	v_cmp_gt_i32_e64 s9, 0, v4
	v_not_b32_e32 v4, v6
	v_ashrrev_i32_e32 v3, 31, v3
	v_and_b32_e32 v1, exec_lo, v1
	v_xor_b32_e32 v2, s10, v2
	v_cmp_gt_i32_e64 s10, 0, v6
	v_not_b32_e32 v6, v7
	v_ashrrev_i32_e32 v4, 31, v4
	v_xor_b32_e32 v3, s9, v3
	v_and_b32_e32 v1, v1, v2
	v_lshlrev_b32_e32 v24, 25, v5
	v_cmp_gt_i32_e64 s9, 0, v7
	v_not_b32_e32 v2, v23
	v_ashrrev_i32_e32 v6, 31, v6
	v_xor_b32_e32 v4, s10, v4
	v_and_b32_e32 v1, v1, v3
	v_cmp_gt_i32_e64 s10, 0, v23
	v_not_b32_e32 v3, v24
	v_ashrrev_i32_e32 v2, 31, v2
	v_xor_b32_e32 v6, s9, v6
	v_and_b32_e32 v1, v1, v4
	v_not_b32_e32 v4, v21
	v_cmp_gt_i32_e64 s9, 0, v24
	v_ashrrev_i32_e32 v3, 31, v3
	v_xor_b32_e32 v2, s10, v2
	v_and_b32_e32 v1, v1, v6
	v_cmp_gt_i32_e64 s10, 0, v21
	v_ashrrev_i32_e32 v4, 31, v4
	v_xor_b32_e32 v3, s9, v3
	ds_load_b32 v23, v18
	v_and_b32_e32 v1, v1, v2
	s_waitcnt lgkmcnt(0)
	v_xor_b32_e32 v0, s10, v4
	s_barrier
	buffer_gl0_inv
	v_and_b32_e32 v3, v1, v3
	v_dual_mov_b32 v1, s20 :: v_dual_mov_b32 v2, s21
	s_delay_alu instid0(VALU_DEP_2)
	v_dual_mov_b32 v3, s14 :: v_dual_and_b32 v0, v3, v0
	v_mov_b32_e32 v4, s15
	ds_store_2addr_b64 v13, v[1:2], v[3:4] offset0:8 offset1:9
	ds_store_2addr_b64 v15, v[1:2], v[3:4] offset0:2 offset1:3
	v_mbcnt_lo_u32_b32 v22, v0, 0
	v_lshl_add_u32 v1, v5, 4, v19
	v_cmp_ne_u32_e64 s10, 0, v0
	s_waitcnt lgkmcnt(0)
	s_barrier
	v_cmp_eq_u32_e64 s9, 0, v22
	v_lshl_add_u32 v24, v1, 2, 64
	buffer_gl0_inv
	; wave barrier
	s_and_b32 s10, s10, s9
	s_delay_alu instid0(SALU_CYCLE_1)
	s_and_saveexec_b32 s9, s10
	s_cbranch_execz .LBB233_28
; %bb.27:                               ;   in Loop: Header=BB233_2 Depth=1
	v_bcnt_u32_b32 v0, v0, 0
	ds_store_b32 v24, v0
.LBB233_28:                             ;   in Loop: Header=BB233_2 Depth=1
	s_or_b32 exec_lo, exec_lo, s9
	; wave barrier
	s_waitcnt lgkmcnt(0)
	s_barrier
	buffer_gl0_inv
	ds_load_2addr_b64 v[4:7], v13 offset0:8 offset1:9
	ds_load_2addr_b64 v[0:3], v15 offset0:2 offset1:3
	s_waitcnt lgkmcnt(1)
	v_add_nc_u32_e32 v25, v5, v4
	s_delay_alu instid0(VALU_DEP_1) | instskip(SKIP_1) | instid1(VALU_DEP_1)
	v_add3_u32 v25, v25, v6, v7
	s_waitcnt lgkmcnt(0)
	v_add3_u32 v25, v25, v0, v1
	s_delay_alu instid0(VALU_DEP_1) | instskip(NEXT) | instid1(VALU_DEP_1)
	v_add3_u32 v3, v25, v2, v3
	v_mov_b32_dpp v25, v3 row_shr:1 row_mask:0xf bank_mask:0xf
	s_delay_alu instid0(VALU_DEP_1) | instskip(NEXT) | instid1(VALU_DEP_1)
	v_cndmask_b32_e64 v25, v25, 0, s0
	v_add_nc_u32_e32 v3, v25, v3
	s_delay_alu instid0(VALU_DEP_1) | instskip(NEXT) | instid1(VALU_DEP_1)
	v_mov_b32_dpp v25, v3 row_shr:2 row_mask:0xf bank_mask:0xf
	v_cndmask_b32_e64 v25, 0, v25, s1
	s_delay_alu instid0(VALU_DEP_1) | instskip(NEXT) | instid1(VALU_DEP_1)
	v_add_nc_u32_e32 v3, v3, v25
	v_mov_b32_dpp v25, v3 row_shr:4 row_mask:0xf bank_mask:0xf
	s_delay_alu instid0(VALU_DEP_1) | instskip(NEXT) | instid1(VALU_DEP_1)
	v_cndmask_b32_e64 v25, 0, v25, s2
	v_add_nc_u32_e32 v3, v3, v25
	s_delay_alu instid0(VALU_DEP_1) | instskip(NEXT) | instid1(VALU_DEP_1)
	v_mov_b32_dpp v25, v3 row_shr:8 row_mask:0xf bank_mask:0xf
	v_cndmask_b32_e64 v25, 0, v25, s3
	s_delay_alu instid0(VALU_DEP_1) | instskip(SKIP_3) | instid1(VALU_DEP_1)
	v_add_nc_u32_e32 v3, v3, v25
	ds_swizzle_b32 v25, v3 offset:swizzle(BROADCAST,32,15)
	s_waitcnt lgkmcnt(0)
	v_cndmask_b32_e64 v25, v25, 0, s4
	v_add_nc_u32_e32 v3, v3, v25
	s_and_saveexec_b32 s9, s8
	s_cbranch_execz .LBB233_30
; %bb.29:                               ;   in Loop: Header=BB233_2 Depth=1
	ds_store_b32 v14, v3
.LBB233_30:                             ;   in Loop: Header=BB233_2 Depth=1
	s_or_b32 exec_lo, exec_lo, s9
	s_waitcnt lgkmcnt(0)
	s_barrier
	buffer_gl0_inv
	s_and_saveexec_b32 s9, s5
	s_cbranch_execz .LBB233_32
; %bb.31:                               ;   in Loop: Header=BB233_2 Depth=1
	ds_load_b32 v25, v20
	s_waitcnt lgkmcnt(0)
	v_mov_b32_dpp v26, v25 row_shr:1 row_mask:0xf bank_mask:0xf
	s_delay_alu instid0(VALU_DEP_1) | instskip(NEXT) | instid1(VALU_DEP_1)
	v_cndmask_b32_e64 v26, v26, 0, s0
	v_add_nc_u32_e32 v25, v26, v25
	s_delay_alu instid0(VALU_DEP_1) | instskip(NEXT) | instid1(VALU_DEP_1)
	v_mov_b32_dpp v26, v25 row_shr:2 row_mask:0xf bank_mask:0xf
	v_cndmask_b32_e64 v26, 0, v26, s1
	s_delay_alu instid0(VALU_DEP_1) | instskip(NEXT) | instid1(VALU_DEP_1)
	v_add_nc_u32_e32 v25, v25, v26
	v_mov_b32_dpp v26, v25 row_shr:4 row_mask:0xf bank_mask:0xf
	s_delay_alu instid0(VALU_DEP_1) | instskip(NEXT) | instid1(VALU_DEP_1)
	v_cndmask_b32_e64 v26, 0, v26, s2
	v_add_nc_u32_e32 v25, v25, v26
	s_delay_alu instid0(VALU_DEP_1) | instskip(NEXT) | instid1(VALU_DEP_1)
	v_mov_b32_dpp v26, v25 row_shr:8 row_mask:0xf bank_mask:0xf
	v_cndmask_b32_e64 v26, 0, v26, s3
	s_delay_alu instid0(VALU_DEP_1)
	v_add_nc_u32_e32 v25, v25, v26
	ds_store_b32 v20, v25
.LBB233_32:                             ;   in Loop: Header=BB233_2 Depth=1
	s_or_b32 exec_lo, exec_lo, s9
	v_mov_b32_e32 v25, 0
	s_waitcnt lgkmcnt(0)
	s_barrier
	buffer_gl0_inv
	s_and_saveexec_b32 s9, s6
	s_cbranch_execz .LBB233_1
; %bb.33:                               ;   in Loop: Header=BB233_2 Depth=1
	ds_load_b32 v25, v17
	s_branch .LBB233_1
.LBB233_34:
	s_waitcnt lgkmcnt(0)
	v_add3_u32 v0, v21, v22, 0x80000000
	v_lshlrev_b32_e32 v1, 2, v8
	s_add_u32 s0, s18, s12
	s_addc_u32 s1, s19, s13
	global_store_b32 v1, v0, s[0:1]
	s_nop 0
	s_sendmsg sendmsg(MSG_DEALLOC_VGPRS)
	s_endpgm
	.section	.rodata,"a",@progbits
	.p2align	6, 0x0
	.amdhsa_kernel _Z17sort_pairs_kernelI22helper_blocked_stripediLj512ELj1ELj10EEvPKT0_PS1_
		.amdhsa_group_segment_fixed_size 16448
		.amdhsa_private_segment_fixed_size 0
		.amdhsa_kernarg_size 272
		.amdhsa_user_sgpr_count 15
		.amdhsa_user_sgpr_dispatch_ptr 0
		.amdhsa_user_sgpr_queue_ptr 0
		.amdhsa_user_sgpr_kernarg_segment_ptr 1
		.amdhsa_user_sgpr_dispatch_id 0
		.amdhsa_user_sgpr_private_segment_size 0
		.amdhsa_wavefront_size32 1
		.amdhsa_uses_dynamic_stack 0
		.amdhsa_enable_private_segment 0
		.amdhsa_system_sgpr_workgroup_id_x 1
		.amdhsa_system_sgpr_workgroup_id_y 0
		.amdhsa_system_sgpr_workgroup_id_z 0
		.amdhsa_system_sgpr_workgroup_info 0
		.amdhsa_system_vgpr_workitem_id 2
		.amdhsa_next_free_vgpr 27
		.amdhsa_next_free_sgpr 22
		.amdhsa_reserve_vcc 1
		.amdhsa_float_round_mode_32 0
		.amdhsa_float_round_mode_16_64 0
		.amdhsa_float_denorm_mode_32 3
		.amdhsa_float_denorm_mode_16_64 3
		.amdhsa_dx10_clamp 1
		.amdhsa_ieee_mode 1
		.amdhsa_fp16_overflow 0
		.amdhsa_workgroup_processor_mode 1
		.amdhsa_memory_ordered 1
		.amdhsa_forward_progress 0
		.amdhsa_shared_vgpr_count 0
		.amdhsa_exception_fp_ieee_invalid_op 0
		.amdhsa_exception_fp_denorm_src 0
		.amdhsa_exception_fp_ieee_div_zero 0
		.amdhsa_exception_fp_ieee_overflow 0
		.amdhsa_exception_fp_ieee_underflow 0
		.amdhsa_exception_fp_ieee_inexact 0
		.amdhsa_exception_int_div_zero 0
	.end_amdhsa_kernel
	.section	.text._Z17sort_pairs_kernelI22helper_blocked_stripediLj512ELj1ELj10EEvPKT0_PS1_,"axG",@progbits,_Z17sort_pairs_kernelI22helper_blocked_stripediLj512ELj1ELj10EEvPKT0_PS1_,comdat
.Lfunc_end233:
	.size	_Z17sort_pairs_kernelI22helper_blocked_stripediLj512ELj1ELj10EEvPKT0_PS1_, .Lfunc_end233-_Z17sort_pairs_kernelI22helper_blocked_stripediLj512ELj1ELj10EEvPKT0_PS1_
                                        ; -- End function
	.section	.AMDGPU.csdata,"",@progbits
; Kernel info:
; codeLenInByte = 4504
; NumSgprs: 24
; NumVgprs: 27
; ScratchSize: 0
; MemoryBound: 0
; FloatMode: 240
; IeeeMode: 1
; LDSByteSize: 16448 bytes/workgroup (compile time only)
; SGPRBlocks: 2
; VGPRBlocks: 3
; NumSGPRsForWavesPerEU: 24
; NumVGPRsForWavesPerEU: 27
; Occupancy: 16
; WaveLimiterHint : 0
; COMPUTE_PGM_RSRC2:SCRATCH_EN: 0
; COMPUTE_PGM_RSRC2:USER_SGPR: 15
; COMPUTE_PGM_RSRC2:TRAP_HANDLER: 0
; COMPUTE_PGM_RSRC2:TGID_X_EN: 1
; COMPUTE_PGM_RSRC2:TGID_Y_EN: 0
; COMPUTE_PGM_RSRC2:TGID_Z_EN: 0
; COMPUTE_PGM_RSRC2:TIDIG_COMP_CNT: 2
	.section	.text._Z16sort_keys_kernelI22helper_blocked_stripediLj512ELj3ELj10EEvPKT0_PS1_,"axG",@progbits,_Z16sort_keys_kernelI22helper_blocked_stripediLj512ELj3ELj10EEvPKT0_PS1_,comdat
	.protected	_Z16sort_keys_kernelI22helper_blocked_stripediLj512ELj3ELj10EEvPKT0_PS1_ ; -- Begin function _Z16sort_keys_kernelI22helper_blocked_stripediLj512ELj3ELj10EEvPKT0_PS1_
	.globl	_Z16sort_keys_kernelI22helper_blocked_stripediLj512ELj3ELj10EEvPKT0_PS1_
	.p2align	8
	.type	_Z16sort_keys_kernelI22helper_blocked_stripediLj512ELj3ELj10EEvPKT0_PS1_,@function
_Z16sort_keys_kernelI22helper_blocked_stripediLj512ELj3ELj10EEvPKT0_PS1_: ; @_Z16sort_keys_kernelI22helper_blocked_stripediLj512ELj3ELj10EEvPKT0_PS1_
; %bb.0:
	s_clause 0x1
	s_load_b128 s[16:19], s[0:1], 0x0
	s_load_b32 s2, s[0:1], 0x1c
	s_mul_i32 s10, s15, 0x600
	s_mov_b32 s11, 0
	v_bfe_u32 v4, v0, 10, 10
	s_lshl_b64 s[12:13], s[10:11], 2
	s_mov_b32 s10, s11
	v_and_b32_e32 v8, 0x3ff, v0
	v_bfe_u32 v0, v0, 20, 10
	v_mbcnt_lo_u32_b32 v9, -1, 0
	s_mov_b32 s14, s11
	s_mov_b32 s15, s11
	v_mul_u32_u24_e32 v1, 3, v8
	v_lshrrev_b32_e32 v6, 5, v8
	v_cmp_eq_u32_e64 s8, 0, v9
	v_dual_mov_b32 v11, s14 :: v_dual_mov_b32 v12, s15
	s_delay_alu instid0(VALU_DEP_4) | instskip(NEXT) | instid1(VALU_DEP_4)
	v_lshlrev_b32_e32 v1, 2, v1
	v_mul_u32_u24_e32 v7, 0x60, v6
	v_lshlrev_b32_e32 v19, 2, v6
	s_waitcnt lgkmcnt(0)
	s_add_u32 s0, s16, s12
	s_addc_u32 s1, s17, s13
	global_load_b96 v[1:3], v1, s[0:1]
	s_lshr_b32 s0, s2, 16
	v_lshlrev_b32_e32 v10, 2, v7
	v_mad_u32_u24 v0, v0, s0, v4
	s_and_b32 s0, s2, 0xffff
	v_add_nc_u32_e32 v20, -4, v19
	s_delay_alu instid0(VALU_DEP_3) | instskip(NEXT) | instid1(VALU_DEP_3)
	v_mad_u32_u24 v14, v9, 12, v10
	v_mad_u64_u32 v[4:5], null, v0, s0, v[8:9]
	v_or_b32_e32 v0, v9, v7
	v_add_nc_u32_e32 v7, -1, v9
	v_and_b32_e32 v5, 15, v9
	s_delay_alu instid0(VALU_DEP_4) | instskip(SKIP_1) | instid1(VALU_DEP_4)
	v_lshrrev_b32_e32 v17, 5, v4
	v_and_b32_e32 v4, 16, v9
	v_cmp_gt_i32_e32 vcc_lo, 0, v7
	v_lshlrev_b32_e32 v15, 2, v0
	v_and_b32_e32 v0, 0x1e0, v8
	v_cmp_eq_u32_e64 s0, 0, v5
	v_cmp_eq_u32_e64 s4, 0, v4
	v_cndmask_b32_e32 v4, v7, v9, vcc_lo
	v_cmp_lt_u32_e64 s1, 1, v5
	v_or_b32_e32 v10, 31, v0
	v_mul_u32_u24_e32 v0, 3, v0
	v_cmp_lt_u32_e64 s2, 3, v5
	v_lshlrev_b32_e32 v18, 2, v4
	v_cmp_lt_u32_e64 s3, 7, v5
	v_cmp_eq_u32_e64 s5, v10, v8
	v_or_b32_e32 v0, v9, v0
	v_mov_b32_e32 v9, s10
	v_lshlrev_b32_e32 v13, 5, v8
	v_mul_i32_i24_e32 v4, 0xffffffe4, v8
	v_cmp_gt_u32_e64 s6, 16, v8
	v_cmp_lt_u32_e64 s7, 31, v8
	v_cmp_eq_u32_e64 s9, 0, v8
	v_add_nc_u32_e32 v16, 64, v13
	v_dual_mov_b32 v10, s11 :: v_dual_lshlrev_b32 v21, 2, v0
	v_add_nc_u32_e32 v22, v13, v4
	s_branch .LBB234_2
.LBB234_1:                              ;   in Loop: Header=BB234_2 Depth=1
	v_lshlrev_b32_e32 v0, 2, v5
	v_lshlrev_b32_e32 v1, 2, v4
	;; [unrolled: 1-line block ×3, first 2 shown]
	s_barrier
	buffer_gl0_inv
	ds_store_b32 v0, v23
	ds_store_b32 v1, v25
	;; [unrolled: 1-line block ×3, first 2 shown]
	s_waitcnt lgkmcnt(0)
	s_barrier
	buffer_gl0_inv
	ds_load_2addr_stride64_b32 v[1:2], v22 offset1:8
	ds_load_b32 v0, v22 offset:4096
	s_add_i32 s11, s11, 1
	s_delay_alu instid0(SALU_CYCLE_1)
	s_cmp_eq_u32 s11, 10
	s_waitcnt lgkmcnt(1)
	v_xor_b32_e32 v1, 0x80000000, v1
	v_xor_b32_e32 v2, 0x80000000, v2
	s_waitcnt lgkmcnt(0)
	v_xor_b32_e32 v3, 0x80000000, v0
	s_cbranch_scc1 .LBB234_18
.LBB234_2:                              ; =>This Loop Header: Depth=1
                                        ;     Child Loop BB234_4 Depth 2
	s_waitcnt vmcnt(0)
	v_xor_b32_e32 v0, 0x80000000, v1
	v_xor_b32_e32 v1, 0x80000000, v2
	;; [unrolled: 1-line block ×3, first 2 shown]
	s_mov_b32 s14, 0
	ds_store_2addr_b32 v14, v0, v1 offset1:1
	ds_store_b32 v14, v2 offset:8
	; wave barrier
	ds_load_2addr_b32 v[0:1], v15 offset1:32
	ds_load_b32 v2, v15 offset:256
	s_waitcnt lgkmcnt(0)
	s_barrier
	buffer_gl0_inv
	; wave barrier
	s_barrier
	s_branch .LBB234_4
.LBB234_3:                              ;   in Loop: Header=BB234_4 Depth=2
	v_lshlrev_b32_e32 v0, 2, v5
	v_lshlrev_b32_e32 v1, 2, v4
	s_delay_alu instid0(VALU_DEP_3)
	v_lshlrev_b32_e32 v2, 2, v3
	s_barrier
	buffer_gl0_inv
	ds_store_b32 v0, v23
	ds_store_b32 v1, v25
	;; [unrolled: 1-line block ×3, first 2 shown]
	s_waitcnt lgkmcnt(0)
	s_barrier
	buffer_gl0_inv
	ds_load_2addr_b32 v[0:1], v21 offset1:32
	ds_load_b32 v2, v21 offset:256
	s_add_i32 s14, s14, 8
	s_waitcnt lgkmcnt(0)
	s_barrier
	s_cbranch_execz .LBB234_1
.LBB234_4:                              ;   Parent Loop BB234_2 Depth=1
                                        ; =>  This Inner Loop Header: Depth=2
	v_mov_b32_e32 v23, v0
	buffer_gl0_inv
	ds_store_2addr_b64 v13, v[9:10], v[11:12] offset0:8 offset1:9
	ds_store_2addr_b64 v16, v[9:10], v[11:12] offset0:2 offset1:3
	s_waitcnt lgkmcnt(0)
	s_barrier
	v_lshrrev_b32_e32 v3, s14, v23
	buffer_gl0_inv
	; wave barrier
	v_lshlrev_b32_e32 v6, 29, v3
	v_bfe_u32 v0, v23, s14, 1
	v_lshlrev_b32_e32 v5, 30, v3
	v_lshlrev_b32_e32 v7, 28, v3
	;; [unrolled: 1-line block ×4, first 2 shown]
	v_add_co_u32 v0, s10, v0, -1
	s_delay_alu instid0(VALU_DEP_1) | instskip(SKIP_3) | instid1(VALU_DEP_4)
	v_cndmask_b32_e64 v4, 0, 1, s10
	v_cmp_gt_i32_e64 s10, 0, v5
	v_lshlrev_b32_e32 v26, 25, v3
	v_lshlrev_b32_e32 v3, 24, v3
	v_cmp_ne_u32_e32 vcc_lo, 0, v4
	v_not_b32_e32 v4, v5
	v_not_b32_e32 v5, v6
	v_xor_b32_e32 v0, vcc_lo, v0
	s_delay_alu instid0(VALU_DEP_3)
	v_ashrrev_i32_e32 v4, 31, v4
	v_cmp_gt_i32_e32 vcc_lo, 0, v6
	v_not_b32_e32 v6, v7
	v_ashrrev_i32_e32 v5, 31, v5
	v_and_b32_e32 v0, exec_lo, v0
	v_xor_b32_e32 v4, s10, v4
	v_cmp_gt_i32_e64 s10, 0, v7
	v_ashrrev_i32_e32 v6, 31, v6
	v_xor_b32_e32 v5, vcc_lo, v5
	s_delay_alu instid0(VALU_DEP_4) | instskip(SKIP_1) | instid1(VALU_DEP_4)
	v_and_b32_e32 v0, v0, v4
	v_not_b32_e32 v4, v25
	v_xor_b32_e32 v6, s10, v6
	v_cmp_gt_i32_e64 s10, 0, v25
	v_mov_b32_e32 v25, v1
	v_not_b32_e32 v7, v24
	v_cmp_gt_i32_e32 vcc_lo, 0, v24
	v_and_b32_e32 v0, v0, v5
	v_not_b32_e32 v5, v26
	v_ashrrev_i32_e32 v4, 31, v4
	v_ashrrev_i32_e32 v7, 31, v7
	v_bfe_u32 v1, v23, s14, 8
	v_and_b32_e32 v0, v0, v6
	v_not_b32_e32 v6, v3
	v_ashrrev_i32_e32 v5, 31, v5
	v_xor_b32_e32 v7, vcc_lo, v7
	v_cmp_gt_i32_e32 vcc_lo, 0, v26
	v_xor_b32_e32 v4, s10, v4
	v_cmp_gt_i32_e64 s10, 0, v3
	v_ashrrev_i32_e32 v3, 31, v6
	v_and_b32_e32 v0, v0, v7
	v_xor_b32_e32 v5, vcc_lo, v5
	v_lshl_add_u32 v1, v1, 4, v17
	v_mov_b32_e32 v24, v2
	v_xor_b32_e32 v3, s10, v3
	v_and_b32_e32 v0, v0, v4
	s_delay_alu instid0(VALU_DEP_4) | instskip(NEXT) | instid1(VALU_DEP_2)
	v_lshl_add_u32 v27, v1, 2, 64
	v_and_b32_e32 v0, v0, v5
	s_delay_alu instid0(VALU_DEP_1) | instskip(NEXT) | instid1(VALU_DEP_1)
	v_and_b32_e32 v0, v0, v3
	v_mbcnt_lo_u32_b32 v26, v0, 0
	v_cmp_ne_u32_e64 s10, 0, v0
	s_delay_alu instid0(VALU_DEP_2) | instskip(NEXT) | instid1(VALU_DEP_2)
	v_cmp_eq_u32_e32 vcc_lo, 0, v26
	s_and_b32 s15, s10, vcc_lo
	s_delay_alu instid0(SALU_CYCLE_1)
	s_and_saveexec_b32 s10, s15
	s_cbranch_execz .LBB234_6
; %bb.5:                                ;   in Loop: Header=BB234_4 Depth=2
	v_bcnt_u32_b32 v0, v0, 0
	ds_store_b32 v27, v0
.LBB234_6:                              ;   in Loop: Header=BB234_4 Depth=2
	s_or_b32 exec_lo, exec_lo, s10
	v_bfe_u32 v0, v25, s14, 1
	v_lshrrev_b32_e32 v1, s14, v25
	; wave barrier
	s_delay_alu instid0(VALU_DEP_2) | instskip(NEXT) | instid1(VALU_DEP_1)
	v_add_co_u32 v0, s10, v0, -1
	v_cndmask_b32_e64 v2, 0, 1, s10
	s_delay_alu instid0(VALU_DEP_3)
	v_lshlrev_b32_e32 v3, 30, v1
	v_lshlrev_b32_e32 v4, 29, v1
	;; [unrolled: 1-line block ×4, first 2 shown]
	v_cmp_ne_u32_e32 vcc_lo, 0, v2
	v_not_b32_e32 v2, v3
	v_cmp_gt_i32_e64 s10, 0, v3
	v_not_b32_e32 v3, v4
	v_lshlrev_b32_e32 v7, 26, v1
	v_xor_b32_e32 v0, vcc_lo, v0
	v_ashrrev_i32_e32 v2, 31, v2
	v_cmp_gt_i32_e32 vcc_lo, 0, v4
	v_not_b32_e32 v4, v5
	v_ashrrev_i32_e32 v3, 31, v3
	v_and_b32_e32 v0, exec_lo, v0
	v_xor_b32_e32 v2, s10, v2
	v_cmp_gt_i32_e64 s10, 0, v5
	v_not_b32_e32 v5, v6
	v_ashrrev_i32_e32 v4, 31, v4
	v_xor_b32_e32 v3, vcc_lo, v3
	v_and_b32_e32 v0, v0, v2
	v_cmp_gt_i32_e32 vcc_lo, 0, v6
	v_not_b32_e32 v2, v7
	v_ashrrev_i32_e32 v5, 31, v5
	v_xor_b32_e32 v4, s10, v4
	v_and_b32_e32 v0, v0, v3
	v_lshlrev_b32_e32 v3, 25, v1
	v_cmp_gt_i32_e64 s10, 0, v7
	v_ashrrev_i32_e32 v2, 31, v2
	v_xor_b32_e32 v5, vcc_lo, v5
	v_and_b32_e32 v0, v0, v4
	v_not_b32_e32 v6, v3
	v_lshlrev_b32_e32 v1, 24, v1
	v_bfe_u32 v4, v25, s14, 8
	v_xor_b32_e32 v2, s10, v2
	v_and_b32_e32 v0, v0, v5
	v_cmp_gt_i32_e32 vcc_lo, 0, v3
	v_ashrrev_i32_e32 v3, 31, v6
	v_not_b32_e32 v5, v1
	v_lshlrev_b32_e32 v4, 4, v4
	v_and_b32_e32 v0, v0, v2
	s_delay_alu instid0(VALU_DEP_4) | instskip(SKIP_3) | instid1(VALU_DEP_4)
	v_xor_b32_e32 v2, vcc_lo, v3
	v_cmp_gt_i32_e32 vcc_lo, 0, v1
	v_ashrrev_i32_e32 v1, 31, v5
	v_add_lshl_u32 v3, v4, v17, 2
	v_and_b32_e32 v0, v0, v2
	s_delay_alu instid0(VALU_DEP_3) | instskip(SKIP_3) | instid1(VALU_DEP_1)
	v_xor_b32_e32 v1, vcc_lo, v1
	ds_load_b32 v28, v3 offset:64
	v_add_nc_u32_e32 v30, 64, v3
	; wave barrier
	v_and_b32_e32 v0, v0, v1
	v_mbcnt_lo_u32_b32 v29, v0, 0
	v_cmp_ne_u32_e64 s10, 0, v0
	s_delay_alu instid0(VALU_DEP_2) | instskip(NEXT) | instid1(VALU_DEP_2)
	v_cmp_eq_u32_e32 vcc_lo, 0, v29
	s_and_b32 s15, s10, vcc_lo
	s_delay_alu instid0(SALU_CYCLE_1)
	s_and_saveexec_b32 s10, s15
	s_cbranch_execz .LBB234_8
; %bb.7:                                ;   in Loop: Header=BB234_4 Depth=2
	s_waitcnt lgkmcnt(0)
	v_bcnt_u32_b32 v0, v0, v28
	ds_store_b32 v30, v0
.LBB234_8:                              ;   in Loop: Header=BB234_4 Depth=2
	s_or_b32 exec_lo, exec_lo, s10
	v_bfe_u32 v0, v24, s14, 1
	v_lshrrev_b32_e32 v1, s14, v24
	; wave barrier
	s_delay_alu instid0(VALU_DEP_2) | instskip(NEXT) | instid1(VALU_DEP_1)
	v_add_co_u32 v0, s10, v0, -1
	v_cndmask_b32_e64 v2, 0, 1, s10
	s_delay_alu instid0(VALU_DEP_3)
	v_lshlrev_b32_e32 v3, 30, v1
	v_lshlrev_b32_e32 v4, 29, v1
	;; [unrolled: 1-line block ×4, first 2 shown]
	v_cmp_ne_u32_e32 vcc_lo, 0, v2
	v_not_b32_e32 v2, v3
	v_cmp_gt_i32_e64 s10, 0, v3
	v_not_b32_e32 v3, v4
	v_lshlrev_b32_e32 v7, 26, v1
	v_xor_b32_e32 v0, vcc_lo, v0
	v_ashrrev_i32_e32 v2, 31, v2
	v_cmp_gt_i32_e32 vcc_lo, 0, v4
	v_not_b32_e32 v4, v5
	v_ashrrev_i32_e32 v3, 31, v3
	v_and_b32_e32 v0, exec_lo, v0
	v_xor_b32_e32 v2, s10, v2
	v_cmp_gt_i32_e64 s10, 0, v5
	v_not_b32_e32 v5, v6
	v_ashrrev_i32_e32 v4, 31, v4
	v_xor_b32_e32 v3, vcc_lo, v3
	v_and_b32_e32 v0, v0, v2
	v_cmp_gt_i32_e32 vcc_lo, 0, v6
	v_not_b32_e32 v2, v7
	v_ashrrev_i32_e32 v5, 31, v5
	v_xor_b32_e32 v4, s10, v4
	v_and_b32_e32 v0, v0, v3
	v_lshlrev_b32_e32 v3, 25, v1
	v_cmp_gt_i32_e64 s10, 0, v7
	v_ashrrev_i32_e32 v2, 31, v2
	v_xor_b32_e32 v5, vcc_lo, v5
	v_and_b32_e32 v0, v0, v4
	v_not_b32_e32 v6, v3
	v_lshlrev_b32_e32 v1, 24, v1
	v_bfe_u32 v4, v24, s14, 8
	v_xor_b32_e32 v2, s10, v2
	v_and_b32_e32 v0, v0, v5
	v_cmp_gt_i32_e32 vcc_lo, 0, v3
	v_ashrrev_i32_e32 v3, 31, v6
	v_not_b32_e32 v5, v1
	v_lshlrev_b32_e32 v4, 4, v4
	v_and_b32_e32 v0, v0, v2
	s_delay_alu instid0(VALU_DEP_4) | instskip(SKIP_3) | instid1(VALU_DEP_4)
	v_xor_b32_e32 v2, vcc_lo, v3
	v_cmp_gt_i32_e32 vcc_lo, 0, v1
	v_ashrrev_i32_e32 v1, 31, v5
	v_add_lshl_u32 v3, v4, v17, 2
	v_and_b32_e32 v0, v0, v2
	s_delay_alu instid0(VALU_DEP_3) | instskip(SKIP_3) | instid1(VALU_DEP_1)
	v_xor_b32_e32 v1, vcc_lo, v1
	ds_load_b32 v31, v3 offset:64
	v_add_nc_u32_e32 v33, 64, v3
	; wave barrier
	v_and_b32_e32 v0, v0, v1
	v_mbcnt_lo_u32_b32 v32, v0, 0
	v_cmp_ne_u32_e64 s10, 0, v0
	s_delay_alu instid0(VALU_DEP_2) | instskip(NEXT) | instid1(VALU_DEP_2)
	v_cmp_eq_u32_e32 vcc_lo, 0, v32
	s_and_b32 s15, s10, vcc_lo
	s_delay_alu instid0(SALU_CYCLE_1)
	s_and_saveexec_b32 s10, s15
	s_cbranch_execz .LBB234_10
; %bb.9:                                ;   in Loop: Header=BB234_4 Depth=2
	s_waitcnt lgkmcnt(0)
	v_bcnt_u32_b32 v0, v0, v31
	ds_store_b32 v33, v0
.LBB234_10:                             ;   in Loop: Header=BB234_4 Depth=2
	s_or_b32 exec_lo, exec_lo, s10
	; wave barrier
	s_waitcnt lgkmcnt(0)
	s_barrier
	buffer_gl0_inv
	ds_load_2addr_b64 v[4:7], v13 offset0:8 offset1:9
	ds_load_2addr_b64 v[0:3], v16 offset0:2 offset1:3
	s_waitcnt lgkmcnt(1)
	v_add_nc_u32_e32 v34, v5, v4
	s_delay_alu instid0(VALU_DEP_1) | instskip(SKIP_1) | instid1(VALU_DEP_1)
	v_add3_u32 v34, v34, v6, v7
	s_waitcnt lgkmcnt(0)
	v_add3_u32 v34, v34, v0, v1
	s_delay_alu instid0(VALU_DEP_1) | instskip(NEXT) | instid1(VALU_DEP_1)
	v_add3_u32 v3, v34, v2, v3
	v_mov_b32_dpp v34, v3 row_shr:1 row_mask:0xf bank_mask:0xf
	s_delay_alu instid0(VALU_DEP_1) | instskip(NEXT) | instid1(VALU_DEP_1)
	v_cndmask_b32_e64 v34, v34, 0, s0
	v_add_nc_u32_e32 v3, v34, v3
	s_delay_alu instid0(VALU_DEP_1) | instskip(NEXT) | instid1(VALU_DEP_1)
	v_mov_b32_dpp v34, v3 row_shr:2 row_mask:0xf bank_mask:0xf
	v_cndmask_b32_e64 v34, 0, v34, s1
	s_delay_alu instid0(VALU_DEP_1) | instskip(NEXT) | instid1(VALU_DEP_1)
	v_add_nc_u32_e32 v3, v3, v34
	v_mov_b32_dpp v34, v3 row_shr:4 row_mask:0xf bank_mask:0xf
	s_delay_alu instid0(VALU_DEP_1) | instskip(NEXT) | instid1(VALU_DEP_1)
	v_cndmask_b32_e64 v34, 0, v34, s2
	v_add_nc_u32_e32 v3, v3, v34
	s_delay_alu instid0(VALU_DEP_1) | instskip(NEXT) | instid1(VALU_DEP_1)
	v_mov_b32_dpp v34, v3 row_shr:8 row_mask:0xf bank_mask:0xf
	v_cndmask_b32_e64 v34, 0, v34, s3
	s_delay_alu instid0(VALU_DEP_1) | instskip(SKIP_3) | instid1(VALU_DEP_1)
	v_add_nc_u32_e32 v3, v3, v34
	ds_swizzle_b32 v34, v3 offset:swizzle(BROADCAST,32,15)
	s_waitcnt lgkmcnt(0)
	v_cndmask_b32_e64 v34, v34, 0, s4
	v_add_nc_u32_e32 v3, v3, v34
	s_and_saveexec_b32 s10, s5
	s_cbranch_execz .LBB234_12
; %bb.11:                               ;   in Loop: Header=BB234_4 Depth=2
	ds_store_b32 v19, v3
.LBB234_12:                             ;   in Loop: Header=BB234_4 Depth=2
	s_or_b32 exec_lo, exec_lo, s10
	s_waitcnt lgkmcnt(0)
	s_barrier
	buffer_gl0_inv
	s_and_saveexec_b32 s10, s6
	s_cbranch_execz .LBB234_14
; %bb.13:                               ;   in Loop: Header=BB234_4 Depth=2
	ds_load_b32 v34, v22
	s_waitcnt lgkmcnt(0)
	v_mov_b32_dpp v35, v34 row_shr:1 row_mask:0xf bank_mask:0xf
	s_delay_alu instid0(VALU_DEP_1) | instskip(NEXT) | instid1(VALU_DEP_1)
	v_cndmask_b32_e64 v35, v35, 0, s0
	v_add_nc_u32_e32 v34, v35, v34
	s_delay_alu instid0(VALU_DEP_1) | instskip(NEXT) | instid1(VALU_DEP_1)
	v_mov_b32_dpp v35, v34 row_shr:2 row_mask:0xf bank_mask:0xf
	v_cndmask_b32_e64 v35, 0, v35, s1
	s_delay_alu instid0(VALU_DEP_1) | instskip(NEXT) | instid1(VALU_DEP_1)
	v_add_nc_u32_e32 v34, v34, v35
	v_mov_b32_dpp v35, v34 row_shr:4 row_mask:0xf bank_mask:0xf
	s_delay_alu instid0(VALU_DEP_1) | instskip(NEXT) | instid1(VALU_DEP_1)
	v_cndmask_b32_e64 v35, 0, v35, s2
	v_add_nc_u32_e32 v34, v34, v35
	s_delay_alu instid0(VALU_DEP_1) | instskip(NEXT) | instid1(VALU_DEP_1)
	v_mov_b32_dpp v35, v34 row_shr:8 row_mask:0xf bank_mask:0xf
	v_cndmask_b32_e64 v35, 0, v35, s3
	s_delay_alu instid0(VALU_DEP_1)
	v_add_nc_u32_e32 v34, v34, v35
	ds_store_b32 v22, v34
.LBB234_14:                             ;   in Loop: Header=BB234_4 Depth=2
	s_or_b32 exec_lo, exec_lo, s10
	v_mov_b32_e32 v34, 0
	s_waitcnt lgkmcnt(0)
	s_barrier
	buffer_gl0_inv
	s_and_saveexec_b32 s10, s7
	s_cbranch_execz .LBB234_16
; %bb.15:                               ;   in Loop: Header=BB234_4 Depth=2
	ds_load_b32 v34, v20
.LBB234_16:                             ;   in Loop: Header=BB234_4 Depth=2
	s_or_b32 exec_lo, exec_lo, s10
	s_waitcnt lgkmcnt(0)
	v_add_nc_u32_e32 v3, v34, v3
	s_cmp_gt_u32 s14, 23
	ds_bpermute_b32 v3, v18, v3
	s_waitcnt lgkmcnt(0)
	v_cndmask_b32_e64 v3, v3, v34, s8
	s_delay_alu instid0(VALU_DEP_1) | instskip(NEXT) | instid1(VALU_DEP_1)
	v_cndmask_b32_e64 v3, v3, 0, s9
	v_add_nc_u32_e32 v4, v3, v4
	s_delay_alu instid0(VALU_DEP_1) | instskip(NEXT) | instid1(VALU_DEP_1)
	v_add_nc_u32_e32 v5, v4, v5
	v_add_nc_u32_e32 v6, v5, v6
	s_delay_alu instid0(VALU_DEP_1) | instskip(NEXT) | instid1(VALU_DEP_1)
	v_add_nc_u32_e32 v34, v6, v7
	;; [unrolled: 3-line block ×3, first 2 shown]
	v_add_nc_u32_e32 v1, v0, v2
	ds_store_2addr_b64 v13, v[3:4], v[5:6] offset0:8 offset1:9
	ds_store_2addr_b64 v16, v[34:35], v[0:1] offset0:2 offset1:3
	s_waitcnt lgkmcnt(0)
	s_barrier
	buffer_gl0_inv
	ds_load_b32 v0, v27
	ds_load_b32 v1, v30
	;; [unrolled: 1-line block ×3, first 2 shown]
	s_waitcnt lgkmcnt(2)
	v_add_nc_u32_e32 v5, v0, v26
	s_waitcnt lgkmcnt(1)
	v_add3_u32 v4, v29, v28, v1
	s_waitcnt lgkmcnt(0)
	v_add3_u32 v3, v32, v31, v2
	s_cbranch_scc0 .LBB234_3
; %bb.17:                               ;   in Loop: Header=BB234_2 Depth=1
                                        ; implicit-def: $vgpr2
                                        ; implicit-def: $vgpr1
                                        ; implicit-def: $sgpr14
	s_branch .LBB234_1
.LBB234_18:
	v_lshlrev_b32_e32 v0, 2, v8
	s_add_u32 s0, s18, s12
	s_addc_u32 s1, s19, s13
	s_delay_alu instid0(VALU_DEP_1) | instskip(NEXT) | instid1(VALU_DEP_1)
	v_add_co_u32 v4, s2, s0, v0
	v_add_co_ci_u32_e64 v5, null, s1, 0, s2
	s_delay_alu instid0(VALU_DEP_2) | instskip(NEXT) | instid1(VALU_DEP_2)
	v_add_co_u32 v4, vcc_lo, 0x1000, v4
	v_add_co_ci_u32_e32 v5, vcc_lo, 0, v5, vcc_lo
	s_clause 0x2
	global_store_b32 v0, v1, s[0:1]
	global_store_b32 v0, v2, s[0:1] offset:2048
	global_store_b32 v[4:5], v3, off
	s_nop 0
	s_sendmsg sendmsg(MSG_DEALLOC_VGPRS)
	s_endpgm
	.section	.rodata,"a",@progbits
	.p2align	6, 0x0
	.amdhsa_kernel _Z16sort_keys_kernelI22helper_blocked_stripediLj512ELj3ELj10EEvPKT0_PS1_
		.amdhsa_group_segment_fixed_size 16448
		.amdhsa_private_segment_fixed_size 0
		.amdhsa_kernarg_size 272
		.amdhsa_user_sgpr_count 15
		.amdhsa_user_sgpr_dispatch_ptr 0
		.amdhsa_user_sgpr_queue_ptr 0
		.amdhsa_user_sgpr_kernarg_segment_ptr 1
		.amdhsa_user_sgpr_dispatch_id 0
		.amdhsa_user_sgpr_private_segment_size 0
		.amdhsa_wavefront_size32 1
		.amdhsa_uses_dynamic_stack 0
		.amdhsa_enable_private_segment 0
		.amdhsa_system_sgpr_workgroup_id_x 1
		.amdhsa_system_sgpr_workgroup_id_y 0
		.amdhsa_system_sgpr_workgroup_id_z 0
		.amdhsa_system_sgpr_workgroup_info 0
		.amdhsa_system_vgpr_workitem_id 2
		.amdhsa_next_free_vgpr 36
		.amdhsa_next_free_sgpr 20
		.amdhsa_reserve_vcc 1
		.amdhsa_float_round_mode_32 0
		.amdhsa_float_round_mode_16_64 0
		.amdhsa_float_denorm_mode_32 3
		.amdhsa_float_denorm_mode_16_64 3
		.amdhsa_dx10_clamp 1
		.amdhsa_ieee_mode 1
		.amdhsa_fp16_overflow 0
		.amdhsa_workgroup_processor_mode 1
		.amdhsa_memory_ordered 1
		.amdhsa_forward_progress 0
		.amdhsa_shared_vgpr_count 0
		.amdhsa_exception_fp_ieee_invalid_op 0
		.amdhsa_exception_fp_denorm_src 0
		.amdhsa_exception_fp_ieee_div_zero 0
		.amdhsa_exception_fp_ieee_overflow 0
		.amdhsa_exception_fp_ieee_underflow 0
		.amdhsa_exception_fp_ieee_inexact 0
		.amdhsa_exception_int_div_zero 0
	.end_amdhsa_kernel
	.section	.text._Z16sort_keys_kernelI22helper_blocked_stripediLj512ELj3ELj10EEvPKT0_PS1_,"axG",@progbits,_Z16sort_keys_kernelI22helper_blocked_stripediLj512ELj3ELj10EEvPKT0_PS1_,comdat
.Lfunc_end234:
	.size	_Z16sort_keys_kernelI22helper_blocked_stripediLj512ELj3ELj10EEvPKT0_PS1_, .Lfunc_end234-_Z16sort_keys_kernelI22helper_blocked_stripediLj512ELj3ELj10EEvPKT0_PS1_
                                        ; -- End function
	.section	.AMDGPU.csdata,"",@progbits
; Kernel info:
; codeLenInByte = 2408
; NumSgprs: 22
; NumVgprs: 36
; ScratchSize: 0
; MemoryBound: 0
; FloatMode: 240
; IeeeMode: 1
; LDSByteSize: 16448 bytes/workgroup (compile time only)
; SGPRBlocks: 2
; VGPRBlocks: 4
; NumSGPRsForWavesPerEU: 22
; NumVGPRsForWavesPerEU: 36
; Occupancy: 16
; WaveLimiterHint : 1
; COMPUTE_PGM_RSRC2:SCRATCH_EN: 0
; COMPUTE_PGM_RSRC2:USER_SGPR: 15
; COMPUTE_PGM_RSRC2:TRAP_HANDLER: 0
; COMPUTE_PGM_RSRC2:TGID_X_EN: 1
; COMPUTE_PGM_RSRC2:TGID_Y_EN: 0
; COMPUTE_PGM_RSRC2:TGID_Z_EN: 0
; COMPUTE_PGM_RSRC2:TIDIG_COMP_CNT: 2
	.section	.text._Z17sort_pairs_kernelI22helper_blocked_stripediLj512ELj3ELj10EEvPKT0_PS1_,"axG",@progbits,_Z17sort_pairs_kernelI22helper_blocked_stripediLj512ELj3ELj10EEvPKT0_PS1_,comdat
	.protected	_Z17sort_pairs_kernelI22helper_blocked_stripediLj512ELj3ELj10EEvPKT0_PS1_ ; -- Begin function _Z17sort_pairs_kernelI22helper_blocked_stripediLj512ELj3ELj10EEvPKT0_PS1_
	.globl	_Z17sort_pairs_kernelI22helper_blocked_stripediLj512ELj3ELj10EEvPKT0_PS1_
	.p2align	8
	.type	_Z17sort_pairs_kernelI22helper_blocked_stripediLj512ELj3ELj10EEvPKT0_PS1_,@function
_Z17sort_pairs_kernelI22helper_blocked_stripediLj512ELj3ELj10EEvPKT0_PS1_: ; @_Z17sort_pairs_kernelI22helper_blocked_stripediLj512ELj3ELj10EEvPKT0_PS1_
; %bb.0:
	s_clause 0x1
	s_load_b128 s[16:19], s[0:1], 0x0
	s_load_b32 s9, s[0:1], 0x1c
	s_mov_b32 s11, 0
	s_mul_i32 s10, s15, 0x600
	v_mbcnt_lo_u32_b32 v6, -1, 0
	s_lshl_b64 s[12:13], s[10:11], 2
	s_mov_b32 s10, s11
	s_delay_alu instid0(SALU_CYCLE_1) | instskip(NEXT) | instid1(VALU_DEP_2)
	v_dual_mov_b32 v9, s10 :: v_dual_and_b32 v8, 0x3ff, v0
	v_add_nc_u32_e32 v11, -1, v6
	s_mov_b32 s14, s11
	s_mov_b32 s15, s11
	s_delay_alu instid0(VALU_DEP_2) | instskip(SKIP_3) | instid1(VALU_DEP_4)
	v_mul_u32_u24_e32 v1, 3, v8
	v_dual_mov_b32 v10, s11 :: v_dual_and_b32 v5, 15, v6
	v_and_b32_e32 v7, 16, v6
	v_lshrrev_b32_e32 v12, 5, v8
	v_lshlrev_b32_e32 v1, 2, v1
	v_cmp_gt_i32_e32 vcc_lo, 0, v11
	v_bfe_u32 v4, v0, 10, 10
	s_waitcnt lgkmcnt(0)
	s_add_u32 s0, s16, s12
	s_addc_u32 s1, s17, s13
	v_bfe_u32 v0, v0, 20, 10
	global_load_b96 v[1:3], v1, s[0:1]
	v_cmp_eq_u32_e64 s1, 0, v5
	v_cmp_lt_u32_e64 s2, 1, v5
	v_cmp_lt_u32_e64 s3, 3, v5
	;; [unrolled: 1-line block ×3, first 2 shown]
	v_cmp_eq_u32_e64 s5, 0, v7
	v_and_b32_e32 v5, 0x1e0, v8
	v_cndmask_b32_e32 v7, v11, v6, vcc_lo
	v_mul_u32_u24_e32 v11, 0x60, v12
	s_lshr_b32 s10, s9, 16
	v_lshlrev_b32_e32 v17, 2, v12
	v_mad_u32_u24 v0, v0, s10, v4
	s_and_b32 s9, s9, 0xffff
	v_lshlrev_b32_e32 v12, 2, v11
	v_lshlrev_b32_e32 v16, 2, v7
	v_mul_u32_u24_e32 v7, 3, v5
	v_or_b32_e32 v18, 31, v5
	v_mad_u64_u32 v[4:5], null, v0, s9, v[8:9]
	v_lshlrev_b32_e32 v13, 5, v8
	v_or_b32_e32 v0, v6, v11
	v_or_b32_e32 v5, v6, v7
	v_mad_u32_u24 v19, v6, 12, v12
	v_mov_b32_e32 v11, s14
	v_cmp_eq_u32_e64 s0, 0, v6
	v_cmp_gt_u32_e64 s6, 16, v8
	v_cmp_lt_u32_e64 s7, 31, v8
	v_cmp_eq_u32_e64 s8, 0, v8
	v_mul_i32_i24_e32 v14, 0xffffffe4, v8
	v_add_nc_u32_e32 v15, 64, v13
	v_cmp_eq_u32_e64 s9, v18, v8
	v_add_nc_u32_e32 v18, -4, v17
	v_lshlrev_b32_e32 v20, 2, v0
	v_lshlrev_b32_e32 v21, 2, v5
	v_lshrrev_b32_e32 v22, 5, v4
	v_mov_b32_e32 v12, s15
	s_waitcnt vmcnt(0)
	v_add_nc_u32_e32 v4, 1, v1
	v_add_nc_u32_e32 v5, 1, v2
	;; [unrolled: 1-line block ×3, first 2 shown]
	s_branch .LBB235_2
.LBB235_1:                              ;   in Loop: Header=BB235_2 Depth=1
	v_lshlrev_b32_e32 v0, 2, v29
	s_delay_alu instid0(VALU_DEP_2)
	v_lshlrev_b32_e32 v4, 2, v5
	v_add_nc_u32_e32 v6, v13, v14
	v_lshlrev_b32_e32 v3, 2, v7
	s_barrier
	buffer_gl0_inv
	ds_store_b32 v0, v23
	ds_store_b32 v3, v28
	;; [unrolled: 1-line block ×3, first 2 shown]
	s_waitcnt lgkmcnt(0)
	s_barrier
	buffer_gl0_inv
	ds_load_2addr_stride64_b32 v[1:2], v6 offset1:8
	ds_load_b32 v23, v6 offset:4096
	s_waitcnt lgkmcnt(0)
	s_barrier
	buffer_gl0_inv
	ds_store_b32 v0, v26
	ds_store_b32 v3, v25
	ds_store_b32 v4, v24
	s_waitcnt lgkmcnt(0)
	s_barrier
	buffer_gl0_inv
	ds_load_2addr_stride64_b32 v[4:5], v6 offset1:8
	ds_load_b32 v7, v6 offset:4096
	s_add_i32 s11, s11, 1
	s_delay_alu instid0(SALU_CYCLE_1)
	s_cmp_eq_u32 s11, 10
	v_xor_b32_e32 v1, 0x80000000, v1
	v_xor_b32_e32 v2, 0x80000000, v2
	v_xor_b32_e32 v3, 0x80000000, v23
	s_cbranch_scc1 .LBB235_18
.LBB235_2:                              ; =>This Loop Header: Depth=1
                                        ;     Child Loop BB235_4 Depth 2
	s_delay_alu instid0(VALU_DEP_3) | instskip(NEXT) | instid1(VALU_DEP_3)
	v_xor_b32_e32 v0, 0x80000000, v1
	v_xor_b32_e32 v1, 0x80000000, v2
	s_delay_alu instid0(VALU_DEP_3)
	v_xor_b32_e32 v2, 0x80000000, v3
	s_mov_b32 s14, 0
	ds_store_2addr_b32 v19, v0, v1 offset1:1
	ds_store_b32 v19, v2 offset:8
	; wave barrier
	ds_load_2addr_b32 v[0:1], v20 offset1:32
	ds_load_b32 v6, v20 offset:256
	; wave barrier
	s_waitcnt lgkmcnt(5)
	ds_store_2addr_b32 v19, v4, v5 offset1:1
	s_waitcnt lgkmcnt(5)
	ds_store_b32 v19, v7 offset:8
	; wave barrier
	ds_load_2addr_b32 v[2:3], v20 offset1:32
	ds_load_b32 v4, v20 offset:256
	s_waitcnt lgkmcnt(0)
	s_barrier
	s_branch .LBB235_4
.LBB235_3:                              ;   in Loop: Header=BB235_4 Depth=2
	v_lshlrev_b32_e32 v2, 2, v29
	v_lshlrev_b32_e32 v3, 2, v7
	s_delay_alu instid0(VALU_DEP_3)
	v_lshlrev_b32_e32 v4, 2, v5
	s_barrier
	buffer_gl0_inv
	ds_store_b32 v2, v23
	ds_store_b32 v3, v28
	;; [unrolled: 1-line block ×3, first 2 shown]
	s_waitcnt lgkmcnt(0)
	s_barrier
	buffer_gl0_inv
	ds_load_2addr_b32 v[0:1], v21 offset1:32
	ds_load_b32 v6, v21 offset:256
	s_waitcnt lgkmcnt(0)
	s_barrier
	buffer_gl0_inv
	ds_store_b32 v2, v26
	ds_store_b32 v3, v25
	;; [unrolled: 1-line block ×3, first 2 shown]
	s_waitcnt lgkmcnt(0)
	s_barrier
	buffer_gl0_inv
	ds_load_2addr_b32 v[2:3], v21 offset1:32
	ds_load_b32 v4, v21 offset:256
	s_add_i32 s14, s14, 8
	s_waitcnt lgkmcnt(0)
	s_barrier
	s_cbranch_execz .LBB235_1
.LBB235_4:                              ;   Parent Loop BB235_2 Depth=1
                                        ; =>  This Inner Loop Header: Depth=2
	v_mov_b32_e32 v23, v0
	buffer_gl0_inv
	ds_store_2addr_b64 v13, v[9:10], v[11:12] offset0:8 offset1:9
	ds_store_2addr_b64 v15, v[9:10], v[11:12] offset0:2 offset1:3
	s_waitcnt lgkmcnt(0)
	s_barrier
	v_lshrrev_b32_e32 v5, s14, v23
	buffer_gl0_inv
	; wave barrier
	v_lshlrev_b32_e32 v24, 30, v5
	v_bfe_u32 v0, v23, s14, 1
	v_lshlrev_b32_e32 v25, 29, v5
	v_lshlrev_b32_e32 v26, 28, v5
	;; [unrolled: 1-line block ×4, first 2 shown]
	v_add_co_u32 v0, s10, v0, -1
	s_delay_alu instid0(VALU_DEP_1) | instskip(SKIP_3) | instid1(VALU_DEP_4)
	v_cndmask_b32_e64 v7, 0, 1, s10
	v_cmp_gt_i32_e64 s10, 0, v24
	v_lshlrev_b32_e32 v29, 25, v5
	v_lshlrev_b32_e32 v5, 24, v5
	v_cmp_ne_u32_e32 vcc_lo, 0, v7
	v_not_b32_e32 v7, v24
	v_not_b32_e32 v24, v25
	v_xor_b32_e32 v0, vcc_lo, v0
	s_delay_alu instid0(VALU_DEP_3)
	v_ashrrev_i32_e32 v7, 31, v7
	v_cmp_gt_i32_e32 vcc_lo, 0, v25
	v_not_b32_e32 v25, v26
	v_ashrrev_i32_e32 v24, 31, v24
	v_and_b32_e32 v0, exec_lo, v0
	v_xor_b32_e32 v7, s10, v7
	v_cmp_gt_i32_e64 s10, 0, v26
	v_not_b32_e32 v26, v27
	v_ashrrev_i32_e32 v25, 31, v25
	v_xor_b32_e32 v24, vcc_lo, v24
	v_and_b32_e32 v0, v0, v7
	v_cmp_gt_i32_e32 vcc_lo, 0, v27
	v_ashrrev_i32_e32 v26, 31, v26
	v_xor_b32_e32 v25, s10, v25
	v_not_b32_e32 v7, v28
	v_and_b32_e32 v0, v0, v24
	v_cmp_gt_i32_e64 s10, 0, v28
	v_xor_b32_e32 v26, vcc_lo, v26
	v_mov_b32_e32 v28, v1
	v_ashrrev_i32_e32 v7, 31, v7
	v_and_b32_e32 v0, v0, v25
	v_not_b32_e32 v25, v5
	v_bfe_u32 v1, v23, s14, 8
	v_mov_b32_e32 v27, v6
	v_xor_b32_e32 v7, s10, v7
	v_and_b32_e32 v0, v0, v26
	v_mov_b32_e32 v26, v2
	v_not_b32_e32 v24, v29
	v_cmp_gt_i32_e32 vcc_lo, 0, v29
	v_cmp_gt_i32_e64 s10, 0, v5
	v_ashrrev_i32_e32 v5, 31, v25
	v_and_b32_e32 v0, v0, v7
	v_ashrrev_i32_e32 v24, 31, v24
	v_lshl_add_u32 v1, v1, 4, v22
	v_mov_b32_e32 v25, v3
	v_xor_b32_e32 v5, s10, v5
	s_delay_alu instid0(VALU_DEP_4) | instskip(NEXT) | instid1(VALU_DEP_4)
	v_xor_b32_e32 v24, vcc_lo, v24
	v_lshl_add_u32 v30, v1, 2, 64
	s_delay_alu instid0(VALU_DEP_2) | instskip(SKIP_1) | instid1(VALU_DEP_2)
	v_and_b32_e32 v0, v0, v24
	v_mov_b32_e32 v24, v4
	v_and_b32_e32 v0, v0, v5
	s_delay_alu instid0(VALU_DEP_1) | instskip(SKIP_1) | instid1(VALU_DEP_2)
	v_mbcnt_lo_u32_b32 v29, v0, 0
	v_cmp_ne_u32_e64 s10, 0, v0
	v_cmp_eq_u32_e32 vcc_lo, 0, v29
	s_delay_alu instid0(VALU_DEP_2) | instskip(NEXT) | instid1(SALU_CYCLE_1)
	s_and_b32 s15, s10, vcc_lo
	s_and_saveexec_b32 s10, s15
	s_cbranch_execz .LBB235_6
; %bb.5:                                ;   in Loop: Header=BB235_4 Depth=2
	v_bcnt_u32_b32 v0, v0, 0
	ds_store_b32 v30, v0
.LBB235_6:                              ;   in Loop: Header=BB235_4 Depth=2
	s_or_b32 exec_lo, exec_lo, s10
	v_bfe_u32 v0, v28, s14, 1
	v_lshrrev_b32_e32 v1, s14, v28
	; wave barrier
	s_delay_alu instid0(VALU_DEP_2) | instskip(NEXT) | instid1(VALU_DEP_1)
	v_add_co_u32 v0, s10, v0, -1
	v_cndmask_b32_e64 v2, 0, 1, s10
	s_delay_alu instid0(VALU_DEP_3)
	v_lshlrev_b32_e32 v3, 30, v1
	v_lshlrev_b32_e32 v4, 29, v1
	;; [unrolled: 1-line block ×4, first 2 shown]
	v_cmp_ne_u32_e32 vcc_lo, 0, v2
	v_not_b32_e32 v2, v3
	v_cmp_gt_i32_e64 s10, 0, v3
	v_not_b32_e32 v3, v4
	v_lshlrev_b32_e32 v7, 26, v1
	v_xor_b32_e32 v0, vcc_lo, v0
	v_ashrrev_i32_e32 v2, 31, v2
	v_cmp_gt_i32_e32 vcc_lo, 0, v4
	v_not_b32_e32 v4, v5
	v_ashrrev_i32_e32 v3, 31, v3
	v_and_b32_e32 v0, exec_lo, v0
	v_xor_b32_e32 v2, s10, v2
	v_cmp_gt_i32_e64 s10, 0, v5
	v_not_b32_e32 v5, v6
	v_ashrrev_i32_e32 v4, 31, v4
	v_xor_b32_e32 v3, vcc_lo, v3
	v_and_b32_e32 v0, v0, v2
	v_cmp_gt_i32_e32 vcc_lo, 0, v6
	v_not_b32_e32 v2, v7
	v_ashrrev_i32_e32 v5, 31, v5
	v_xor_b32_e32 v4, s10, v4
	v_and_b32_e32 v0, v0, v3
	v_lshlrev_b32_e32 v3, 25, v1
	v_cmp_gt_i32_e64 s10, 0, v7
	v_ashrrev_i32_e32 v2, 31, v2
	v_xor_b32_e32 v5, vcc_lo, v5
	v_and_b32_e32 v0, v0, v4
	v_not_b32_e32 v6, v3
	v_lshlrev_b32_e32 v1, 24, v1
	v_bfe_u32 v4, v28, s14, 8
	v_xor_b32_e32 v2, s10, v2
	v_and_b32_e32 v0, v0, v5
	v_cmp_gt_i32_e32 vcc_lo, 0, v3
	v_ashrrev_i32_e32 v3, 31, v6
	v_not_b32_e32 v5, v1
	v_lshlrev_b32_e32 v4, 4, v4
	v_and_b32_e32 v0, v0, v2
	s_delay_alu instid0(VALU_DEP_4) | instskip(SKIP_3) | instid1(VALU_DEP_4)
	v_xor_b32_e32 v2, vcc_lo, v3
	v_cmp_gt_i32_e32 vcc_lo, 0, v1
	v_ashrrev_i32_e32 v1, 31, v5
	v_add_lshl_u32 v3, v4, v22, 2
	v_and_b32_e32 v0, v0, v2
	s_delay_alu instid0(VALU_DEP_3) | instskip(SKIP_3) | instid1(VALU_DEP_1)
	v_xor_b32_e32 v1, vcc_lo, v1
	ds_load_b32 v31, v3 offset:64
	v_add_nc_u32_e32 v33, 64, v3
	; wave barrier
	v_and_b32_e32 v0, v0, v1
	v_mbcnt_lo_u32_b32 v32, v0, 0
	v_cmp_ne_u32_e64 s10, 0, v0
	s_delay_alu instid0(VALU_DEP_2) | instskip(NEXT) | instid1(VALU_DEP_2)
	v_cmp_eq_u32_e32 vcc_lo, 0, v32
	s_and_b32 s15, s10, vcc_lo
	s_delay_alu instid0(SALU_CYCLE_1)
	s_and_saveexec_b32 s10, s15
	s_cbranch_execz .LBB235_8
; %bb.7:                                ;   in Loop: Header=BB235_4 Depth=2
	s_waitcnt lgkmcnt(0)
	v_bcnt_u32_b32 v0, v0, v31
	ds_store_b32 v33, v0
.LBB235_8:                              ;   in Loop: Header=BB235_4 Depth=2
	s_or_b32 exec_lo, exec_lo, s10
	v_bfe_u32 v0, v27, s14, 1
	v_lshrrev_b32_e32 v1, s14, v27
	; wave barrier
	s_delay_alu instid0(VALU_DEP_2) | instskip(NEXT) | instid1(VALU_DEP_1)
	v_add_co_u32 v0, s10, v0, -1
	v_cndmask_b32_e64 v2, 0, 1, s10
	s_delay_alu instid0(VALU_DEP_3)
	v_lshlrev_b32_e32 v3, 30, v1
	v_lshlrev_b32_e32 v4, 29, v1
	;; [unrolled: 1-line block ×4, first 2 shown]
	v_cmp_ne_u32_e32 vcc_lo, 0, v2
	v_not_b32_e32 v2, v3
	v_cmp_gt_i32_e64 s10, 0, v3
	v_not_b32_e32 v3, v4
	v_lshlrev_b32_e32 v7, 26, v1
	v_xor_b32_e32 v0, vcc_lo, v0
	v_ashrrev_i32_e32 v2, 31, v2
	v_cmp_gt_i32_e32 vcc_lo, 0, v4
	v_not_b32_e32 v4, v5
	v_ashrrev_i32_e32 v3, 31, v3
	v_and_b32_e32 v0, exec_lo, v0
	v_xor_b32_e32 v2, s10, v2
	v_cmp_gt_i32_e64 s10, 0, v5
	v_not_b32_e32 v5, v6
	v_ashrrev_i32_e32 v4, 31, v4
	v_xor_b32_e32 v3, vcc_lo, v3
	v_and_b32_e32 v0, v0, v2
	v_cmp_gt_i32_e32 vcc_lo, 0, v6
	v_not_b32_e32 v2, v7
	v_ashrrev_i32_e32 v5, 31, v5
	v_xor_b32_e32 v4, s10, v4
	v_and_b32_e32 v0, v0, v3
	v_lshlrev_b32_e32 v3, 25, v1
	v_cmp_gt_i32_e64 s10, 0, v7
	v_ashrrev_i32_e32 v2, 31, v2
	v_xor_b32_e32 v5, vcc_lo, v5
	v_and_b32_e32 v0, v0, v4
	v_not_b32_e32 v6, v3
	v_lshlrev_b32_e32 v1, 24, v1
	v_bfe_u32 v4, v27, s14, 8
	v_xor_b32_e32 v2, s10, v2
	v_and_b32_e32 v0, v0, v5
	v_cmp_gt_i32_e32 vcc_lo, 0, v3
	v_ashrrev_i32_e32 v3, 31, v6
	v_not_b32_e32 v5, v1
	v_lshlrev_b32_e32 v4, 4, v4
	v_and_b32_e32 v0, v0, v2
	s_delay_alu instid0(VALU_DEP_4) | instskip(SKIP_3) | instid1(VALU_DEP_4)
	v_xor_b32_e32 v2, vcc_lo, v3
	v_cmp_gt_i32_e32 vcc_lo, 0, v1
	v_ashrrev_i32_e32 v1, 31, v5
	v_add_lshl_u32 v3, v4, v22, 2
	v_and_b32_e32 v0, v0, v2
	s_delay_alu instid0(VALU_DEP_3) | instskip(SKIP_3) | instid1(VALU_DEP_1)
	v_xor_b32_e32 v1, vcc_lo, v1
	ds_load_b32 v34, v3 offset:64
	v_add_nc_u32_e32 v36, 64, v3
	; wave barrier
	v_and_b32_e32 v0, v0, v1
	v_mbcnt_lo_u32_b32 v35, v0, 0
	v_cmp_ne_u32_e64 s10, 0, v0
	s_delay_alu instid0(VALU_DEP_2) | instskip(NEXT) | instid1(VALU_DEP_2)
	v_cmp_eq_u32_e32 vcc_lo, 0, v35
	s_and_b32 s15, s10, vcc_lo
	s_delay_alu instid0(SALU_CYCLE_1)
	s_and_saveexec_b32 s10, s15
	s_cbranch_execz .LBB235_10
; %bb.9:                                ;   in Loop: Header=BB235_4 Depth=2
	s_waitcnt lgkmcnt(0)
	v_bcnt_u32_b32 v0, v0, v34
	ds_store_b32 v36, v0
.LBB235_10:                             ;   in Loop: Header=BB235_4 Depth=2
	s_or_b32 exec_lo, exec_lo, s10
	; wave barrier
	s_waitcnt lgkmcnt(0)
	s_barrier
	buffer_gl0_inv
	ds_load_2addr_b64 v[4:7], v13 offset0:8 offset1:9
	ds_load_2addr_b64 v[0:3], v15 offset0:2 offset1:3
	s_waitcnt lgkmcnt(1)
	v_add_nc_u32_e32 v37, v5, v4
	s_delay_alu instid0(VALU_DEP_1) | instskip(SKIP_1) | instid1(VALU_DEP_1)
	v_add3_u32 v37, v37, v6, v7
	s_waitcnt lgkmcnt(0)
	v_add3_u32 v37, v37, v0, v1
	s_delay_alu instid0(VALU_DEP_1) | instskip(NEXT) | instid1(VALU_DEP_1)
	v_add3_u32 v3, v37, v2, v3
	v_mov_b32_dpp v37, v3 row_shr:1 row_mask:0xf bank_mask:0xf
	s_delay_alu instid0(VALU_DEP_1) | instskip(NEXT) | instid1(VALU_DEP_1)
	v_cndmask_b32_e64 v37, v37, 0, s1
	v_add_nc_u32_e32 v3, v37, v3
	s_delay_alu instid0(VALU_DEP_1) | instskip(NEXT) | instid1(VALU_DEP_1)
	v_mov_b32_dpp v37, v3 row_shr:2 row_mask:0xf bank_mask:0xf
	v_cndmask_b32_e64 v37, 0, v37, s2
	s_delay_alu instid0(VALU_DEP_1) | instskip(NEXT) | instid1(VALU_DEP_1)
	v_add_nc_u32_e32 v3, v3, v37
	v_mov_b32_dpp v37, v3 row_shr:4 row_mask:0xf bank_mask:0xf
	s_delay_alu instid0(VALU_DEP_1) | instskip(NEXT) | instid1(VALU_DEP_1)
	v_cndmask_b32_e64 v37, 0, v37, s3
	v_add_nc_u32_e32 v3, v3, v37
	s_delay_alu instid0(VALU_DEP_1) | instskip(NEXT) | instid1(VALU_DEP_1)
	v_mov_b32_dpp v37, v3 row_shr:8 row_mask:0xf bank_mask:0xf
	v_cndmask_b32_e64 v37, 0, v37, s4
	s_delay_alu instid0(VALU_DEP_1) | instskip(SKIP_3) | instid1(VALU_DEP_1)
	v_add_nc_u32_e32 v3, v3, v37
	ds_swizzle_b32 v37, v3 offset:swizzle(BROADCAST,32,15)
	s_waitcnt lgkmcnt(0)
	v_cndmask_b32_e64 v37, v37, 0, s5
	v_add_nc_u32_e32 v3, v3, v37
	s_and_saveexec_b32 s10, s9
	s_cbranch_execz .LBB235_12
; %bb.11:                               ;   in Loop: Header=BB235_4 Depth=2
	ds_store_b32 v17, v3
.LBB235_12:                             ;   in Loop: Header=BB235_4 Depth=2
	s_or_b32 exec_lo, exec_lo, s10
	s_waitcnt lgkmcnt(0)
	s_barrier
	buffer_gl0_inv
	s_and_saveexec_b32 s10, s6
	s_cbranch_execz .LBB235_14
; %bb.13:                               ;   in Loop: Header=BB235_4 Depth=2
	v_add_nc_u32_e32 v37, v13, v14
	ds_load_b32 v38, v37
	s_waitcnt lgkmcnt(0)
	v_mov_b32_dpp v39, v38 row_shr:1 row_mask:0xf bank_mask:0xf
	s_delay_alu instid0(VALU_DEP_1) | instskip(NEXT) | instid1(VALU_DEP_1)
	v_cndmask_b32_e64 v39, v39, 0, s1
	v_add_nc_u32_e32 v38, v39, v38
	s_delay_alu instid0(VALU_DEP_1) | instskip(NEXT) | instid1(VALU_DEP_1)
	v_mov_b32_dpp v39, v38 row_shr:2 row_mask:0xf bank_mask:0xf
	v_cndmask_b32_e64 v39, 0, v39, s2
	s_delay_alu instid0(VALU_DEP_1) | instskip(NEXT) | instid1(VALU_DEP_1)
	v_add_nc_u32_e32 v38, v38, v39
	v_mov_b32_dpp v39, v38 row_shr:4 row_mask:0xf bank_mask:0xf
	s_delay_alu instid0(VALU_DEP_1) | instskip(NEXT) | instid1(VALU_DEP_1)
	v_cndmask_b32_e64 v39, 0, v39, s3
	v_add_nc_u32_e32 v38, v38, v39
	s_delay_alu instid0(VALU_DEP_1) | instskip(NEXT) | instid1(VALU_DEP_1)
	v_mov_b32_dpp v39, v38 row_shr:8 row_mask:0xf bank_mask:0xf
	v_cndmask_b32_e64 v39, 0, v39, s4
	s_delay_alu instid0(VALU_DEP_1)
	v_add_nc_u32_e32 v38, v38, v39
	ds_store_b32 v37, v38
.LBB235_14:                             ;   in Loop: Header=BB235_4 Depth=2
	s_or_b32 exec_lo, exec_lo, s10
	v_mov_b32_e32 v37, 0
	s_waitcnt lgkmcnt(0)
	s_barrier
	buffer_gl0_inv
	s_and_saveexec_b32 s10, s7
	s_cbranch_execz .LBB235_16
; %bb.15:                               ;   in Loop: Header=BB235_4 Depth=2
	ds_load_b32 v37, v18
.LBB235_16:                             ;   in Loop: Header=BB235_4 Depth=2
	s_or_b32 exec_lo, exec_lo, s10
	s_waitcnt lgkmcnt(0)
	v_add_nc_u32_e32 v3, v37, v3
	s_cmp_gt_u32 s14, 23
	ds_bpermute_b32 v3, v16, v3
	s_waitcnt lgkmcnt(0)
	v_cndmask_b32_e64 v3, v3, v37, s0
	s_delay_alu instid0(VALU_DEP_1) | instskip(NEXT) | instid1(VALU_DEP_1)
	v_cndmask_b32_e64 v3, v3, 0, s8
	v_add_nc_u32_e32 v4, v3, v4
	s_delay_alu instid0(VALU_DEP_1) | instskip(NEXT) | instid1(VALU_DEP_1)
	v_add_nc_u32_e32 v5, v4, v5
	v_add_nc_u32_e32 v6, v5, v6
	s_delay_alu instid0(VALU_DEP_1) | instskip(NEXT) | instid1(VALU_DEP_1)
	v_add_nc_u32_e32 v37, v6, v7
	;; [unrolled: 3-line block ×3, first 2 shown]
	v_add_nc_u32_e32 v1, v0, v2
	ds_store_2addr_b64 v13, v[3:4], v[5:6] offset0:8 offset1:9
	ds_store_2addr_b64 v15, v[37:38], v[0:1] offset0:2 offset1:3
	s_waitcnt lgkmcnt(0)
	s_barrier
	buffer_gl0_inv
	ds_load_b32 v0, v30
	ds_load_b32 v1, v33
	;; [unrolled: 1-line block ×3, first 2 shown]
	s_waitcnt lgkmcnt(2)
	v_add_nc_u32_e32 v29, v0, v29
	s_waitcnt lgkmcnt(1)
	v_add3_u32 v7, v32, v31, v1
	s_waitcnt lgkmcnt(0)
	v_add3_u32 v5, v35, v34, v2
	s_cbranch_scc0 .LBB235_3
; %bb.17:                               ;   in Loop: Header=BB235_2 Depth=1
                                        ; implicit-def: $vgpr6
                                        ; implicit-def: $vgpr1
                                        ; implicit-def: $vgpr4
                                        ; implicit-def: $vgpr3
                                        ; implicit-def: $sgpr14
	s_branch .LBB235_1
.LBB235_18:
	v_lshlrev_b32_e32 v6, 2, v8
	s_add_u32 s0, s18, s12
	s_addc_u32 s1, s19, s13
	s_waitcnt lgkmcnt(1)
	v_add_nc_u32_e32 v4, v1, v4
	v_add_nc_u32_e32 v2, v2, v5
	v_add_co_u32 v0, s2, s0, v6
	s_delay_alu instid0(VALU_DEP_1) | instskip(SKIP_2) | instid1(VALU_DEP_3)
	v_add_co_ci_u32_e64 v1, null, s1, 0, s2
	s_waitcnt lgkmcnt(0)
	v_add_nc_u32_e32 v3, v3, v7
	v_add_co_u32 v0, vcc_lo, 0x1000, v0
	s_delay_alu instid0(VALU_DEP_3)
	v_add_co_ci_u32_e32 v1, vcc_lo, 0, v1, vcc_lo
	s_clause 0x2
	global_store_b32 v6, v4, s[0:1]
	global_store_b32 v6, v2, s[0:1] offset:2048
	global_store_b32 v[0:1], v3, off
	s_nop 0
	s_sendmsg sendmsg(MSG_DEALLOC_VGPRS)
	s_endpgm
	.section	.rodata,"a",@progbits
	.p2align	6, 0x0
	.amdhsa_kernel _Z17sort_pairs_kernelI22helper_blocked_stripediLj512ELj3ELj10EEvPKT0_PS1_
		.amdhsa_group_segment_fixed_size 16448
		.amdhsa_private_segment_fixed_size 0
		.amdhsa_kernarg_size 272
		.amdhsa_user_sgpr_count 15
		.amdhsa_user_sgpr_dispatch_ptr 0
		.amdhsa_user_sgpr_queue_ptr 0
		.amdhsa_user_sgpr_kernarg_segment_ptr 1
		.amdhsa_user_sgpr_dispatch_id 0
		.amdhsa_user_sgpr_private_segment_size 0
		.amdhsa_wavefront_size32 1
		.amdhsa_uses_dynamic_stack 0
		.amdhsa_enable_private_segment 0
		.amdhsa_system_sgpr_workgroup_id_x 1
		.amdhsa_system_sgpr_workgroup_id_y 0
		.amdhsa_system_sgpr_workgroup_id_z 0
		.amdhsa_system_sgpr_workgroup_info 0
		.amdhsa_system_vgpr_workitem_id 2
		.amdhsa_next_free_vgpr 40
		.amdhsa_next_free_sgpr 20
		.amdhsa_reserve_vcc 1
		.amdhsa_float_round_mode_32 0
		.amdhsa_float_round_mode_16_64 0
		.amdhsa_float_denorm_mode_32 3
		.amdhsa_float_denorm_mode_16_64 3
		.amdhsa_dx10_clamp 1
		.amdhsa_ieee_mode 1
		.amdhsa_fp16_overflow 0
		.amdhsa_workgroup_processor_mode 1
		.amdhsa_memory_ordered 1
		.amdhsa_forward_progress 0
		.amdhsa_shared_vgpr_count 0
		.amdhsa_exception_fp_ieee_invalid_op 0
		.amdhsa_exception_fp_denorm_src 0
		.amdhsa_exception_fp_ieee_div_zero 0
		.amdhsa_exception_fp_ieee_overflow 0
		.amdhsa_exception_fp_ieee_underflow 0
		.amdhsa_exception_fp_ieee_inexact 0
		.amdhsa_exception_int_div_zero 0
	.end_amdhsa_kernel
	.section	.text._Z17sort_pairs_kernelI22helper_blocked_stripediLj512ELj3ELj10EEvPKT0_PS1_,"axG",@progbits,_Z17sort_pairs_kernelI22helper_blocked_stripediLj512ELj3ELj10EEvPKT0_PS1_,comdat
.Lfunc_end235:
	.size	_Z17sort_pairs_kernelI22helper_blocked_stripediLj512ELj3ELj10EEvPKT0_PS1_, .Lfunc_end235-_Z17sort_pairs_kernelI22helper_blocked_stripediLj512ELj3ELj10EEvPKT0_PS1_
                                        ; -- End function
	.section	.AMDGPU.csdata,"",@progbits
; Kernel info:
; codeLenInByte = 2624
; NumSgprs: 22
; NumVgprs: 40
; ScratchSize: 0
; MemoryBound: 0
; FloatMode: 240
; IeeeMode: 1
; LDSByteSize: 16448 bytes/workgroup (compile time only)
; SGPRBlocks: 2
; VGPRBlocks: 4
; NumSGPRsForWavesPerEU: 22
; NumVGPRsForWavesPerEU: 40
; Occupancy: 16
; WaveLimiterHint : 1
; COMPUTE_PGM_RSRC2:SCRATCH_EN: 0
; COMPUTE_PGM_RSRC2:USER_SGPR: 15
; COMPUTE_PGM_RSRC2:TRAP_HANDLER: 0
; COMPUTE_PGM_RSRC2:TGID_X_EN: 1
; COMPUTE_PGM_RSRC2:TGID_Y_EN: 0
; COMPUTE_PGM_RSRC2:TGID_Z_EN: 0
; COMPUTE_PGM_RSRC2:TIDIG_COMP_CNT: 2
	.section	.text._Z16sort_keys_kernelI22helper_blocked_stripediLj512ELj4ELj10EEvPKT0_PS1_,"axG",@progbits,_Z16sort_keys_kernelI22helper_blocked_stripediLj512ELj4ELj10EEvPKT0_PS1_,comdat
	.protected	_Z16sort_keys_kernelI22helper_blocked_stripediLj512ELj4ELj10EEvPKT0_PS1_ ; -- Begin function _Z16sort_keys_kernelI22helper_blocked_stripediLj512ELj4ELj10EEvPKT0_PS1_
	.globl	_Z16sort_keys_kernelI22helper_blocked_stripediLj512ELj4ELj10EEvPKT0_PS1_
	.p2align	8
	.type	_Z16sort_keys_kernelI22helper_blocked_stripediLj512ELj4ELj10EEvPKT0_PS1_,@function
_Z16sort_keys_kernelI22helper_blocked_stripediLj512ELj4ELj10EEvPKT0_PS1_: ; @_Z16sort_keys_kernelI22helper_blocked_stripediLj512ELj4ELj10EEvPKT0_PS1_
; %bb.0:
	s_clause 0x1
	s_load_b128 s[16:19], s[0:1], 0x0
	s_load_b32 s2, s[0:1], 0x1c
	s_lshl_b32 s14, s15, 11
	s_mov_b32 s15, 0
	v_mbcnt_lo_u32_b32 v8, -1, 0
	s_lshl_b64 s[20:21], s[14:15], 2
	s_mov_b32 s14, s15
	v_and_b32_e32 v5, 0x3ff, v0
	v_bfe_u32 v6, v0, 10, 10
	v_bfe_u32 v0, v0, 20, 10
	v_and_b32_e32 v13, 28, v8
	v_cmp_eq_u32_e64 s11, 0, v8
	v_lshlrev_b32_e32 v1, 4, v5
	v_lshlrev_b32_e32 v12, 2, v5
	s_delay_alu instid0(VALU_DEP_4)
	v_or_b32_e32 v15, 32, v13
	v_or_b32_e32 v16, 64, v13
	;; [unrolled: 1-line block ×3, first 2 shown]
	s_waitcnt lgkmcnt(0)
	s_add_u32 s0, s16, s20
	s_addc_u32 s1, s17, s21
	s_mov_b32 s16, s15
	global_load_b128 v[1:4], v1, s[0:1]
	s_lshr_b32 s1, s2, 16
	s_and_b32 s2, s2, 0xffff
	v_mad_u32_u24 v0, v0, s1, v6
	s_mov_b32 s17, s15
	v_dual_mov_b32 v10, s16 :: v_dual_and_b32 v9, 3, v8
	v_mov_b32_e32 v11, s17
	s_delay_alu instid0(VALU_DEP_3)
	v_mad_u64_u32 v[6:7], null, v0, s2, v[5:6]
	v_and_b32_e32 v0, 15, v8
	v_add_nc_u32_e32 v7, -1, v8
	v_cmp_eq_u32_e64 s0, 3, v9
	v_cmp_eq_u32_e64 s1, 2, v9
	;; [unrolled: 1-line block ×4, first 2 shown]
	v_lshrrev_b32_e32 v19, 5, v6
	v_cmp_lt_u32_e64 s4, 1, v0
	v_and_b32_e32 v6, 16, v8
	v_cmp_lt_u32_e64 s5, 3, v0
	v_cmp_lt_u32_e64 s6, 7, v0
	v_or_b32_e32 v0, 31, v5
	v_cmp_gt_i32_e32 vcc_lo, 0, v7
	v_cmp_eq_u32_e64 s7, 0, v6
	s_delay_alu instid0(VALU_DEP_3)
	v_cmp_eq_u32_e64 s8, v0, v5
	v_cndmask_b32_e32 v6, v7, v8, vcc_lo
	v_and_or_b32 v0, 0x780, v12, v8
	v_mov_b32_e32 v8, s14
	v_lshrrev_b32_e32 v7, 3, v5
	v_lshlrev_b32_e32 v14, 5, v5
	v_cmp_gt_u32_e64 s9, 16, v5
	v_cmp_lt_u32_e64 s10, 31, v5
	v_lshlrev_b32_e32 v20, 2, v6
	v_and_b32_e32 v21, 60, v7
	v_add_nc_u32_e32 v18, 64, v14
	v_cmp_eq_u32_e64 s12, 0, v5
	v_mul_i32_i24_e32 v22, 0xffffffe4, v5
	v_lshlrev_b32_e32 v24, 2, v0
	v_add_nc_u32_e32 v23, -4, v21
	v_mov_b32_e32 v9, s15
	s_branch .LBB236_2
.LBB236_1:                              ;   in Loop: Header=BB236_2 Depth=1
	v_lshlrev_b32_e32 v0, 2, v7
	v_lshlrev_b32_e32 v1, 2, v6
	;; [unrolled: 1-line block ×3, first 2 shown]
	s_barrier
	buffer_gl0_inv
	v_lshlrev_b32_e32 v3, 2, v4
	ds_store_b32 v0, v25
	ds_store_b32 v1, v28
	;; [unrolled: 1-line block ×3, first 2 shown]
	v_add_nc_u32_e32 v0, v14, v22
	s_add_i32 s15, s15, 1
	ds_store_b32 v3, v26
	s_waitcnt lgkmcnt(0)
	s_barrier
	buffer_gl0_inv
	ds_load_2addr_stride64_b32 v[1:2], v0 offset1:8
	ds_load_2addr_stride64_b32 v[3:4], v0 offset0:16 offset1:24
	s_cmp_eq_u32 s15, 10
	s_waitcnt lgkmcnt(1)
	v_xor_b32_e32 v1, 0x80000000, v1
	v_xor_b32_e32 v2, 0x80000000, v2
	s_waitcnt lgkmcnt(0)
	v_xor_b32_e32 v3, 0x80000000, v3
	v_xor_b32_e32 v4, 0x80000000, v4
	s_cbranch_scc1 .LBB236_20
.LBB236_2:                              ; =>This Loop Header: Depth=1
                                        ;     Child Loop BB236_4 Depth 2
	s_waitcnt vmcnt(0)
	v_xor_b32_e32 v0, 0x80000000, v1
	v_xor_b32_e32 v1, 0x80000000, v2
	;; [unrolled: 1-line block ×4, first 2 shown]
	s_mov_b32 s14, 0
	ds_bpermute_b32 v3, v13, v0
	ds_bpermute_b32 v5, v13, v1
	;; [unrolled: 1-line block ×16, first 2 shown]
	s_waitcnt lgkmcnt(0)
	s_barrier
	v_cndmask_b32_e64 v3, v3, v5, s2
	v_cndmask_b32_e64 v5, v6, v7, s2
	;; [unrolled: 1-line block ×4, first 2 shown]
	s_delay_alu instid0(VALU_DEP_4) | instskip(NEXT) | instid1(VALU_DEP_4)
	v_cndmask_b32_e64 v1, v3, v27, s1
	v_cndmask_b32_e64 v3, v5, v28, s1
	s_delay_alu instid0(VALU_DEP_4) | instskip(NEXT) | instid1(VALU_DEP_4)
	v_cndmask_b32_e64 v5, v6, v29, s1
	v_cndmask_b32_e64 v6, v0, v2, s1
	;; [unrolled: 3-line block ×4, first 2 shown]
	s_branch .LBB236_4
.LBB236_3:                              ;   in Loop: Header=BB236_4 Depth=2
	v_lshlrev_b32_e32 v0, 2, v7
	v_lshlrev_b32_e32 v1, 2, v6
	;; [unrolled: 1-line block ×4, first 2 shown]
	s_barrier
	buffer_gl0_inv
	ds_store_b32 v0, v25
	ds_store_b32 v1, v28
	;; [unrolled: 1-line block ×4, first 2 shown]
	s_waitcnt lgkmcnt(0)
	s_barrier
	buffer_gl0_inv
	ds_load_2addr_b32 v[0:1], v24 offset1:32
	ds_load_2addr_b32 v[2:3], v24 offset0:64 offset1:96
	s_add_i32 s14, s14, 8
	s_waitcnt lgkmcnt(0)
	s_barrier
	s_cbranch_execz .LBB236_1
.LBB236_4:                              ;   Parent Loop BB236_2 Depth=1
                                        ; =>  This Inner Loop Header: Depth=2
	v_mov_b32_e32 v25, v0
	buffer_gl0_inv
	ds_store_2addr_b64 v14, v[8:9], v[10:11] offset0:8 offset1:9
	ds_store_2addr_b64 v18, v[8:9], v[10:11] offset0:2 offset1:3
	s_waitcnt lgkmcnt(0)
	s_barrier
	v_lshrrev_b32_e32 v4, s14, v25
	buffer_gl0_inv
	; wave barrier
	v_lshlrev_b32_e32 v6, 30, v4
	v_bfe_u32 v0, v25, s14, 1
	v_lshlrev_b32_e32 v7, 29, v4
	v_lshlrev_b32_e32 v26, 28, v4
	;; [unrolled: 1-line block ×4, first 2 shown]
	v_add_co_u32 v0, s13, v0, -1
	s_delay_alu instid0(VALU_DEP_1) | instskip(SKIP_3) | instid1(VALU_DEP_4)
	v_cndmask_b32_e64 v5, 0, 1, s13
	v_cmp_gt_i32_e64 s13, 0, v6
	v_lshlrev_b32_e32 v29, 25, v4
	v_lshlrev_b32_e32 v4, 24, v4
	v_cmp_ne_u32_e32 vcc_lo, 0, v5
	v_not_b32_e32 v5, v6
	v_not_b32_e32 v6, v7
	v_xor_b32_e32 v0, vcc_lo, v0
	s_delay_alu instid0(VALU_DEP_3)
	v_ashrrev_i32_e32 v5, 31, v5
	v_cmp_gt_i32_e32 vcc_lo, 0, v7
	v_not_b32_e32 v7, v26
	v_ashrrev_i32_e32 v6, 31, v6
	v_and_b32_e32 v0, exec_lo, v0
	v_xor_b32_e32 v5, s13, v5
	v_cmp_gt_i32_e64 s13, 0, v26
	v_ashrrev_i32_e32 v7, 31, v7
	v_xor_b32_e32 v6, vcc_lo, v6
	s_delay_alu instid0(VALU_DEP_4) | instskip(SKIP_1) | instid1(VALU_DEP_4)
	v_and_b32_e32 v0, v0, v5
	v_not_b32_e32 v5, v28
	v_xor_b32_e32 v7, s13, v7
	v_cmp_gt_i32_e64 s13, 0, v28
	v_mov_b32_e32 v28, v1
	v_not_b32_e32 v26, v27
	v_cmp_gt_i32_e32 vcc_lo, 0, v27
	v_and_b32_e32 v0, v0, v6
	v_not_b32_e32 v6, v29
	v_ashrrev_i32_e32 v5, 31, v5
	v_ashrrev_i32_e32 v26, 31, v26
	v_bfe_u32 v1, v25, s14, 8
	v_and_b32_e32 v0, v0, v7
	v_not_b32_e32 v7, v4
	v_ashrrev_i32_e32 v6, 31, v6
	v_xor_b32_e32 v26, vcc_lo, v26
	v_cmp_gt_i32_e32 vcc_lo, 0, v29
	v_xor_b32_e32 v5, s13, v5
	v_cmp_gt_i32_e64 s13, 0, v4
	v_ashrrev_i32_e32 v4, 31, v7
	v_and_b32_e32 v0, v0, v26
	v_xor_b32_e32 v6, vcc_lo, v6
	v_lshl_add_u32 v1, v1, 4, v19
	v_mov_b32_e32 v26, v3
	v_xor_b32_e32 v4, s13, v4
	v_dual_mov_b32 v27, v2 :: v_dual_and_b32 v0, v0, v5
	s_delay_alu instid0(VALU_DEP_4) | instskip(NEXT) | instid1(VALU_DEP_2)
	v_lshl_add_u32 v30, v1, 2, 64
	v_and_b32_e32 v0, v0, v6
	s_delay_alu instid0(VALU_DEP_1) | instskip(NEXT) | instid1(VALU_DEP_1)
	v_and_b32_e32 v0, v0, v4
	v_mbcnt_lo_u32_b32 v29, v0, 0
	v_cmp_ne_u32_e64 s13, 0, v0
	s_delay_alu instid0(VALU_DEP_2) | instskip(NEXT) | instid1(VALU_DEP_2)
	v_cmp_eq_u32_e32 vcc_lo, 0, v29
	s_and_b32 s16, s13, vcc_lo
	s_delay_alu instid0(SALU_CYCLE_1)
	s_and_saveexec_b32 s13, s16
	s_cbranch_execz .LBB236_6
; %bb.5:                                ;   in Loop: Header=BB236_4 Depth=2
	v_bcnt_u32_b32 v0, v0, 0
	ds_store_b32 v30, v0
.LBB236_6:                              ;   in Loop: Header=BB236_4 Depth=2
	s_or_b32 exec_lo, exec_lo, s13
	v_bfe_u32 v0, v28, s14, 1
	v_lshrrev_b32_e32 v1, s14, v28
	; wave barrier
	s_delay_alu instid0(VALU_DEP_2) | instskip(NEXT) | instid1(VALU_DEP_1)
	v_add_co_u32 v0, s13, v0, -1
	v_cndmask_b32_e64 v2, 0, 1, s13
	s_delay_alu instid0(VALU_DEP_3)
	v_lshlrev_b32_e32 v3, 30, v1
	v_lshlrev_b32_e32 v4, 29, v1
	;; [unrolled: 1-line block ×4, first 2 shown]
	v_cmp_ne_u32_e32 vcc_lo, 0, v2
	v_not_b32_e32 v2, v3
	v_cmp_gt_i32_e64 s13, 0, v3
	v_not_b32_e32 v3, v4
	v_lshlrev_b32_e32 v7, 26, v1
	v_xor_b32_e32 v0, vcc_lo, v0
	v_ashrrev_i32_e32 v2, 31, v2
	v_cmp_gt_i32_e32 vcc_lo, 0, v4
	v_not_b32_e32 v4, v5
	v_ashrrev_i32_e32 v3, 31, v3
	v_and_b32_e32 v0, exec_lo, v0
	v_xor_b32_e32 v2, s13, v2
	v_cmp_gt_i32_e64 s13, 0, v5
	v_not_b32_e32 v5, v6
	v_ashrrev_i32_e32 v4, 31, v4
	v_xor_b32_e32 v3, vcc_lo, v3
	v_and_b32_e32 v0, v0, v2
	v_cmp_gt_i32_e32 vcc_lo, 0, v6
	v_not_b32_e32 v2, v7
	v_ashrrev_i32_e32 v5, 31, v5
	v_xor_b32_e32 v4, s13, v4
	v_and_b32_e32 v0, v0, v3
	v_lshlrev_b32_e32 v3, 25, v1
	v_cmp_gt_i32_e64 s13, 0, v7
	v_ashrrev_i32_e32 v2, 31, v2
	v_xor_b32_e32 v5, vcc_lo, v5
	v_and_b32_e32 v0, v0, v4
	v_not_b32_e32 v6, v3
	v_lshlrev_b32_e32 v1, 24, v1
	v_bfe_u32 v4, v28, s14, 8
	v_xor_b32_e32 v2, s13, v2
	v_and_b32_e32 v0, v0, v5
	v_cmp_gt_i32_e32 vcc_lo, 0, v3
	v_ashrrev_i32_e32 v3, 31, v6
	v_not_b32_e32 v5, v1
	v_lshlrev_b32_e32 v4, 4, v4
	v_and_b32_e32 v0, v0, v2
	s_delay_alu instid0(VALU_DEP_4) | instskip(SKIP_3) | instid1(VALU_DEP_4)
	v_xor_b32_e32 v2, vcc_lo, v3
	v_cmp_gt_i32_e32 vcc_lo, 0, v1
	v_ashrrev_i32_e32 v1, 31, v5
	v_add_lshl_u32 v3, v4, v19, 2
	v_and_b32_e32 v0, v0, v2
	s_delay_alu instid0(VALU_DEP_3) | instskip(SKIP_3) | instid1(VALU_DEP_1)
	v_xor_b32_e32 v1, vcc_lo, v1
	ds_load_b32 v31, v3 offset:64
	v_add_nc_u32_e32 v33, 64, v3
	; wave barrier
	v_and_b32_e32 v0, v0, v1
	v_mbcnt_lo_u32_b32 v32, v0, 0
	v_cmp_ne_u32_e64 s13, 0, v0
	s_delay_alu instid0(VALU_DEP_2) | instskip(NEXT) | instid1(VALU_DEP_2)
	v_cmp_eq_u32_e32 vcc_lo, 0, v32
	s_and_b32 s16, s13, vcc_lo
	s_delay_alu instid0(SALU_CYCLE_1)
	s_and_saveexec_b32 s13, s16
	s_cbranch_execz .LBB236_8
; %bb.7:                                ;   in Loop: Header=BB236_4 Depth=2
	s_waitcnt lgkmcnt(0)
	v_bcnt_u32_b32 v0, v0, v31
	ds_store_b32 v33, v0
.LBB236_8:                              ;   in Loop: Header=BB236_4 Depth=2
	s_or_b32 exec_lo, exec_lo, s13
	v_bfe_u32 v0, v27, s14, 1
	v_lshrrev_b32_e32 v1, s14, v27
	; wave barrier
	s_delay_alu instid0(VALU_DEP_2) | instskip(NEXT) | instid1(VALU_DEP_1)
	v_add_co_u32 v0, s13, v0, -1
	v_cndmask_b32_e64 v2, 0, 1, s13
	s_delay_alu instid0(VALU_DEP_3)
	v_lshlrev_b32_e32 v3, 30, v1
	v_lshlrev_b32_e32 v4, 29, v1
	;; [unrolled: 1-line block ×4, first 2 shown]
	v_cmp_ne_u32_e32 vcc_lo, 0, v2
	v_not_b32_e32 v2, v3
	v_cmp_gt_i32_e64 s13, 0, v3
	v_not_b32_e32 v3, v4
	v_lshlrev_b32_e32 v7, 26, v1
	v_xor_b32_e32 v0, vcc_lo, v0
	v_ashrrev_i32_e32 v2, 31, v2
	v_cmp_gt_i32_e32 vcc_lo, 0, v4
	v_not_b32_e32 v4, v5
	v_ashrrev_i32_e32 v3, 31, v3
	v_and_b32_e32 v0, exec_lo, v0
	v_xor_b32_e32 v2, s13, v2
	v_cmp_gt_i32_e64 s13, 0, v5
	v_not_b32_e32 v5, v6
	v_ashrrev_i32_e32 v4, 31, v4
	v_xor_b32_e32 v3, vcc_lo, v3
	v_and_b32_e32 v0, v0, v2
	v_cmp_gt_i32_e32 vcc_lo, 0, v6
	v_not_b32_e32 v2, v7
	v_ashrrev_i32_e32 v5, 31, v5
	v_xor_b32_e32 v4, s13, v4
	v_and_b32_e32 v0, v0, v3
	v_lshlrev_b32_e32 v3, 25, v1
	v_cmp_gt_i32_e64 s13, 0, v7
	v_ashrrev_i32_e32 v2, 31, v2
	v_xor_b32_e32 v5, vcc_lo, v5
	v_and_b32_e32 v0, v0, v4
	v_not_b32_e32 v6, v3
	v_lshlrev_b32_e32 v1, 24, v1
	v_bfe_u32 v4, v27, s14, 8
	v_xor_b32_e32 v2, s13, v2
	v_and_b32_e32 v0, v0, v5
	v_cmp_gt_i32_e32 vcc_lo, 0, v3
	v_ashrrev_i32_e32 v3, 31, v6
	v_not_b32_e32 v5, v1
	v_lshlrev_b32_e32 v4, 4, v4
	v_and_b32_e32 v0, v0, v2
	s_delay_alu instid0(VALU_DEP_4) | instskip(SKIP_3) | instid1(VALU_DEP_4)
	v_xor_b32_e32 v2, vcc_lo, v3
	v_cmp_gt_i32_e32 vcc_lo, 0, v1
	v_ashrrev_i32_e32 v1, 31, v5
	v_add_lshl_u32 v3, v4, v19, 2
	v_and_b32_e32 v0, v0, v2
	s_delay_alu instid0(VALU_DEP_3) | instskip(SKIP_3) | instid1(VALU_DEP_1)
	v_xor_b32_e32 v1, vcc_lo, v1
	ds_load_b32 v34, v3 offset:64
	v_add_nc_u32_e32 v36, 64, v3
	; wave barrier
	v_and_b32_e32 v0, v0, v1
	v_mbcnt_lo_u32_b32 v35, v0, 0
	v_cmp_ne_u32_e64 s13, 0, v0
	s_delay_alu instid0(VALU_DEP_2) | instskip(NEXT) | instid1(VALU_DEP_2)
	v_cmp_eq_u32_e32 vcc_lo, 0, v35
	s_and_b32 s16, s13, vcc_lo
	s_delay_alu instid0(SALU_CYCLE_1)
	s_and_saveexec_b32 s13, s16
	s_cbranch_execz .LBB236_10
; %bb.9:                                ;   in Loop: Header=BB236_4 Depth=2
	s_waitcnt lgkmcnt(0)
	v_bcnt_u32_b32 v0, v0, v34
	ds_store_b32 v36, v0
.LBB236_10:                             ;   in Loop: Header=BB236_4 Depth=2
	s_or_b32 exec_lo, exec_lo, s13
	v_bfe_u32 v0, v26, s14, 1
	v_lshrrev_b32_e32 v1, s14, v26
	; wave barrier
	s_delay_alu instid0(VALU_DEP_2) | instskip(NEXT) | instid1(VALU_DEP_1)
	v_add_co_u32 v0, s13, v0, -1
	v_cndmask_b32_e64 v2, 0, 1, s13
	s_delay_alu instid0(VALU_DEP_3)
	v_lshlrev_b32_e32 v3, 30, v1
	v_lshlrev_b32_e32 v4, 29, v1
	;; [unrolled: 1-line block ×4, first 2 shown]
	v_cmp_ne_u32_e32 vcc_lo, 0, v2
	v_not_b32_e32 v2, v3
	v_cmp_gt_i32_e64 s13, 0, v3
	v_not_b32_e32 v3, v4
	v_lshlrev_b32_e32 v7, 26, v1
	v_xor_b32_e32 v0, vcc_lo, v0
	v_ashrrev_i32_e32 v2, 31, v2
	v_cmp_gt_i32_e32 vcc_lo, 0, v4
	v_not_b32_e32 v4, v5
	v_ashrrev_i32_e32 v3, 31, v3
	v_and_b32_e32 v0, exec_lo, v0
	v_xor_b32_e32 v2, s13, v2
	v_cmp_gt_i32_e64 s13, 0, v5
	v_not_b32_e32 v5, v6
	v_ashrrev_i32_e32 v4, 31, v4
	v_xor_b32_e32 v3, vcc_lo, v3
	v_and_b32_e32 v0, v0, v2
	v_cmp_gt_i32_e32 vcc_lo, 0, v6
	v_not_b32_e32 v2, v7
	v_ashrrev_i32_e32 v5, 31, v5
	v_xor_b32_e32 v4, s13, v4
	v_and_b32_e32 v0, v0, v3
	v_lshlrev_b32_e32 v3, 25, v1
	v_cmp_gt_i32_e64 s13, 0, v7
	v_ashrrev_i32_e32 v2, 31, v2
	v_xor_b32_e32 v5, vcc_lo, v5
	v_and_b32_e32 v0, v0, v4
	v_not_b32_e32 v6, v3
	v_lshlrev_b32_e32 v1, 24, v1
	v_bfe_u32 v4, v26, s14, 8
	v_xor_b32_e32 v2, s13, v2
	v_and_b32_e32 v0, v0, v5
	v_cmp_gt_i32_e32 vcc_lo, 0, v3
	v_ashrrev_i32_e32 v3, 31, v6
	v_not_b32_e32 v5, v1
	v_lshlrev_b32_e32 v4, 4, v4
	v_and_b32_e32 v0, v0, v2
	s_delay_alu instid0(VALU_DEP_4) | instskip(SKIP_3) | instid1(VALU_DEP_4)
	v_xor_b32_e32 v2, vcc_lo, v3
	v_cmp_gt_i32_e32 vcc_lo, 0, v1
	v_ashrrev_i32_e32 v1, 31, v5
	v_add_lshl_u32 v3, v4, v19, 2
	v_and_b32_e32 v0, v0, v2
	s_delay_alu instid0(VALU_DEP_3) | instskip(SKIP_3) | instid1(VALU_DEP_1)
	v_xor_b32_e32 v1, vcc_lo, v1
	ds_load_b32 v37, v3 offset:64
	v_add_nc_u32_e32 v39, 64, v3
	; wave barrier
	v_and_b32_e32 v0, v0, v1
	v_mbcnt_lo_u32_b32 v38, v0, 0
	v_cmp_ne_u32_e64 s13, 0, v0
	s_delay_alu instid0(VALU_DEP_2) | instskip(NEXT) | instid1(VALU_DEP_2)
	v_cmp_eq_u32_e32 vcc_lo, 0, v38
	s_and_b32 s16, s13, vcc_lo
	s_delay_alu instid0(SALU_CYCLE_1)
	s_and_saveexec_b32 s13, s16
	s_cbranch_execz .LBB236_12
; %bb.11:                               ;   in Loop: Header=BB236_4 Depth=2
	s_waitcnt lgkmcnt(0)
	v_bcnt_u32_b32 v0, v0, v37
	ds_store_b32 v39, v0
.LBB236_12:                             ;   in Loop: Header=BB236_4 Depth=2
	s_or_b32 exec_lo, exec_lo, s13
	; wave barrier
	s_waitcnt lgkmcnt(0)
	s_barrier
	buffer_gl0_inv
	ds_load_2addr_b64 v[4:7], v14 offset0:8 offset1:9
	ds_load_2addr_b64 v[0:3], v18 offset0:2 offset1:3
	s_waitcnt lgkmcnt(1)
	v_add_nc_u32_e32 v40, v5, v4
	s_delay_alu instid0(VALU_DEP_1) | instskip(SKIP_1) | instid1(VALU_DEP_1)
	v_add3_u32 v40, v40, v6, v7
	s_waitcnt lgkmcnt(0)
	v_add3_u32 v40, v40, v0, v1
	s_delay_alu instid0(VALU_DEP_1) | instskip(NEXT) | instid1(VALU_DEP_1)
	v_add3_u32 v3, v40, v2, v3
	v_mov_b32_dpp v40, v3 row_shr:1 row_mask:0xf bank_mask:0xf
	s_delay_alu instid0(VALU_DEP_1) | instskip(NEXT) | instid1(VALU_DEP_1)
	v_cndmask_b32_e64 v40, v40, 0, s3
	v_add_nc_u32_e32 v3, v40, v3
	s_delay_alu instid0(VALU_DEP_1) | instskip(NEXT) | instid1(VALU_DEP_1)
	v_mov_b32_dpp v40, v3 row_shr:2 row_mask:0xf bank_mask:0xf
	v_cndmask_b32_e64 v40, 0, v40, s4
	s_delay_alu instid0(VALU_DEP_1) | instskip(NEXT) | instid1(VALU_DEP_1)
	v_add_nc_u32_e32 v3, v3, v40
	v_mov_b32_dpp v40, v3 row_shr:4 row_mask:0xf bank_mask:0xf
	s_delay_alu instid0(VALU_DEP_1) | instskip(NEXT) | instid1(VALU_DEP_1)
	v_cndmask_b32_e64 v40, 0, v40, s5
	v_add_nc_u32_e32 v3, v3, v40
	s_delay_alu instid0(VALU_DEP_1) | instskip(NEXT) | instid1(VALU_DEP_1)
	v_mov_b32_dpp v40, v3 row_shr:8 row_mask:0xf bank_mask:0xf
	v_cndmask_b32_e64 v40, 0, v40, s6
	s_delay_alu instid0(VALU_DEP_1) | instskip(SKIP_3) | instid1(VALU_DEP_1)
	v_add_nc_u32_e32 v3, v3, v40
	ds_swizzle_b32 v40, v3 offset:swizzle(BROADCAST,32,15)
	s_waitcnt lgkmcnt(0)
	v_cndmask_b32_e64 v40, v40, 0, s7
	v_add_nc_u32_e32 v3, v3, v40
	s_and_saveexec_b32 s13, s8
	s_cbranch_execz .LBB236_14
; %bb.13:                               ;   in Loop: Header=BB236_4 Depth=2
	ds_store_b32 v21, v3
.LBB236_14:                             ;   in Loop: Header=BB236_4 Depth=2
	s_or_b32 exec_lo, exec_lo, s13
	s_waitcnt lgkmcnt(0)
	s_barrier
	buffer_gl0_inv
	s_and_saveexec_b32 s13, s9
	s_cbranch_execz .LBB236_16
; %bb.15:                               ;   in Loop: Header=BB236_4 Depth=2
	v_add_nc_u32_e32 v40, v14, v22
	ds_load_b32 v41, v40
	s_waitcnt lgkmcnt(0)
	v_mov_b32_dpp v42, v41 row_shr:1 row_mask:0xf bank_mask:0xf
	s_delay_alu instid0(VALU_DEP_1) | instskip(NEXT) | instid1(VALU_DEP_1)
	v_cndmask_b32_e64 v42, v42, 0, s3
	v_add_nc_u32_e32 v41, v42, v41
	s_delay_alu instid0(VALU_DEP_1) | instskip(NEXT) | instid1(VALU_DEP_1)
	v_mov_b32_dpp v42, v41 row_shr:2 row_mask:0xf bank_mask:0xf
	v_cndmask_b32_e64 v42, 0, v42, s4
	s_delay_alu instid0(VALU_DEP_1) | instskip(NEXT) | instid1(VALU_DEP_1)
	v_add_nc_u32_e32 v41, v41, v42
	v_mov_b32_dpp v42, v41 row_shr:4 row_mask:0xf bank_mask:0xf
	s_delay_alu instid0(VALU_DEP_1) | instskip(NEXT) | instid1(VALU_DEP_1)
	v_cndmask_b32_e64 v42, 0, v42, s5
	v_add_nc_u32_e32 v41, v41, v42
	s_delay_alu instid0(VALU_DEP_1) | instskip(NEXT) | instid1(VALU_DEP_1)
	v_mov_b32_dpp v42, v41 row_shr:8 row_mask:0xf bank_mask:0xf
	v_cndmask_b32_e64 v42, 0, v42, s6
	s_delay_alu instid0(VALU_DEP_1)
	v_add_nc_u32_e32 v41, v41, v42
	ds_store_b32 v40, v41
.LBB236_16:                             ;   in Loop: Header=BB236_4 Depth=2
	s_or_b32 exec_lo, exec_lo, s13
	v_mov_b32_e32 v40, 0
	s_waitcnt lgkmcnt(0)
	s_barrier
	buffer_gl0_inv
	s_and_saveexec_b32 s13, s10
	s_cbranch_execz .LBB236_18
; %bb.17:                               ;   in Loop: Header=BB236_4 Depth=2
	ds_load_b32 v40, v23
.LBB236_18:                             ;   in Loop: Header=BB236_4 Depth=2
	s_or_b32 exec_lo, exec_lo, s13
	s_waitcnt lgkmcnt(0)
	v_add_nc_u32_e32 v3, v40, v3
	s_cmp_gt_u32 s14, 23
	ds_bpermute_b32 v3, v20, v3
	s_waitcnt lgkmcnt(0)
	v_cndmask_b32_e64 v3, v3, v40, s11
	s_delay_alu instid0(VALU_DEP_1) | instskip(NEXT) | instid1(VALU_DEP_1)
	v_cndmask_b32_e64 v3, v3, 0, s12
	v_add_nc_u32_e32 v4, v3, v4
	s_delay_alu instid0(VALU_DEP_1) | instskip(NEXT) | instid1(VALU_DEP_1)
	v_add_nc_u32_e32 v5, v4, v5
	v_add_nc_u32_e32 v6, v5, v6
	s_delay_alu instid0(VALU_DEP_1) | instskip(NEXT) | instid1(VALU_DEP_1)
	v_add_nc_u32_e32 v40, v6, v7
	;; [unrolled: 3-line block ×3, first 2 shown]
	v_add_nc_u32_e32 v1, v0, v2
	ds_store_2addr_b64 v14, v[3:4], v[5:6] offset0:8 offset1:9
	ds_store_2addr_b64 v18, v[40:41], v[0:1] offset0:2 offset1:3
	s_waitcnt lgkmcnt(0)
	s_barrier
	buffer_gl0_inv
	ds_load_b32 v0, v30
	ds_load_b32 v1, v33
	;; [unrolled: 1-line block ×4, first 2 shown]
	s_waitcnt lgkmcnt(3)
	v_add_nc_u32_e32 v7, v0, v29
	s_waitcnt lgkmcnt(2)
	v_add3_u32 v6, v32, v31, v1
	s_waitcnt lgkmcnt(1)
	v_add3_u32 v5, v35, v34, v2
	;; [unrolled: 2-line block ×3, first 2 shown]
	s_cbranch_scc0 .LBB236_3
; %bb.19:                               ;   in Loop: Header=BB236_2 Depth=1
                                        ; implicit-def: $vgpr3
                                        ; implicit-def: $vgpr1
                                        ; implicit-def: $sgpr14
	s_branch .LBB236_1
.LBB236_20:
	s_add_u32 s0, s18, s20
	s_addc_u32 s1, s19, s21
	v_add_co_u32 v0, s2, s0, v12
	s_delay_alu instid0(VALU_DEP_1) | instskip(NEXT) | instid1(VALU_DEP_2)
	v_add_co_ci_u32_e64 v6, null, s1, 0, s2
	v_add_co_u32 v5, vcc_lo, 0x1000, v0
	s_delay_alu instid0(VALU_DEP_2)
	v_add_co_ci_u32_e32 v6, vcc_lo, 0, v6, vcc_lo
	s_clause 0x3
	global_store_b32 v12, v1, s[0:1]
	global_store_b32 v12, v2, s[0:1] offset:2048
	global_store_b32 v[5:6], v3, off
	global_store_b32 v[5:6], v4, off offset:2048
	s_nop 0
	s_sendmsg sendmsg(MSG_DEALLOC_VGPRS)
	s_endpgm
	.section	.rodata,"a",@progbits
	.p2align	6, 0x0
	.amdhsa_kernel _Z16sort_keys_kernelI22helper_blocked_stripediLj512ELj4ELj10EEvPKT0_PS1_
		.amdhsa_group_segment_fixed_size 16448
		.amdhsa_private_segment_fixed_size 0
		.amdhsa_kernarg_size 272
		.amdhsa_user_sgpr_count 15
		.amdhsa_user_sgpr_dispatch_ptr 0
		.amdhsa_user_sgpr_queue_ptr 0
		.amdhsa_user_sgpr_kernarg_segment_ptr 1
		.amdhsa_user_sgpr_dispatch_id 0
		.amdhsa_user_sgpr_private_segment_size 0
		.amdhsa_wavefront_size32 1
		.amdhsa_uses_dynamic_stack 0
		.amdhsa_enable_private_segment 0
		.amdhsa_system_sgpr_workgroup_id_x 1
		.amdhsa_system_sgpr_workgroup_id_y 0
		.amdhsa_system_sgpr_workgroup_id_z 0
		.amdhsa_system_sgpr_workgroup_info 0
		.amdhsa_system_vgpr_workitem_id 2
		.amdhsa_next_free_vgpr 43
		.amdhsa_next_free_sgpr 22
		.amdhsa_reserve_vcc 1
		.amdhsa_float_round_mode_32 0
		.amdhsa_float_round_mode_16_64 0
		.amdhsa_float_denorm_mode_32 3
		.amdhsa_float_denorm_mode_16_64 3
		.amdhsa_dx10_clamp 1
		.amdhsa_ieee_mode 1
		.amdhsa_fp16_overflow 0
		.amdhsa_workgroup_processor_mode 1
		.amdhsa_memory_ordered 1
		.amdhsa_forward_progress 0
		.amdhsa_shared_vgpr_count 0
		.amdhsa_exception_fp_ieee_invalid_op 0
		.amdhsa_exception_fp_denorm_src 0
		.amdhsa_exception_fp_ieee_div_zero 0
		.amdhsa_exception_fp_ieee_overflow 0
		.amdhsa_exception_fp_ieee_underflow 0
		.amdhsa_exception_fp_ieee_inexact 0
		.amdhsa_exception_int_div_zero 0
	.end_amdhsa_kernel
	.section	.text._Z16sort_keys_kernelI22helper_blocked_stripediLj512ELj4ELj10EEvPKT0_PS1_,"axG",@progbits,_Z16sort_keys_kernelI22helper_blocked_stripediLj512ELj4ELj10EEvPKT0_PS1_,comdat
.Lfunc_end236:
	.size	_Z16sort_keys_kernelI22helper_blocked_stripediLj512ELj4ELj10EEvPKT0_PS1_, .Lfunc_end236-_Z16sort_keys_kernelI22helper_blocked_stripediLj512ELj4ELj10EEvPKT0_PS1_
                                        ; -- End function
	.section	.AMDGPU.csdata,"",@progbits
; Kernel info:
; codeLenInByte = 3012
; NumSgprs: 24
; NumVgprs: 43
; ScratchSize: 0
; MemoryBound: 0
; FloatMode: 240
; IeeeMode: 1
; LDSByteSize: 16448 bytes/workgroup (compile time only)
; SGPRBlocks: 2
; VGPRBlocks: 5
; NumSGPRsForWavesPerEU: 24
; NumVGPRsForWavesPerEU: 43
; Occupancy: 16
; WaveLimiterHint : 1
; COMPUTE_PGM_RSRC2:SCRATCH_EN: 0
; COMPUTE_PGM_RSRC2:USER_SGPR: 15
; COMPUTE_PGM_RSRC2:TRAP_HANDLER: 0
; COMPUTE_PGM_RSRC2:TGID_X_EN: 1
; COMPUTE_PGM_RSRC2:TGID_Y_EN: 0
; COMPUTE_PGM_RSRC2:TGID_Z_EN: 0
; COMPUTE_PGM_RSRC2:TIDIG_COMP_CNT: 2
	.section	.text._Z17sort_pairs_kernelI22helper_blocked_stripediLj512ELj4ELj10EEvPKT0_PS1_,"axG",@progbits,_Z17sort_pairs_kernelI22helper_blocked_stripediLj512ELj4ELj10EEvPKT0_PS1_,comdat
	.protected	_Z17sort_pairs_kernelI22helper_blocked_stripediLj512ELj4ELj10EEvPKT0_PS1_ ; -- Begin function _Z17sort_pairs_kernelI22helper_blocked_stripediLj512ELj4ELj10EEvPKT0_PS1_
	.globl	_Z17sort_pairs_kernelI22helper_blocked_stripediLj512ELj4ELj10EEvPKT0_PS1_
	.p2align	8
	.type	_Z17sort_pairs_kernelI22helper_blocked_stripediLj512ELj4ELj10EEvPKT0_PS1_,@function
_Z17sort_pairs_kernelI22helper_blocked_stripediLj512ELj4ELj10EEvPKT0_PS1_: ; @_Z17sort_pairs_kernelI22helper_blocked_stripediLj512ELj4ELj10EEvPKT0_PS1_
; %bb.0:
	s_clause 0x1
	s_load_b128 s[16:19], s[0:1], 0x0
	s_load_b32 s12, s[0:1], 0x1c
	v_mbcnt_lo_u32_b32 v10, -1, 0
	s_mov_b32 s21, 0
	s_lshl_b32 s20, s15, 11
	v_bfe_u32 v7, v0, 10, 10
	s_lshl_b64 s[14:15], s[20:21], 2
	s_mov_b32 s20, s21
	s_delay_alu instid0(SALU_CYCLE_1) | instskip(SKIP_4) | instid1(VALU_DEP_4)
	v_dual_mov_b32 v8, s20 :: v_dual_and_b32 v5, 0x3ff, v0
	v_add_nc_u32_e32 v13, -1, v10
	v_bfe_u32 v0, v0, 20, 10
	v_dual_mov_b32 v9, s21 :: v_dual_and_b32 v6, 3, v10
	v_and_b32_e32 v11, 15, v10
	v_cmp_gt_i32_e32 vcc_lo, 0, v13
	v_lshlrev_b32_e32 v1, 4, v5
	v_lshlrev_b32_e32 v14, 2, v5
	v_cmp_eq_u32_e64 s2, 2, v6
	v_cmp_eq_u32_e64 s3, 1, v6
	s_waitcnt lgkmcnt(0)
	s_add_u32 s0, s16, s14
	s_addc_u32 s1, s17, s15
	s_mov_b32 s16, s21
	s_mov_b32 s17, s21
	v_and_b32_e32 v12, 16, v10
	s_lshr_b32 s13, s12, 16
	s_and_b32 s12, s12, 0xffff
	v_mad_u32_u24 v0, v0, s13, v7
	v_cmp_eq_u32_e64 s4, 0, v11
	v_cmp_eq_u32_e64 s8, 0, v12
	v_cndmask_b32_e32 v12, v13, v10, vcc_lo
	global_load_b128 v[1:4], v1, s[0:1]
	v_lshrrev_b32_e32 v13, 3, v5
	v_cmp_eq_u32_e64 s1, 3, v6
	v_mad_u64_u32 v[6:7], null, v0, s12, v[5:6]
	v_cmp_lt_u32_e64 s5, 1, v11
	v_cmp_lt_u32_e64 s6, 3, v11
	;; [unrolled: 1-line block ×3, first 2 shown]
	v_or_b32_e32 v11, 31, v5
	v_and_b32_e32 v15, 28, v10
	v_lshlrev_b32_e32 v19, 5, v5
	v_and_b32_e32 v21, 60, v13
	v_and_or_b32 v0, 0x780, v14, v10
	v_cmp_eq_u32_e64 s0, 0, v10
	v_cmp_eq_u32_e64 s12, v11, v5
	v_mov_b32_e32 v10, s16
	v_or_b32_e32 v16, 32, v15
	v_or_b32_e32 v17, 64, v15
	;; [unrolled: 1-line block ×3, first 2 shown]
	v_cmp_gt_u32_e64 s9, 16, v5
	v_cmp_lt_u32_e64 s10, 31, v5
	v_cmp_eq_u32_e64 s11, 0, v5
	v_mul_i32_i24_e32 v20, 0xffffffe4, v5
	v_add_nc_u32_e32 v22, 64, v19
	v_lshlrev_b32_e32 v23, 2, v12
	v_add_nc_u32_e32 v24, -4, v21
	v_lshlrev_b32_e32 v25, 2, v0
	v_lshrrev_b32_e32 v26, 5, v6
	s_waitcnt vmcnt(0)
	v_dual_mov_b32 v11, s17 :: v_dual_add_nc_u32 v12, 1, v1
	v_add_nc_u32_e32 v13, 1, v2
	v_add_nc_u32_e32 v5, 1, v3
	;; [unrolled: 1-line block ×3, first 2 shown]
	s_branch .LBB237_2
.LBB237_1:                              ;   in Loop: Header=BB237_2 Depth=1
	v_lshlrev_b32_e32 v0, 2, v37
	v_lshlrev_b32_e32 v5, 2, v35
	;; [unrolled: 1-line block ×3, first 2 shown]
	s_barrier
	buffer_gl0_inv
	v_lshlrev_b32_e32 v7, 2, v33
	ds_store_b32 v0, v12
	ds_store_b32 v5, v32
	;; [unrolled: 1-line block ×3, first 2 shown]
	v_add_nc_u32_e32 v31, v19, v20
	s_add_i32 s21, s21, 1
	ds_store_b32 v7, v30
	s_waitcnt lgkmcnt(0)
	s_barrier
	buffer_gl0_inv
	ds_load_2addr_stride64_b32 v[1:2], v31 offset1:8
	ds_load_2addr_stride64_b32 v[3:4], v31 offset0:16 offset1:24
	s_waitcnt lgkmcnt(0)
	s_barrier
	buffer_gl0_inv
	ds_store_b32 v0, v29
	ds_store_b32 v5, v28
	;; [unrolled: 1-line block ×4, first 2 shown]
	s_waitcnt lgkmcnt(0)
	s_barrier
	buffer_gl0_inv
	ds_load_2addr_stride64_b32 v[12:13], v31 offset1:8
	ds_load_2addr_stride64_b32 v[5:6], v31 offset0:16 offset1:24
	s_cmp_eq_u32 s21, 10
	v_xor_b32_e32 v1, 0x80000000, v1
	v_xor_b32_e32 v2, 0x80000000, v2
	;; [unrolled: 1-line block ×4, first 2 shown]
	s_cbranch_scc1 .LBB237_20
.LBB237_2:                              ; =>This Loop Header: Depth=1
                                        ;     Child Loop BB237_4 Depth 2
	v_xor_b32_e32 v0, 0x80000000, v1
	v_xor_b32_e32 v1, 0x80000000, v2
	;; [unrolled: 1-line block ×4, first 2 shown]
	s_waitcnt lgkmcnt(1)
	ds_bpermute_b32 v34, v15, v12
	ds_bpermute_b32 v3, v15, v0
	;; [unrolled: 1-line block ×20, first 2 shown]
	s_waitcnt lgkmcnt(20)
	ds_bpermute_b32 v43, v17, v6
	ds_bpermute_b32 v44, v18, v6
	s_waitcnt lgkmcnt(19)
	v_cndmask_b32_e64 v3, v3, v7, s3
	s_mov_b32 s16, 0
	s_waitcnt lgkmcnt(17)
	v_cndmask_b32_e64 v7, v27, v28, s3
	ds_bpermute_b32 v28, v18, v0
	s_waitcnt lgkmcnt(16)
	v_cndmask_b32_e64 v27, v29, v30, s3
	ds_bpermute_b32 v29, v18, v1
	s_waitcnt lgkmcnt(15)
	v_cndmask_b32_e64 v0, v3, v31, s2
	v_cndmask_b32_e64 v1, v7, v32, s2
	ds_bpermute_b32 v7, v18, v13
	s_waitcnt lgkmcnt(15)
	v_cndmask_b32_e64 v3, v27, v33, s2
	ds_bpermute_b32 v13, v18, v2
	ds_bpermute_b32 v27, v15, v5
	;; [unrolled: 1-line block ×7, first 2 shown]
	s_waitcnt lgkmcnt(15)
	v_cndmask_b32_e64 v2, v3, v42, s1
	v_cndmask_b32_e64 v6, v34, v35, s3
	s_waitcnt lgkmcnt(14)
	v_cndmask_b32_e64 v0, v0, v40, s1
	s_waitcnt lgkmcnt(13)
	;; [unrolled: 2-line block ×3, first 2 shown]
	s_barrier
	v_cndmask_b32_e64 v3, v28, v29, s3
	v_cndmask_b32_e64 v28, v36, v37, s3
	v_cndmask_b32_e64 v29, v38, v39, s3
	v_cndmask_b32_e64 v7, v12, v7, s3
	s_delay_alu instid0(VALU_DEP_4)
	v_cndmask_b32_e64 v3, v3, v13, s2
	v_cndmask_b32_e64 v6, v6, v27, s2
	;; [unrolled: 1-line block ×10, first 2 shown]
	s_branch .LBB237_4
.LBB237_3:                              ;   in Loop: Header=BB237_4 Depth=2
	v_lshlrev_b32_e32 v4, 2, v37
	v_lshlrev_b32_e32 v5, 2, v35
	;; [unrolled: 1-line block ×4, first 2 shown]
	s_barrier
	buffer_gl0_inv
	ds_store_b32 v4, v12
	ds_store_b32 v5, v32
	;; [unrolled: 1-line block ×4, first 2 shown]
	s_waitcnt lgkmcnt(0)
	s_barrier
	buffer_gl0_inv
	ds_load_2addr_b32 v[0:1], v25 offset1:32
	ds_load_2addr_b32 v[2:3], v25 offset0:64 offset1:96
	s_waitcnt lgkmcnt(0)
	s_barrier
	buffer_gl0_inv
	ds_store_b32 v4, v29
	ds_store_b32 v5, v28
	;; [unrolled: 1-line block ×4, first 2 shown]
	s_waitcnt lgkmcnt(0)
	s_barrier
	buffer_gl0_inv
	ds_load_2addr_b32 v[4:5], v25 offset1:32
	ds_load_2addr_b32 v[6:7], v25 offset0:64 offset1:96
	s_add_i32 s16, s16, 8
	s_waitcnt lgkmcnt(0)
	s_barrier
	s_cbranch_execz .LBB237_1
.LBB237_4:                              ;   Parent Loop BB237_2 Depth=1
                                        ; =>  This Inner Loop Header: Depth=2
	v_mov_b32_e32 v12, v0
	buffer_gl0_inv
	ds_store_2addr_b64 v19, v[8:9], v[10:11] offset0:8 offset1:9
	ds_store_2addr_b64 v22, v[8:9], v[10:11] offset0:2 offset1:3
	s_waitcnt lgkmcnt(0)
	s_barrier
	v_lshrrev_b32_e32 v13, s16, v12
	buffer_gl0_inv
	; wave barrier
	v_lshlrev_b32_e32 v29, 29, v13
	v_bfe_u32 v0, v12, s16, 1
	v_lshlrev_b32_e32 v28, 30, v13
	v_lshlrev_b32_e32 v30, 28, v13
	;; [unrolled: 1-line block ×4, first 2 shown]
	v_add_co_u32 v0, s13, v0, -1
	s_delay_alu instid0(VALU_DEP_1) | instskip(SKIP_3) | instid1(VALU_DEP_4)
	v_cndmask_b32_e64 v27, 0, 1, s13
	v_cmp_gt_i32_e64 s13, 0, v28
	v_lshlrev_b32_e32 v33, 25, v13
	v_lshlrev_b32_e32 v13, 24, v13
	v_cmp_ne_u32_e32 vcc_lo, 0, v27
	v_not_b32_e32 v27, v28
	v_not_b32_e32 v28, v29
	v_xor_b32_e32 v0, vcc_lo, v0
	s_delay_alu instid0(VALU_DEP_3)
	v_ashrrev_i32_e32 v27, 31, v27
	v_cmp_gt_i32_e32 vcc_lo, 0, v29
	v_not_b32_e32 v29, v30
	v_ashrrev_i32_e32 v28, 31, v28
	v_and_b32_e32 v0, exec_lo, v0
	v_xor_b32_e32 v27, s13, v27
	v_cmp_gt_i32_e64 s13, 0, v30
	v_not_b32_e32 v30, v31
	v_ashrrev_i32_e32 v29, 31, v29
	v_xor_b32_e32 v28, vcc_lo, v28
	v_and_b32_e32 v0, v0, v27
	v_cmp_gt_i32_e32 vcc_lo, 0, v31
	v_not_b32_e32 v27, v32
	v_ashrrev_i32_e32 v30, 31, v30
	v_xor_b32_e32 v29, s13, v29
	v_and_b32_e32 v0, v0, v28
	v_cmp_gt_i32_e64 s13, 0, v32
	v_ashrrev_i32_e32 v27, 31, v27
	v_xor_b32_e32 v30, vcc_lo, v30
	v_mov_b32_e32 v32, v1
	v_not_b32_e32 v28, v33
	v_and_b32_e32 v0, v0, v29
	v_cmp_gt_i32_e32 vcc_lo, 0, v33
	v_xor_b32_e32 v27, s13, v27
	v_bfe_u32 v1, v12, s16, 8
	v_ashrrev_i32_e32 v28, 31, v28
	v_and_b32_e32 v0, v0, v30
	v_dual_mov_b32 v30, v3 :: v_dual_mov_b32 v31, v2
	s_delay_alu instid0(VALU_DEP_4) | instskip(NEXT) | instid1(VALU_DEP_4)
	v_lshl_add_u32 v1, v1, 4, v26
	v_xor_b32_e32 v28, vcc_lo, v28
	s_delay_alu instid0(VALU_DEP_4) | instskip(NEXT) | instid1(VALU_DEP_3)
	v_dual_mov_b32 v27, v6 :: v_dual_and_b32 v0, v0, v27
	v_lshl_add_u32 v34, v1, 2, 64
	s_delay_alu instid0(VALU_DEP_2) | instskip(SKIP_3) | instid1(VALU_DEP_2)
	v_and_b32_e32 v0, v0, v28
	v_mov_b32_e32 v28, v5
	v_not_b32_e32 v29, v13
	v_cmp_gt_i32_e64 s13, 0, v13
	v_ashrrev_i32_e32 v13, 31, v29
	v_mov_b32_e32 v29, v4
	s_delay_alu instid0(VALU_DEP_2) | instskip(NEXT) | instid1(VALU_DEP_1)
	v_xor_b32_e32 v3, s13, v13
	v_dual_mov_b32 v13, v7 :: v_dual_and_b32 v0, v0, v3
	s_delay_alu instid0(VALU_DEP_1) | instskip(SKIP_1) | instid1(VALU_DEP_2)
	v_mbcnt_lo_u32_b32 v33, v0, 0
	v_cmp_ne_u32_e64 s13, 0, v0
	v_cmp_eq_u32_e32 vcc_lo, 0, v33
	s_delay_alu instid0(VALU_DEP_2) | instskip(NEXT) | instid1(SALU_CYCLE_1)
	s_and_b32 s17, s13, vcc_lo
	s_and_saveexec_b32 s13, s17
	s_cbranch_execz .LBB237_6
; %bb.5:                                ;   in Loop: Header=BB237_4 Depth=2
	v_bcnt_u32_b32 v0, v0, 0
	ds_store_b32 v34, v0
.LBB237_6:                              ;   in Loop: Header=BB237_4 Depth=2
	s_or_b32 exec_lo, exec_lo, s13
	v_bfe_u32 v0, v32, s16, 1
	v_lshrrev_b32_e32 v1, s16, v32
	; wave barrier
	s_delay_alu instid0(VALU_DEP_2) | instskip(NEXT) | instid1(VALU_DEP_1)
	v_add_co_u32 v0, s13, v0, -1
	v_cndmask_b32_e64 v2, 0, 1, s13
	s_delay_alu instid0(VALU_DEP_3)
	v_lshlrev_b32_e32 v3, 30, v1
	v_lshlrev_b32_e32 v4, 29, v1
	;; [unrolled: 1-line block ×4, first 2 shown]
	v_cmp_ne_u32_e32 vcc_lo, 0, v2
	v_not_b32_e32 v2, v3
	v_cmp_gt_i32_e64 s13, 0, v3
	v_not_b32_e32 v3, v4
	v_lshlrev_b32_e32 v7, 26, v1
	v_xor_b32_e32 v0, vcc_lo, v0
	v_ashrrev_i32_e32 v2, 31, v2
	v_cmp_gt_i32_e32 vcc_lo, 0, v4
	v_not_b32_e32 v4, v5
	v_ashrrev_i32_e32 v3, 31, v3
	v_and_b32_e32 v0, exec_lo, v0
	v_xor_b32_e32 v2, s13, v2
	v_cmp_gt_i32_e64 s13, 0, v5
	v_not_b32_e32 v5, v6
	v_ashrrev_i32_e32 v4, 31, v4
	v_xor_b32_e32 v3, vcc_lo, v3
	v_and_b32_e32 v0, v0, v2
	v_cmp_gt_i32_e32 vcc_lo, 0, v6
	v_not_b32_e32 v2, v7
	v_ashrrev_i32_e32 v5, 31, v5
	v_xor_b32_e32 v4, s13, v4
	v_and_b32_e32 v0, v0, v3
	v_lshlrev_b32_e32 v3, 25, v1
	v_cmp_gt_i32_e64 s13, 0, v7
	v_ashrrev_i32_e32 v2, 31, v2
	v_xor_b32_e32 v5, vcc_lo, v5
	v_and_b32_e32 v0, v0, v4
	v_not_b32_e32 v6, v3
	v_lshlrev_b32_e32 v1, 24, v1
	v_bfe_u32 v4, v32, s16, 8
	v_xor_b32_e32 v2, s13, v2
	v_and_b32_e32 v0, v0, v5
	v_cmp_gt_i32_e32 vcc_lo, 0, v3
	v_ashrrev_i32_e32 v3, 31, v6
	v_not_b32_e32 v5, v1
	v_lshlrev_b32_e32 v4, 4, v4
	v_and_b32_e32 v0, v0, v2
	s_delay_alu instid0(VALU_DEP_4) | instskip(SKIP_3) | instid1(VALU_DEP_4)
	v_xor_b32_e32 v2, vcc_lo, v3
	v_cmp_gt_i32_e32 vcc_lo, 0, v1
	v_ashrrev_i32_e32 v1, 31, v5
	v_add_lshl_u32 v3, v4, v26, 2
	v_and_b32_e32 v0, v0, v2
	s_delay_alu instid0(VALU_DEP_3) | instskip(SKIP_3) | instid1(VALU_DEP_1)
	v_xor_b32_e32 v1, vcc_lo, v1
	ds_load_b32 v35, v3 offset:64
	v_add_nc_u32_e32 v37, 64, v3
	; wave barrier
	v_and_b32_e32 v0, v0, v1
	v_mbcnt_lo_u32_b32 v36, v0, 0
	v_cmp_ne_u32_e64 s13, 0, v0
	s_delay_alu instid0(VALU_DEP_2) | instskip(NEXT) | instid1(VALU_DEP_2)
	v_cmp_eq_u32_e32 vcc_lo, 0, v36
	s_and_b32 s17, s13, vcc_lo
	s_delay_alu instid0(SALU_CYCLE_1)
	s_and_saveexec_b32 s13, s17
	s_cbranch_execz .LBB237_8
; %bb.7:                                ;   in Loop: Header=BB237_4 Depth=2
	s_waitcnt lgkmcnt(0)
	v_bcnt_u32_b32 v0, v0, v35
	ds_store_b32 v37, v0
.LBB237_8:                              ;   in Loop: Header=BB237_4 Depth=2
	s_or_b32 exec_lo, exec_lo, s13
	v_bfe_u32 v0, v31, s16, 1
	v_lshrrev_b32_e32 v1, s16, v31
	; wave barrier
	s_delay_alu instid0(VALU_DEP_2) | instskip(NEXT) | instid1(VALU_DEP_1)
	v_add_co_u32 v0, s13, v0, -1
	v_cndmask_b32_e64 v2, 0, 1, s13
	s_delay_alu instid0(VALU_DEP_3)
	v_lshlrev_b32_e32 v3, 30, v1
	v_lshlrev_b32_e32 v4, 29, v1
	;; [unrolled: 1-line block ×4, first 2 shown]
	v_cmp_ne_u32_e32 vcc_lo, 0, v2
	v_not_b32_e32 v2, v3
	v_cmp_gt_i32_e64 s13, 0, v3
	v_not_b32_e32 v3, v4
	v_lshlrev_b32_e32 v7, 26, v1
	v_xor_b32_e32 v0, vcc_lo, v0
	v_ashrrev_i32_e32 v2, 31, v2
	v_cmp_gt_i32_e32 vcc_lo, 0, v4
	v_not_b32_e32 v4, v5
	v_ashrrev_i32_e32 v3, 31, v3
	v_and_b32_e32 v0, exec_lo, v0
	v_xor_b32_e32 v2, s13, v2
	v_cmp_gt_i32_e64 s13, 0, v5
	v_not_b32_e32 v5, v6
	v_ashrrev_i32_e32 v4, 31, v4
	v_xor_b32_e32 v3, vcc_lo, v3
	v_and_b32_e32 v0, v0, v2
	v_cmp_gt_i32_e32 vcc_lo, 0, v6
	v_not_b32_e32 v2, v7
	v_ashrrev_i32_e32 v5, 31, v5
	v_xor_b32_e32 v4, s13, v4
	v_and_b32_e32 v0, v0, v3
	v_lshlrev_b32_e32 v3, 25, v1
	v_cmp_gt_i32_e64 s13, 0, v7
	v_ashrrev_i32_e32 v2, 31, v2
	v_xor_b32_e32 v5, vcc_lo, v5
	v_and_b32_e32 v0, v0, v4
	v_not_b32_e32 v6, v3
	v_lshlrev_b32_e32 v1, 24, v1
	v_bfe_u32 v4, v31, s16, 8
	v_xor_b32_e32 v2, s13, v2
	v_and_b32_e32 v0, v0, v5
	v_cmp_gt_i32_e32 vcc_lo, 0, v3
	v_ashrrev_i32_e32 v3, 31, v6
	v_not_b32_e32 v5, v1
	v_lshlrev_b32_e32 v4, 4, v4
	v_and_b32_e32 v0, v0, v2
	s_delay_alu instid0(VALU_DEP_4) | instskip(SKIP_3) | instid1(VALU_DEP_4)
	v_xor_b32_e32 v2, vcc_lo, v3
	v_cmp_gt_i32_e32 vcc_lo, 0, v1
	v_ashrrev_i32_e32 v1, 31, v5
	v_add_lshl_u32 v3, v4, v26, 2
	v_and_b32_e32 v0, v0, v2
	s_delay_alu instid0(VALU_DEP_3) | instskip(SKIP_3) | instid1(VALU_DEP_1)
	v_xor_b32_e32 v1, vcc_lo, v1
	ds_load_b32 v38, v3 offset:64
	v_add_nc_u32_e32 v40, 64, v3
	; wave barrier
	v_and_b32_e32 v0, v0, v1
	v_mbcnt_lo_u32_b32 v39, v0, 0
	v_cmp_ne_u32_e64 s13, 0, v0
	s_delay_alu instid0(VALU_DEP_2) | instskip(NEXT) | instid1(VALU_DEP_2)
	v_cmp_eq_u32_e32 vcc_lo, 0, v39
	s_and_b32 s17, s13, vcc_lo
	s_delay_alu instid0(SALU_CYCLE_1)
	s_and_saveexec_b32 s13, s17
	s_cbranch_execz .LBB237_10
; %bb.9:                                ;   in Loop: Header=BB237_4 Depth=2
	s_waitcnt lgkmcnt(0)
	v_bcnt_u32_b32 v0, v0, v38
	ds_store_b32 v40, v0
.LBB237_10:                             ;   in Loop: Header=BB237_4 Depth=2
	s_or_b32 exec_lo, exec_lo, s13
	v_bfe_u32 v0, v30, s16, 1
	v_lshrrev_b32_e32 v1, s16, v30
	; wave barrier
	s_delay_alu instid0(VALU_DEP_2) | instskip(NEXT) | instid1(VALU_DEP_1)
	v_add_co_u32 v0, s13, v0, -1
	v_cndmask_b32_e64 v2, 0, 1, s13
	s_delay_alu instid0(VALU_DEP_3)
	v_lshlrev_b32_e32 v3, 30, v1
	v_lshlrev_b32_e32 v4, 29, v1
	;; [unrolled: 1-line block ×4, first 2 shown]
	v_cmp_ne_u32_e32 vcc_lo, 0, v2
	v_not_b32_e32 v2, v3
	v_cmp_gt_i32_e64 s13, 0, v3
	v_not_b32_e32 v3, v4
	v_lshlrev_b32_e32 v7, 26, v1
	v_xor_b32_e32 v0, vcc_lo, v0
	v_ashrrev_i32_e32 v2, 31, v2
	v_cmp_gt_i32_e32 vcc_lo, 0, v4
	v_not_b32_e32 v4, v5
	v_ashrrev_i32_e32 v3, 31, v3
	v_and_b32_e32 v0, exec_lo, v0
	v_xor_b32_e32 v2, s13, v2
	v_cmp_gt_i32_e64 s13, 0, v5
	v_not_b32_e32 v5, v6
	v_ashrrev_i32_e32 v4, 31, v4
	v_xor_b32_e32 v3, vcc_lo, v3
	v_and_b32_e32 v0, v0, v2
	v_cmp_gt_i32_e32 vcc_lo, 0, v6
	v_not_b32_e32 v2, v7
	v_ashrrev_i32_e32 v5, 31, v5
	v_xor_b32_e32 v4, s13, v4
	v_and_b32_e32 v0, v0, v3
	v_lshlrev_b32_e32 v3, 25, v1
	v_cmp_gt_i32_e64 s13, 0, v7
	v_ashrrev_i32_e32 v2, 31, v2
	v_xor_b32_e32 v5, vcc_lo, v5
	v_and_b32_e32 v0, v0, v4
	v_not_b32_e32 v6, v3
	v_lshlrev_b32_e32 v1, 24, v1
	v_bfe_u32 v4, v30, s16, 8
	v_xor_b32_e32 v2, s13, v2
	v_and_b32_e32 v0, v0, v5
	v_cmp_gt_i32_e32 vcc_lo, 0, v3
	v_ashrrev_i32_e32 v3, 31, v6
	v_not_b32_e32 v5, v1
	v_lshlrev_b32_e32 v4, 4, v4
	v_and_b32_e32 v0, v0, v2
	s_delay_alu instid0(VALU_DEP_4) | instskip(SKIP_3) | instid1(VALU_DEP_4)
	v_xor_b32_e32 v2, vcc_lo, v3
	v_cmp_gt_i32_e32 vcc_lo, 0, v1
	v_ashrrev_i32_e32 v1, 31, v5
	v_add_lshl_u32 v3, v4, v26, 2
	v_and_b32_e32 v0, v0, v2
	s_delay_alu instid0(VALU_DEP_3) | instskip(SKIP_3) | instid1(VALU_DEP_1)
	v_xor_b32_e32 v1, vcc_lo, v1
	ds_load_b32 v41, v3 offset:64
	v_add_nc_u32_e32 v43, 64, v3
	; wave barrier
	v_and_b32_e32 v0, v0, v1
	v_mbcnt_lo_u32_b32 v42, v0, 0
	v_cmp_ne_u32_e64 s13, 0, v0
	s_delay_alu instid0(VALU_DEP_2) | instskip(NEXT) | instid1(VALU_DEP_2)
	v_cmp_eq_u32_e32 vcc_lo, 0, v42
	s_and_b32 s17, s13, vcc_lo
	s_delay_alu instid0(SALU_CYCLE_1)
	s_and_saveexec_b32 s13, s17
	s_cbranch_execz .LBB237_12
; %bb.11:                               ;   in Loop: Header=BB237_4 Depth=2
	s_waitcnt lgkmcnt(0)
	v_bcnt_u32_b32 v0, v0, v41
	ds_store_b32 v43, v0
.LBB237_12:                             ;   in Loop: Header=BB237_4 Depth=2
	s_or_b32 exec_lo, exec_lo, s13
	; wave barrier
	s_waitcnt lgkmcnt(0)
	s_barrier
	buffer_gl0_inv
	ds_load_2addr_b64 v[4:7], v19 offset0:8 offset1:9
	ds_load_2addr_b64 v[0:3], v22 offset0:2 offset1:3
	s_waitcnt lgkmcnt(1)
	v_add_nc_u32_e32 v44, v5, v4
	s_delay_alu instid0(VALU_DEP_1) | instskip(SKIP_1) | instid1(VALU_DEP_1)
	v_add3_u32 v44, v44, v6, v7
	s_waitcnt lgkmcnt(0)
	v_add3_u32 v44, v44, v0, v1
	s_delay_alu instid0(VALU_DEP_1) | instskip(NEXT) | instid1(VALU_DEP_1)
	v_add3_u32 v3, v44, v2, v3
	v_mov_b32_dpp v44, v3 row_shr:1 row_mask:0xf bank_mask:0xf
	s_delay_alu instid0(VALU_DEP_1) | instskip(NEXT) | instid1(VALU_DEP_1)
	v_cndmask_b32_e64 v44, v44, 0, s4
	v_add_nc_u32_e32 v3, v44, v3
	s_delay_alu instid0(VALU_DEP_1) | instskip(NEXT) | instid1(VALU_DEP_1)
	v_mov_b32_dpp v44, v3 row_shr:2 row_mask:0xf bank_mask:0xf
	v_cndmask_b32_e64 v44, 0, v44, s5
	s_delay_alu instid0(VALU_DEP_1) | instskip(NEXT) | instid1(VALU_DEP_1)
	v_add_nc_u32_e32 v3, v3, v44
	v_mov_b32_dpp v44, v3 row_shr:4 row_mask:0xf bank_mask:0xf
	s_delay_alu instid0(VALU_DEP_1) | instskip(NEXT) | instid1(VALU_DEP_1)
	v_cndmask_b32_e64 v44, 0, v44, s6
	v_add_nc_u32_e32 v3, v3, v44
	s_delay_alu instid0(VALU_DEP_1) | instskip(NEXT) | instid1(VALU_DEP_1)
	v_mov_b32_dpp v44, v3 row_shr:8 row_mask:0xf bank_mask:0xf
	v_cndmask_b32_e64 v44, 0, v44, s7
	s_delay_alu instid0(VALU_DEP_1) | instskip(SKIP_3) | instid1(VALU_DEP_1)
	v_add_nc_u32_e32 v3, v3, v44
	ds_swizzle_b32 v44, v3 offset:swizzle(BROADCAST,32,15)
	s_waitcnt lgkmcnt(0)
	v_cndmask_b32_e64 v44, v44, 0, s8
	v_add_nc_u32_e32 v3, v3, v44
	s_and_saveexec_b32 s13, s12
	s_cbranch_execz .LBB237_14
; %bb.13:                               ;   in Loop: Header=BB237_4 Depth=2
	ds_store_b32 v21, v3
.LBB237_14:                             ;   in Loop: Header=BB237_4 Depth=2
	s_or_b32 exec_lo, exec_lo, s13
	s_waitcnt lgkmcnt(0)
	s_barrier
	buffer_gl0_inv
	s_and_saveexec_b32 s13, s9
	s_cbranch_execz .LBB237_16
; %bb.15:                               ;   in Loop: Header=BB237_4 Depth=2
	v_add_nc_u32_e32 v44, v19, v20
	ds_load_b32 v45, v44
	s_waitcnt lgkmcnt(0)
	v_mov_b32_dpp v46, v45 row_shr:1 row_mask:0xf bank_mask:0xf
	s_delay_alu instid0(VALU_DEP_1) | instskip(NEXT) | instid1(VALU_DEP_1)
	v_cndmask_b32_e64 v46, v46, 0, s4
	v_add_nc_u32_e32 v45, v46, v45
	s_delay_alu instid0(VALU_DEP_1) | instskip(NEXT) | instid1(VALU_DEP_1)
	v_mov_b32_dpp v46, v45 row_shr:2 row_mask:0xf bank_mask:0xf
	v_cndmask_b32_e64 v46, 0, v46, s5
	s_delay_alu instid0(VALU_DEP_1) | instskip(NEXT) | instid1(VALU_DEP_1)
	v_add_nc_u32_e32 v45, v45, v46
	v_mov_b32_dpp v46, v45 row_shr:4 row_mask:0xf bank_mask:0xf
	s_delay_alu instid0(VALU_DEP_1) | instskip(NEXT) | instid1(VALU_DEP_1)
	v_cndmask_b32_e64 v46, 0, v46, s6
	v_add_nc_u32_e32 v45, v45, v46
	s_delay_alu instid0(VALU_DEP_1) | instskip(NEXT) | instid1(VALU_DEP_1)
	v_mov_b32_dpp v46, v45 row_shr:8 row_mask:0xf bank_mask:0xf
	v_cndmask_b32_e64 v46, 0, v46, s7
	s_delay_alu instid0(VALU_DEP_1)
	v_add_nc_u32_e32 v45, v45, v46
	ds_store_b32 v44, v45
.LBB237_16:                             ;   in Loop: Header=BB237_4 Depth=2
	s_or_b32 exec_lo, exec_lo, s13
	v_mov_b32_e32 v44, 0
	s_waitcnt lgkmcnt(0)
	s_barrier
	buffer_gl0_inv
	s_and_saveexec_b32 s13, s10
	s_cbranch_execz .LBB237_18
; %bb.17:                               ;   in Loop: Header=BB237_4 Depth=2
	ds_load_b32 v44, v24
.LBB237_18:                             ;   in Loop: Header=BB237_4 Depth=2
	s_or_b32 exec_lo, exec_lo, s13
	s_waitcnt lgkmcnt(0)
	v_add_nc_u32_e32 v3, v44, v3
	s_cmp_gt_u32 s16, 23
	ds_bpermute_b32 v3, v23, v3
	s_waitcnt lgkmcnt(0)
	v_cndmask_b32_e64 v3, v3, v44, s0
	s_delay_alu instid0(VALU_DEP_1) | instskip(NEXT) | instid1(VALU_DEP_1)
	v_cndmask_b32_e64 v3, v3, 0, s11
	v_add_nc_u32_e32 v4, v3, v4
	s_delay_alu instid0(VALU_DEP_1) | instskip(NEXT) | instid1(VALU_DEP_1)
	v_add_nc_u32_e32 v5, v4, v5
	v_add_nc_u32_e32 v6, v5, v6
	s_delay_alu instid0(VALU_DEP_1) | instskip(NEXT) | instid1(VALU_DEP_1)
	v_add_nc_u32_e32 v44, v6, v7
	;; [unrolled: 3-line block ×3, first 2 shown]
	v_add_nc_u32_e32 v1, v0, v2
	ds_store_2addr_b64 v19, v[3:4], v[5:6] offset0:8 offset1:9
	ds_store_2addr_b64 v22, v[44:45], v[0:1] offset0:2 offset1:3
	s_waitcnt lgkmcnt(0)
	s_barrier
	buffer_gl0_inv
	ds_load_b32 v0, v34
	ds_load_b32 v1, v37
	;; [unrolled: 1-line block ×4, first 2 shown]
	s_waitcnt lgkmcnt(3)
	v_add_nc_u32_e32 v37, v0, v33
	s_waitcnt lgkmcnt(2)
	v_add3_u32 v35, v36, v35, v1
	s_waitcnt lgkmcnt(1)
	v_add3_u32 v34, v39, v38, v2
	;; [unrolled: 2-line block ×3, first 2 shown]
	s_cbranch_scc0 .LBB237_3
; %bb.19:                               ;   in Loop: Header=BB237_2 Depth=1
                                        ; implicit-def: $vgpr3
                                        ; implicit-def: $vgpr1
                                        ; implicit-def: $vgpr7
                                        ; implicit-def: $vgpr5
                                        ; implicit-def: $sgpr16
	s_branch .LBB237_1
.LBB237_20:
	s_add_u32 s0, s18, s14
	s_addc_u32 s1, s19, s15
	v_add_co_u32 v0, s2, s0, v14
	s_waitcnt lgkmcnt(1)
	v_add_nc_u32_e32 v7, v1, v12
	v_add_co_ci_u32_e64 v1, null, s1, 0, s2
	s_delay_alu instid0(VALU_DEP_3)
	v_add_co_u32 v0, vcc_lo, 0x1000, v0
	v_add_nc_u32_e32 v2, v2, v13
	s_waitcnt lgkmcnt(0)
	v_add_nc_u32_e32 v3, v3, v5
	v_add_co_ci_u32_e32 v1, vcc_lo, 0, v1, vcc_lo
	v_add_nc_u32_e32 v4, v4, v6
	s_clause 0x3
	global_store_b32 v14, v7, s[0:1]
	global_store_b32 v14, v2, s[0:1] offset:2048
	global_store_b32 v[0:1], v3, off
	global_store_b32 v[0:1], v4, off offset:2048
	s_nop 0
	s_sendmsg sendmsg(MSG_DEALLOC_VGPRS)
	s_endpgm
	.section	.rodata,"a",@progbits
	.p2align	6, 0x0
	.amdhsa_kernel _Z17sort_pairs_kernelI22helper_blocked_stripediLj512ELj4ELj10EEvPKT0_PS1_
		.amdhsa_group_segment_fixed_size 16448
		.amdhsa_private_segment_fixed_size 0
		.amdhsa_kernarg_size 272
		.amdhsa_user_sgpr_count 15
		.amdhsa_user_sgpr_dispatch_ptr 0
		.amdhsa_user_sgpr_queue_ptr 0
		.amdhsa_user_sgpr_kernarg_segment_ptr 1
		.amdhsa_user_sgpr_dispatch_id 0
		.amdhsa_user_sgpr_private_segment_size 0
		.amdhsa_wavefront_size32 1
		.amdhsa_uses_dynamic_stack 0
		.amdhsa_enable_private_segment 0
		.amdhsa_system_sgpr_workgroup_id_x 1
		.amdhsa_system_sgpr_workgroup_id_y 0
		.amdhsa_system_sgpr_workgroup_id_z 0
		.amdhsa_system_sgpr_workgroup_info 0
		.amdhsa_system_vgpr_workitem_id 2
		.amdhsa_next_free_vgpr 47
		.amdhsa_next_free_sgpr 22
		.amdhsa_reserve_vcc 1
		.amdhsa_float_round_mode_32 0
		.amdhsa_float_round_mode_16_64 0
		.amdhsa_float_denorm_mode_32 3
		.amdhsa_float_denorm_mode_16_64 3
		.amdhsa_dx10_clamp 1
		.amdhsa_ieee_mode 1
		.amdhsa_fp16_overflow 0
		.amdhsa_workgroup_processor_mode 1
		.amdhsa_memory_ordered 1
		.amdhsa_forward_progress 0
		.amdhsa_shared_vgpr_count 0
		.amdhsa_exception_fp_ieee_invalid_op 0
		.amdhsa_exception_fp_denorm_src 0
		.amdhsa_exception_fp_ieee_div_zero 0
		.amdhsa_exception_fp_ieee_overflow 0
		.amdhsa_exception_fp_ieee_underflow 0
		.amdhsa_exception_fp_ieee_inexact 0
		.amdhsa_exception_int_div_zero 0
	.end_amdhsa_kernel
	.section	.text._Z17sort_pairs_kernelI22helper_blocked_stripediLj512ELj4ELj10EEvPKT0_PS1_,"axG",@progbits,_Z17sort_pairs_kernelI22helper_blocked_stripediLj512ELj4ELj10EEvPKT0_PS1_,comdat
.Lfunc_end237:
	.size	_Z17sort_pairs_kernelI22helper_blocked_stripediLj512ELj4ELj10EEvPKT0_PS1_, .Lfunc_end237-_Z17sort_pairs_kernelI22helper_blocked_stripediLj512ELj4ELj10EEvPKT0_PS1_
                                        ; -- End function
	.section	.AMDGPU.csdata,"",@progbits
; Kernel info:
; codeLenInByte = 3464
; NumSgprs: 24
; NumVgprs: 47
; ScratchSize: 0
; MemoryBound: 0
; FloatMode: 240
; IeeeMode: 1
; LDSByteSize: 16448 bytes/workgroup (compile time only)
; SGPRBlocks: 2
; VGPRBlocks: 5
; NumSGPRsForWavesPerEU: 24
; NumVGPRsForWavesPerEU: 47
; Occupancy: 16
; WaveLimiterHint : 1
; COMPUTE_PGM_RSRC2:SCRATCH_EN: 0
; COMPUTE_PGM_RSRC2:USER_SGPR: 15
; COMPUTE_PGM_RSRC2:TRAP_HANDLER: 0
; COMPUTE_PGM_RSRC2:TGID_X_EN: 1
; COMPUTE_PGM_RSRC2:TGID_Y_EN: 0
; COMPUTE_PGM_RSRC2:TGID_Z_EN: 0
; COMPUTE_PGM_RSRC2:TIDIG_COMP_CNT: 2
	.section	.text._Z16sort_keys_kernelI22helper_blocked_stripediLj512ELj8ELj10EEvPKT0_PS1_,"axG",@progbits,_Z16sort_keys_kernelI22helper_blocked_stripediLj512ELj8ELj10EEvPKT0_PS1_,comdat
	.protected	_Z16sort_keys_kernelI22helper_blocked_stripediLj512ELj8ELj10EEvPKT0_PS1_ ; -- Begin function _Z16sort_keys_kernelI22helper_blocked_stripediLj512ELj8ELj10EEvPKT0_PS1_
	.globl	_Z16sort_keys_kernelI22helper_blocked_stripediLj512ELj8ELj10EEvPKT0_PS1_
	.p2align	8
	.type	_Z16sort_keys_kernelI22helper_blocked_stripediLj512ELj8ELj10EEvPKT0_PS1_,@function
_Z16sort_keys_kernelI22helper_blocked_stripediLj512ELj8ELj10EEvPKT0_PS1_: ; @_Z16sort_keys_kernelI22helper_blocked_stripediLj512ELj8ELj10EEvPKT0_PS1_
; %bb.0:
	s_clause 0x1
	s_load_b128 s[16:19], s[0:1], 0x0
	s_load_b32 s2, s[0:1], 0x1c
	s_mov_b32 s11, 0
	s_lshl_b32 s10, s15, 12
	v_bfe_u32 v10, v0, 10, 10
	s_lshl_b64 s[12:13], s[10:11], 2
	s_mov_b32 s10, s11
	v_and_b32_e32 v9, 0x3ff, v0
	v_bfe_u32 v0, v0, 20, 10
	v_mbcnt_lo_u32_b32 v12, -1, 0
	s_mov_b32 s14, s11
	s_mov_b32 s15, s11
	v_lshlrev_b32_e32 v14, 5, v9
	s_delay_alu instid0(VALU_DEP_2)
	v_cmp_eq_u32_e64 s8, 0, v12
	s_waitcnt lgkmcnt(0)
	s_add_u32 s0, s16, s12
	s_addc_u32 s1, s17, s13
	s_clause 0x1
	global_load_b128 v[1:4], v14, s[0:1]
	global_load_b128 v[5:8], v14, s[0:1] offset:16
	s_lshr_b32 s0, s2, 16
	s_delay_alu instid0(SALU_CYCLE_1)
	v_mad_u32_u24 v0, v0, s0, v10
	s_and_b32 s0, s2, 0xffff
	s_delay_alu instid0(VALU_DEP_1) | instid1(SALU_CYCLE_1)
	v_mad_u64_u32 v[10:11], null, v0, s0, v[9:10]
	v_and_b32_e32 v11, 15, v12
	s_delay_alu instid0(VALU_DEP_1) | instskip(NEXT) | instid1(VALU_DEP_3)
	v_cmp_eq_u32_e64 s0, 0, v11
	v_lshrrev_b32_e32 v18, 5, v10
	v_add_nc_u32_e32 v10, -1, v12
	v_cmp_lt_u32_e64 s1, 1, v11
	v_cmp_lt_u32_e64 s2, 3, v11
	;; [unrolled: 1-line block ×3, first 2 shown]
	s_delay_alu instid0(VALU_DEP_4) | instskip(SKIP_1) | instid1(VALU_DEP_1)
	v_cmp_gt_i32_e32 vcc_lo, 0, v10
	v_dual_cndmask_b32 v10, v10, v12 :: v_dual_and_b32 v13, 0x1e0, v9
	v_or_b32_e32 v11, 31, v13
	v_or_b32_e32 v16, v12, v13
	s_delay_alu instid0(VALU_DEP_3) | instskip(NEXT) | instid1(VALU_DEP_3)
	v_lshlrev_b32_e32 v20, 2, v10
	v_cmp_eq_u32_e64 s5, v11, v9
	v_dual_mov_b32 v10, s10 :: v_dual_lshlrev_b32 v15, 3, v9
	v_cmp_gt_u32_e64 s6, 16, v9
	v_cmp_lt_u32_e64 s7, 31, v9
	v_cmp_eq_u32_e64 s9, 0, v9
	v_mul_i32_i24_e32 v21, 0xffffffe4, v9
	v_and_or_b32 v0, 0xf00, v15, v12
	v_lshlrev_b32_e32 v15, 5, v16
	v_mov_b32_e32 v11, s11
	v_add_nc_u32_e32 v17, 64, v14
	s_delay_alu instid0(VALU_DEP_4) | instskip(SKIP_2) | instid1(VALU_DEP_2)
	v_lshlrev_b32_e32 v16, 2, v0
	v_and_b32_e32 v0, 16, v12
	v_dual_mov_b32 v12, s14 :: v_dual_mov_b32 v13, s15
	v_cmp_eq_u32_e64 s4, 0, v0
	v_lshrrev_b32_e32 v0, 3, v9
	s_delay_alu instid0(VALU_DEP_1) | instskip(NEXT) | instid1(VALU_DEP_1)
	v_and_b32_e32 v19, 60, v0
	v_add_nc_u32_e32 v22, -4, v19
	s_branch .LBB238_2
.LBB238_1:                              ;   in Loop: Header=BB238_2 Depth=1
	v_lshlrev_b32_e32 v0, 2, v40
	v_lshlrev_b32_e32 v1, 2, v37
	s_barrier
	v_lshlrev_b32_e32 v2, 2, v35
	buffer_gl0_inv
	ds_store_b32 v0, v8
	ds_store_b32 v1, v29
	v_lshlrev_b32_e32 v0, 2, v34
	v_lshlrev_b32_e32 v1, 2, v33
	ds_store_b32 v2, v28
	v_add_nc_u32_e32 v7, v14, v21
	v_lshlrev_b32_e32 v2, 2, v32
	ds_store_b32 v0, v27
	v_lshlrev_b32_e32 v0, 2, v30
	v_lshlrev_b32_e32 v3, 2, v31
	ds_store_b32 v1, v26
	ds_store_b32 v2, v25
	;; [unrolled: 1-line block ×4, first 2 shown]
	s_waitcnt lgkmcnt(0)
	s_barrier
	buffer_gl0_inv
	ds_load_2addr_stride64_b32 v[1:2], v7 offset1:8
	ds_load_2addr_stride64_b32 v[3:4], v7 offset0:16 offset1:24
	ds_load_2addr_stride64_b32 v[5:6], v7 offset0:32 offset1:40
	;; [unrolled: 1-line block ×3, first 2 shown]
	s_add_i32 s11, s11, 1
	s_delay_alu instid0(SALU_CYCLE_1)
	s_cmp_eq_u32 s11, 10
	s_waitcnt lgkmcnt(3)
	v_xor_b32_e32 v1, 0x80000000, v1
	v_xor_b32_e32 v2, 0x80000000, v2
	s_waitcnt lgkmcnt(2)
	v_xor_b32_e32 v3, 0x80000000, v3
	v_xor_b32_e32 v4, 0x80000000, v4
	;; [unrolled: 3-line block ×4, first 2 shown]
	s_cbranch_scc1 .LBB238_28
.LBB238_2:                              ; =>This Loop Header: Depth=1
                                        ;     Child Loop BB238_4 Depth 2
	s_waitcnt vmcnt(1)
	v_xor_b32_e32 v0, 0x80000000, v1
	v_xor_b32_e32 v1, 0x80000000, v2
	;; [unrolled: 1-line block ×4, first 2 shown]
	s_waitcnt vmcnt(0)
	v_xor_b32_e32 v4, 0x80000000, v5
	v_xor_b32_e32 v5, 0x80000000, v6
	;; [unrolled: 1-line block ×4, first 2 shown]
	ds_store_2addr_b64 v15, v[0:1], v[2:3] offset1:1
	ds_store_2addr_b64 v15, v[4:5], v[6:7] offset0:2 offset1:3
	; wave barrier
	ds_load_2addr_b32 v[0:1], v16 offset1:32
	ds_load_2addr_b32 v[2:3], v16 offset0:64 offset1:96
	ds_load_2addr_b32 v[4:5], v16 offset0:128 offset1:160
	;; [unrolled: 1-line block ×3, first 2 shown]
	s_mov_b32 s14, 0
	s_waitcnt lgkmcnt(0)
	s_barrier
	buffer_gl0_inv
	; wave barrier
	s_barrier
	s_branch .LBB238_4
.LBB238_3:                              ;   in Loop: Header=BB238_4 Depth=2
	v_lshlrev_b32_e32 v0, 2, v40
	v_lshlrev_b32_e32 v1, 2, v37
	;; [unrolled: 1-line block ×3, first 2 shown]
	s_barrier
	buffer_gl0_inv
	ds_store_b32 v0, v8
	ds_store_b32 v1, v29
	;; [unrolled: 1-line block ×3, first 2 shown]
	v_lshlrev_b32_e32 v0, 2, v34
	v_lshlrev_b32_e32 v1, 2, v33
	;; [unrolled: 1-line block ×5, first 2 shown]
	ds_store_b32 v0, v27
	ds_store_b32 v1, v26
	;; [unrolled: 1-line block ×5, first 2 shown]
	s_waitcnt lgkmcnt(0)
	s_barrier
	buffer_gl0_inv
	ds_load_2addr_b32 v[0:1], v16 offset1:32
	ds_load_2addr_b32 v[2:3], v16 offset0:64 offset1:96
	ds_load_2addr_b32 v[4:5], v16 offset0:128 offset1:160
	ds_load_2addr_b32 v[6:7], v16 offset0:192 offset1:224
	s_add_i32 s14, s14, 8
	s_waitcnt lgkmcnt(0)
	s_barrier
	s_cbranch_execz .LBB238_1
.LBB238_4:                              ;   Parent Loop BB238_2 Depth=1
                                        ; =>  This Inner Loop Header: Depth=2
	v_mov_b32_e32 v8, v0
	buffer_gl0_inv
	ds_store_2addr_b64 v14, v[10:11], v[12:13] offset0:8 offset1:9
	ds_store_2addr_b64 v17, v[10:11], v[12:13] offset0:2 offset1:3
	s_waitcnt lgkmcnt(0)
	s_barrier
	v_lshrrev_b32_e32 v23, s14, v8
	buffer_gl0_inv
	; wave barrier
	v_lshlrev_b32_e32 v25, 30, v23
	v_bfe_u32 v0, v8, s14, 1
	v_lshlrev_b32_e32 v26, 29, v23
	v_lshlrev_b32_e32 v27, 28, v23
	;; [unrolled: 1-line block ×4, first 2 shown]
	v_add_co_u32 v0, s10, v0, -1
	s_delay_alu instid0(VALU_DEP_1) | instskip(SKIP_3) | instid1(VALU_DEP_4)
	v_cndmask_b32_e64 v24, 0, 1, s10
	v_cmp_gt_i32_e64 s10, 0, v25
	v_lshlrev_b32_e32 v30, 25, v23
	v_lshlrev_b32_e32 v23, 24, v23
	v_cmp_ne_u32_e32 vcc_lo, 0, v24
	v_not_b32_e32 v24, v25
	v_not_b32_e32 v25, v26
	v_xor_b32_e32 v0, vcc_lo, v0
	s_delay_alu instid0(VALU_DEP_3)
	v_ashrrev_i32_e32 v24, 31, v24
	v_cmp_gt_i32_e32 vcc_lo, 0, v26
	v_not_b32_e32 v26, v27
	v_ashrrev_i32_e32 v25, 31, v25
	v_and_b32_e32 v0, exec_lo, v0
	v_xor_b32_e32 v24, s10, v24
	v_cmp_gt_i32_e64 s10, 0, v27
	v_not_b32_e32 v27, v28
	v_ashrrev_i32_e32 v26, 31, v26
	v_xor_b32_e32 v25, vcc_lo, v25
	v_and_b32_e32 v0, v0, v24
	v_cmp_gt_i32_e32 vcc_lo, 0, v28
	v_ashrrev_i32_e32 v27, 31, v27
	v_xor_b32_e32 v26, s10, v26
	v_not_b32_e32 v24, v29
	v_and_b32_e32 v0, v0, v25
	v_cmp_gt_i32_e64 s10, 0, v29
	v_mov_b32_e32 v29, v1
	v_xor_b32_e32 v27, vcc_lo, v27
	v_ashrrev_i32_e32 v24, 31, v24
	v_and_b32_e32 v0, v0, v26
	v_mov_b32_e32 v28, v2
	v_not_b32_e32 v26, v23
	v_bfe_u32 v1, v8, s14, 8
	v_xor_b32_e32 v24, s10, v24
	v_dual_mov_b32 v27, v3 :: v_dual_and_b32 v0, v0, v27
	v_not_b32_e32 v25, v30
	v_cmp_gt_i32_e32 vcc_lo, 0, v30
	v_cmp_gt_i32_e64 s10, 0, v23
	v_ashrrev_i32_e32 v26, 31, v26
	v_and_b32_e32 v0, v0, v24
	v_ashrrev_i32_e32 v25, 31, v25
	v_mov_b32_e32 v23, v7
	v_lshl_add_u32 v1, v1, 4, v18
	v_xor_b32_e32 v7, s10, v26
	v_mov_b32_e32 v24, v6
	v_xor_b32_e32 v25, vcc_lo, v25
	v_mov_b32_e32 v26, v4
	v_lshl_add_u32 v31, v1, 2, 64
	s_delay_alu instid0(VALU_DEP_3) | instskip(NEXT) | instid1(VALU_DEP_1)
	v_dual_mov_b32 v25, v5 :: v_dual_and_b32 v0, v0, v25
	v_and_b32_e32 v0, v0, v7
	s_delay_alu instid0(VALU_DEP_1) | instskip(SKIP_1) | instid1(VALU_DEP_2)
	v_mbcnt_lo_u32_b32 v30, v0, 0
	v_cmp_ne_u32_e64 s10, 0, v0
	v_cmp_eq_u32_e32 vcc_lo, 0, v30
	s_delay_alu instid0(VALU_DEP_2) | instskip(NEXT) | instid1(SALU_CYCLE_1)
	s_and_b32 s15, s10, vcc_lo
	s_and_saveexec_b32 s10, s15
	s_cbranch_execz .LBB238_6
; %bb.5:                                ;   in Loop: Header=BB238_4 Depth=2
	v_bcnt_u32_b32 v0, v0, 0
	ds_store_b32 v31, v0
.LBB238_6:                              ;   in Loop: Header=BB238_4 Depth=2
	s_or_b32 exec_lo, exec_lo, s10
	v_bfe_u32 v0, v29, s14, 1
	v_lshrrev_b32_e32 v1, s14, v29
	; wave barrier
	s_delay_alu instid0(VALU_DEP_2) | instskip(NEXT) | instid1(VALU_DEP_1)
	v_add_co_u32 v0, s10, v0, -1
	v_cndmask_b32_e64 v2, 0, 1, s10
	s_delay_alu instid0(VALU_DEP_3)
	v_lshlrev_b32_e32 v3, 30, v1
	v_lshlrev_b32_e32 v4, 29, v1
	;; [unrolled: 1-line block ×4, first 2 shown]
	v_cmp_ne_u32_e32 vcc_lo, 0, v2
	v_not_b32_e32 v2, v3
	v_cmp_gt_i32_e64 s10, 0, v3
	v_not_b32_e32 v3, v4
	v_lshlrev_b32_e32 v7, 26, v1
	v_xor_b32_e32 v0, vcc_lo, v0
	v_ashrrev_i32_e32 v2, 31, v2
	v_cmp_gt_i32_e32 vcc_lo, 0, v4
	v_not_b32_e32 v4, v5
	v_ashrrev_i32_e32 v3, 31, v3
	v_and_b32_e32 v0, exec_lo, v0
	v_xor_b32_e32 v2, s10, v2
	v_cmp_gt_i32_e64 s10, 0, v5
	v_not_b32_e32 v5, v6
	v_ashrrev_i32_e32 v4, 31, v4
	v_xor_b32_e32 v3, vcc_lo, v3
	v_and_b32_e32 v0, v0, v2
	v_cmp_gt_i32_e32 vcc_lo, 0, v6
	v_not_b32_e32 v2, v7
	v_ashrrev_i32_e32 v5, 31, v5
	v_xor_b32_e32 v4, s10, v4
	v_and_b32_e32 v0, v0, v3
	v_lshlrev_b32_e32 v3, 25, v1
	v_cmp_gt_i32_e64 s10, 0, v7
	v_ashrrev_i32_e32 v2, 31, v2
	v_xor_b32_e32 v5, vcc_lo, v5
	v_and_b32_e32 v0, v0, v4
	v_not_b32_e32 v6, v3
	v_lshlrev_b32_e32 v1, 24, v1
	v_bfe_u32 v4, v29, s14, 8
	v_xor_b32_e32 v2, s10, v2
	v_and_b32_e32 v0, v0, v5
	v_cmp_gt_i32_e32 vcc_lo, 0, v3
	v_ashrrev_i32_e32 v3, 31, v6
	v_not_b32_e32 v5, v1
	v_lshlrev_b32_e32 v4, 4, v4
	v_and_b32_e32 v0, v0, v2
	s_delay_alu instid0(VALU_DEP_4) | instskip(SKIP_3) | instid1(VALU_DEP_4)
	v_xor_b32_e32 v2, vcc_lo, v3
	v_cmp_gt_i32_e32 vcc_lo, 0, v1
	v_ashrrev_i32_e32 v1, 31, v5
	v_add_lshl_u32 v3, v4, v18, 2
	v_and_b32_e32 v0, v0, v2
	s_delay_alu instid0(VALU_DEP_3) | instskip(SKIP_3) | instid1(VALU_DEP_1)
	v_xor_b32_e32 v1, vcc_lo, v1
	ds_load_b32 v32, v3 offset:64
	v_add_nc_u32_e32 v34, 64, v3
	; wave barrier
	v_and_b32_e32 v0, v0, v1
	v_mbcnt_lo_u32_b32 v33, v0, 0
	v_cmp_ne_u32_e64 s10, 0, v0
	s_delay_alu instid0(VALU_DEP_2) | instskip(NEXT) | instid1(VALU_DEP_2)
	v_cmp_eq_u32_e32 vcc_lo, 0, v33
	s_and_b32 s15, s10, vcc_lo
	s_delay_alu instid0(SALU_CYCLE_1)
	s_and_saveexec_b32 s10, s15
	s_cbranch_execz .LBB238_8
; %bb.7:                                ;   in Loop: Header=BB238_4 Depth=2
	s_waitcnt lgkmcnt(0)
	v_bcnt_u32_b32 v0, v0, v32
	ds_store_b32 v34, v0
.LBB238_8:                              ;   in Loop: Header=BB238_4 Depth=2
	s_or_b32 exec_lo, exec_lo, s10
	v_bfe_u32 v0, v28, s14, 1
	v_lshrrev_b32_e32 v1, s14, v28
	; wave barrier
	s_delay_alu instid0(VALU_DEP_2) | instskip(NEXT) | instid1(VALU_DEP_1)
	v_add_co_u32 v0, s10, v0, -1
	v_cndmask_b32_e64 v2, 0, 1, s10
	s_delay_alu instid0(VALU_DEP_3)
	v_lshlrev_b32_e32 v3, 30, v1
	v_lshlrev_b32_e32 v4, 29, v1
	;; [unrolled: 1-line block ×4, first 2 shown]
	v_cmp_ne_u32_e32 vcc_lo, 0, v2
	v_not_b32_e32 v2, v3
	v_cmp_gt_i32_e64 s10, 0, v3
	v_not_b32_e32 v3, v4
	v_lshlrev_b32_e32 v7, 26, v1
	v_xor_b32_e32 v0, vcc_lo, v0
	v_ashrrev_i32_e32 v2, 31, v2
	v_cmp_gt_i32_e32 vcc_lo, 0, v4
	v_not_b32_e32 v4, v5
	v_ashrrev_i32_e32 v3, 31, v3
	v_and_b32_e32 v0, exec_lo, v0
	v_xor_b32_e32 v2, s10, v2
	v_cmp_gt_i32_e64 s10, 0, v5
	v_not_b32_e32 v5, v6
	v_ashrrev_i32_e32 v4, 31, v4
	v_xor_b32_e32 v3, vcc_lo, v3
	v_and_b32_e32 v0, v0, v2
	v_cmp_gt_i32_e32 vcc_lo, 0, v6
	v_not_b32_e32 v2, v7
	v_ashrrev_i32_e32 v5, 31, v5
	v_xor_b32_e32 v4, s10, v4
	v_and_b32_e32 v0, v0, v3
	v_lshlrev_b32_e32 v3, 25, v1
	v_cmp_gt_i32_e64 s10, 0, v7
	v_ashrrev_i32_e32 v2, 31, v2
	v_xor_b32_e32 v5, vcc_lo, v5
	v_and_b32_e32 v0, v0, v4
	v_not_b32_e32 v6, v3
	v_lshlrev_b32_e32 v1, 24, v1
	v_bfe_u32 v4, v28, s14, 8
	v_xor_b32_e32 v2, s10, v2
	v_and_b32_e32 v0, v0, v5
	v_cmp_gt_i32_e32 vcc_lo, 0, v3
	v_ashrrev_i32_e32 v3, 31, v6
	v_not_b32_e32 v5, v1
	v_lshlrev_b32_e32 v4, 4, v4
	v_and_b32_e32 v0, v0, v2
	s_delay_alu instid0(VALU_DEP_4) | instskip(SKIP_3) | instid1(VALU_DEP_4)
	v_xor_b32_e32 v2, vcc_lo, v3
	v_cmp_gt_i32_e32 vcc_lo, 0, v1
	v_ashrrev_i32_e32 v1, 31, v5
	v_add_lshl_u32 v3, v4, v18, 2
	v_and_b32_e32 v0, v0, v2
	s_delay_alu instid0(VALU_DEP_3) | instskip(SKIP_3) | instid1(VALU_DEP_1)
	v_xor_b32_e32 v1, vcc_lo, v1
	ds_load_b32 v35, v3 offset:64
	v_add_nc_u32_e32 v37, 64, v3
	; wave barrier
	v_and_b32_e32 v0, v0, v1
	v_mbcnt_lo_u32_b32 v36, v0, 0
	v_cmp_ne_u32_e64 s10, 0, v0
	s_delay_alu instid0(VALU_DEP_2) | instskip(NEXT) | instid1(VALU_DEP_2)
	v_cmp_eq_u32_e32 vcc_lo, 0, v36
	s_and_b32 s15, s10, vcc_lo
	s_delay_alu instid0(SALU_CYCLE_1)
	s_and_saveexec_b32 s10, s15
	s_cbranch_execz .LBB238_10
; %bb.9:                                ;   in Loop: Header=BB238_4 Depth=2
	s_waitcnt lgkmcnt(0)
	v_bcnt_u32_b32 v0, v0, v35
	ds_store_b32 v37, v0
.LBB238_10:                             ;   in Loop: Header=BB238_4 Depth=2
	s_or_b32 exec_lo, exec_lo, s10
	v_bfe_u32 v0, v27, s14, 1
	v_lshrrev_b32_e32 v1, s14, v27
	; wave barrier
	s_delay_alu instid0(VALU_DEP_2) | instskip(NEXT) | instid1(VALU_DEP_1)
	v_add_co_u32 v0, s10, v0, -1
	v_cndmask_b32_e64 v2, 0, 1, s10
	s_delay_alu instid0(VALU_DEP_3)
	v_lshlrev_b32_e32 v3, 30, v1
	v_lshlrev_b32_e32 v4, 29, v1
	;; [unrolled: 1-line block ×4, first 2 shown]
	v_cmp_ne_u32_e32 vcc_lo, 0, v2
	v_not_b32_e32 v2, v3
	v_cmp_gt_i32_e64 s10, 0, v3
	v_not_b32_e32 v3, v4
	v_lshlrev_b32_e32 v7, 26, v1
	v_xor_b32_e32 v0, vcc_lo, v0
	v_ashrrev_i32_e32 v2, 31, v2
	v_cmp_gt_i32_e32 vcc_lo, 0, v4
	v_not_b32_e32 v4, v5
	v_ashrrev_i32_e32 v3, 31, v3
	v_and_b32_e32 v0, exec_lo, v0
	v_xor_b32_e32 v2, s10, v2
	v_cmp_gt_i32_e64 s10, 0, v5
	v_not_b32_e32 v5, v6
	v_ashrrev_i32_e32 v4, 31, v4
	v_xor_b32_e32 v3, vcc_lo, v3
	v_and_b32_e32 v0, v0, v2
	v_cmp_gt_i32_e32 vcc_lo, 0, v6
	v_not_b32_e32 v2, v7
	v_ashrrev_i32_e32 v5, 31, v5
	v_xor_b32_e32 v4, s10, v4
	v_and_b32_e32 v0, v0, v3
	v_lshlrev_b32_e32 v3, 25, v1
	v_cmp_gt_i32_e64 s10, 0, v7
	v_ashrrev_i32_e32 v2, 31, v2
	v_xor_b32_e32 v5, vcc_lo, v5
	v_and_b32_e32 v0, v0, v4
	v_not_b32_e32 v6, v3
	v_lshlrev_b32_e32 v1, 24, v1
	v_bfe_u32 v4, v27, s14, 8
	v_xor_b32_e32 v2, s10, v2
	v_and_b32_e32 v0, v0, v5
	v_cmp_gt_i32_e32 vcc_lo, 0, v3
	v_ashrrev_i32_e32 v3, 31, v6
	v_not_b32_e32 v5, v1
	v_lshlrev_b32_e32 v4, 4, v4
	v_and_b32_e32 v0, v0, v2
	s_delay_alu instid0(VALU_DEP_4) | instskip(SKIP_3) | instid1(VALU_DEP_4)
	v_xor_b32_e32 v2, vcc_lo, v3
	v_cmp_gt_i32_e32 vcc_lo, 0, v1
	v_ashrrev_i32_e32 v1, 31, v5
	v_add_lshl_u32 v3, v4, v18, 2
	v_and_b32_e32 v0, v0, v2
	s_delay_alu instid0(VALU_DEP_3) | instskip(SKIP_3) | instid1(VALU_DEP_1)
	v_xor_b32_e32 v1, vcc_lo, v1
	ds_load_b32 v38, v3 offset:64
	v_add_nc_u32_e32 v40, 64, v3
	; wave barrier
	v_and_b32_e32 v0, v0, v1
	v_mbcnt_lo_u32_b32 v39, v0, 0
	v_cmp_ne_u32_e64 s10, 0, v0
	s_delay_alu instid0(VALU_DEP_2) | instskip(NEXT) | instid1(VALU_DEP_2)
	v_cmp_eq_u32_e32 vcc_lo, 0, v39
	s_and_b32 s15, s10, vcc_lo
	s_delay_alu instid0(SALU_CYCLE_1)
	s_and_saveexec_b32 s10, s15
	s_cbranch_execz .LBB238_12
; %bb.11:                               ;   in Loop: Header=BB238_4 Depth=2
	s_waitcnt lgkmcnt(0)
	v_bcnt_u32_b32 v0, v0, v38
	ds_store_b32 v40, v0
.LBB238_12:                             ;   in Loop: Header=BB238_4 Depth=2
	s_or_b32 exec_lo, exec_lo, s10
	v_bfe_u32 v0, v26, s14, 1
	v_lshrrev_b32_e32 v1, s14, v26
	; wave barrier
	s_delay_alu instid0(VALU_DEP_2) | instskip(NEXT) | instid1(VALU_DEP_1)
	v_add_co_u32 v0, s10, v0, -1
	v_cndmask_b32_e64 v2, 0, 1, s10
	s_delay_alu instid0(VALU_DEP_3)
	v_lshlrev_b32_e32 v3, 30, v1
	v_lshlrev_b32_e32 v4, 29, v1
	;; [unrolled: 1-line block ×4, first 2 shown]
	v_cmp_ne_u32_e32 vcc_lo, 0, v2
	v_not_b32_e32 v2, v3
	v_cmp_gt_i32_e64 s10, 0, v3
	v_not_b32_e32 v3, v4
	v_lshlrev_b32_e32 v7, 26, v1
	v_xor_b32_e32 v0, vcc_lo, v0
	v_ashrrev_i32_e32 v2, 31, v2
	v_cmp_gt_i32_e32 vcc_lo, 0, v4
	v_not_b32_e32 v4, v5
	v_ashrrev_i32_e32 v3, 31, v3
	v_and_b32_e32 v0, exec_lo, v0
	v_xor_b32_e32 v2, s10, v2
	v_cmp_gt_i32_e64 s10, 0, v5
	v_not_b32_e32 v5, v6
	v_ashrrev_i32_e32 v4, 31, v4
	v_xor_b32_e32 v3, vcc_lo, v3
	v_and_b32_e32 v0, v0, v2
	v_cmp_gt_i32_e32 vcc_lo, 0, v6
	v_not_b32_e32 v2, v7
	v_ashrrev_i32_e32 v5, 31, v5
	v_xor_b32_e32 v4, s10, v4
	v_and_b32_e32 v0, v0, v3
	v_lshlrev_b32_e32 v3, 25, v1
	v_cmp_gt_i32_e64 s10, 0, v7
	v_ashrrev_i32_e32 v2, 31, v2
	v_xor_b32_e32 v5, vcc_lo, v5
	v_and_b32_e32 v0, v0, v4
	v_not_b32_e32 v6, v3
	v_lshlrev_b32_e32 v1, 24, v1
	v_bfe_u32 v4, v26, s14, 8
	v_xor_b32_e32 v2, s10, v2
	v_and_b32_e32 v0, v0, v5
	v_cmp_gt_i32_e32 vcc_lo, 0, v3
	v_ashrrev_i32_e32 v3, 31, v6
	v_not_b32_e32 v5, v1
	v_lshlrev_b32_e32 v4, 4, v4
	v_and_b32_e32 v0, v0, v2
	s_delay_alu instid0(VALU_DEP_4) | instskip(SKIP_3) | instid1(VALU_DEP_4)
	v_xor_b32_e32 v2, vcc_lo, v3
	v_cmp_gt_i32_e32 vcc_lo, 0, v1
	v_ashrrev_i32_e32 v1, 31, v5
	v_add_lshl_u32 v3, v4, v18, 2
	v_and_b32_e32 v0, v0, v2
	s_delay_alu instid0(VALU_DEP_3) | instskip(SKIP_3) | instid1(VALU_DEP_1)
	v_xor_b32_e32 v1, vcc_lo, v1
	ds_load_b32 v41, v3 offset:64
	v_add_nc_u32_e32 v43, 64, v3
	; wave barrier
	v_and_b32_e32 v0, v0, v1
	v_mbcnt_lo_u32_b32 v42, v0, 0
	v_cmp_ne_u32_e64 s10, 0, v0
	s_delay_alu instid0(VALU_DEP_2) | instskip(NEXT) | instid1(VALU_DEP_2)
	v_cmp_eq_u32_e32 vcc_lo, 0, v42
	s_and_b32 s15, s10, vcc_lo
	s_delay_alu instid0(SALU_CYCLE_1)
	s_and_saveexec_b32 s10, s15
	s_cbranch_execz .LBB238_14
; %bb.13:                               ;   in Loop: Header=BB238_4 Depth=2
	s_waitcnt lgkmcnt(0)
	v_bcnt_u32_b32 v0, v0, v41
	ds_store_b32 v43, v0
.LBB238_14:                             ;   in Loop: Header=BB238_4 Depth=2
	s_or_b32 exec_lo, exec_lo, s10
	v_bfe_u32 v0, v25, s14, 1
	v_lshrrev_b32_e32 v1, s14, v25
	; wave barrier
	s_delay_alu instid0(VALU_DEP_2) | instskip(NEXT) | instid1(VALU_DEP_1)
	v_add_co_u32 v0, s10, v0, -1
	v_cndmask_b32_e64 v2, 0, 1, s10
	s_delay_alu instid0(VALU_DEP_3)
	v_lshlrev_b32_e32 v3, 30, v1
	v_lshlrev_b32_e32 v4, 29, v1
	;; [unrolled: 1-line block ×4, first 2 shown]
	v_cmp_ne_u32_e32 vcc_lo, 0, v2
	v_not_b32_e32 v2, v3
	v_cmp_gt_i32_e64 s10, 0, v3
	v_not_b32_e32 v3, v4
	v_lshlrev_b32_e32 v7, 26, v1
	v_xor_b32_e32 v0, vcc_lo, v0
	v_ashrrev_i32_e32 v2, 31, v2
	v_cmp_gt_i32_e32 vcc_lo, 0, v4
	v_not_b32_e32 v4, v5
	v_ashrrev_i32_e32 v3, 31, v3
	v_and_b32_e32 v0, exec_lo, v0
	v_xor_b32_e32 v2, s10, v2
	v_cmp_gt_i32_e64 s10, 0, v5
	v_not_b32_e32 v5, v6
	v_ashrrev_i32_e32 v4, 31, v4
	v_xor_b32_e32 v3, vcc_lo, v3
	v_and_b32_e32 v0, v0, v2
	v_cmp_gt_i32_e32 vcc_lo, 0, v6
	v_not_b32_e32 v2, v7
	v_ashrrev_i32_e32 v5, 31, v5
	v_xor_b32_e32 v4, s10, v4
	v_and_b32_e32 v0, v0, v3
	v_lshlrev_b32_e32 v3, 25, v1
	v_cmp_gt_i32_e64 s10, 0, v7
	v_ashrrev_i32_e32 v2, 31, v2
	v_xor_b32_e32 v5, vcc_lo, v5
	v_and_b32_e32 v0, v0, v4
	v_not_b32_e32 v6, v3
	v_lshlrev_b32_e32 v1, 24, v1
	v_bfe_u32 v4, v25, s14, 8
	v_xor_b32_e32 v2, s10, v2
	v_and_b32_e32 v0, v0, v5
	v_cmp_gt_i32_e32 vcc_lo, 0, v3
	v_ashrrev_i32_e32 v3, 31, v6
	v_not_b32_e32 v5, v1
	v_lshlrev_b32_e32 v4, 4, v4
	v_and_b32_e32 v0, v0, v2
	s_delay_alu instid0(VALU_DEP_4) | instskip(SKIP_3) | instid1(VALU_DEP_4)
	v_xor_b32_e32 v2, vcc_lo, v3
	v_cmp_gt_i32_e32 vcc_lo, 0, v1
	v_ashrrev_i32_e32 v1, 31, v5
	v_add_lshl_u32 v3, v4, v18, 2
	v_and_b32_e32 v0, v0, v2
	s_delay_alu instid0(VALU_DEP_3) | instskip(SKIP_3) | instid1(VALU_DEP_1)
	v_xor_b32_e32 v1, vcc_lo, v1
	ds_load_b32 v44, v3 offset:64
	v_add_nc_u32_e32 v46, 64, v3
	; wave barrier
	v_and_b32_e32 v0, v0, v1
	v_mbcnt_lo_u32_b32 v45, v0, 0
	v_cmp_ne_u32_e64 s10, 0, v0
	s_delay_alu instid0(VALU_DEP_2) | instskip(NEXT) | instid1(VALU_DEP_2)
	v_cmp_eq_u32_e32 vcc_lo, 0, v45
	s_and_b32 s15, s10, vcc_lo
	s_delay_alu instid0(SALU_CYCLE_1)
	s_and_saveexec_b32 s10, s15
	s_cbranch_execz .LBB238_16
; %bb.15:                               ;   in Loop: Header=BB238_4 Depth=2
	s_waitcnt lgkmcnt(0)
	v_bcnt_u32_b32 v0, v0, v44
	ds_store_b32 v46, v0
.LBB238_16:                             ;   in Loop: Header=BB238_4 Depth=2
	s_or_b32 exec_lo, exec_lo, s10
	v_bfe_u32 v0, v24, s14, 1
	v_lshrrev_b32_e32 v1, s14, v24
	; wave barrier
	s_delay_alu instid0(VALU_DEP_2) | instskip(NEXT) | instid1(VALU_DEP_1)
	v_add_co_u32 v0, s10, v0, -1
	v_cndmask_b32_e64 v2, 0, 1, s10
	s_delay_alu instid0(VALU_DEP_3)
	v_lshlrev_b32_e32 v3, 30, v1
	v_lshlrev_b32_e32 v4, 29, v1
	;; [unrolled: 1-line block ×4, first 2 shown]
	v_cmp_ne_u32_e32 vcc_lo, 0, v2
	v_not_b32_e32 v2, v3
	v_cmp_gt_i32_e64 s10, 0, v3
	v_not_b32_e32 v3, v4
	v_lshlrev_b32_e32 v7, 26, v1
	v_xor_b32_e32 v0, vcc_lo, v0
	v_ashrrev_i32_e32 v2, 31, v2
	v_cmp_gt_i32_e32 vcc_lo, 0, v4
	v_not_b32_e32 v4, v5
	v_ashrrev_i32_e32 v3, 31, v3
	v_and_b32_e32 v0, exec_lo, v0
	v_xor_b32_e32 v2, s10, v2
	v_cmp_gt_i32_e64 s10, 0, v5
	v_not_b32_e32 v5, v6
	v_ashrrev_i32_e32 v4, 31, v4
	v_xor_b32_e32 v3, vcc_lo, v3
	v_and_b32_e32 v0, v0, v2
	v_cmp_gt_i32_e32 vcc_lo, 0, v6
	v_not_b32_e32 v2, v7
	v_ashrrev_i32_e32 v5, 31, v5
	v_xor_b32_e32 v4, s10, v4
	v_and_b32_e32 v0, v0, v3
	v_lshlrev_b32_e32 v3, 25, v1
	v_cmp_gt_i32_e64 s10, 0, v7
	v_ashrrev_i32_e32 v2, 31, v2
	v_xor_b32_e32 v5, vcc_lo, v5
	v_and_b32_e32 v0, v0, v4
	v_not_b32_e32 v6, v3
	v_lshlrev_b32_e32 v1, 24, v1
	v_bfe_u32 v4, v24, s14, 8
	v_xor_b32_e32 v2, s10, v2
	v_and_b32_e32 v0, v0, v5
	v_cmp_gt_i32_e32 vcc_lo, 0, v3
	v_ashrrev_i32_e32 v3, 31, v6
	v_not_b32_e32 v5, v1
	v_lshlrev_b32_e32 v4, 4, v4
	v_and_b32_e32 v0, v0, v2
	s_delay_alu instid0(VALU_DEP_4) | instskip(SKIP_3) | instid1(VALU_DEP_4)
	v_xor_b32_e32 v2, vcc_lo, v3
	v_cmp_gt_i32_e32 vcc_lo, 0, v1
	v_ashrrev_i32_e32 v1, 31, v5
	v_add_lshl_u32 v3, v4, v18, 2
	v_and_b32_e32 v0, v0, v2
	s_delay_alu instid0(VALU_DEP_3) | instskip(SKIP_3) | instid1(VALU_DEP_1)
	v_xor_b32_e32 v1, vcc_lo, v1
	ds_load_b32 v47, v3 offset:64
	v_add_nc_u32_e32 v49, 64, v3
	; wave barrier
	v_and_b32_e32 v0, v0, v1
	v_mbcnt_lo_u32_b32 v48, v0, 0
	v_cmp_ne_u32_e64 s10, 0, v0
	s_delay_alu instid0(VALU_DEP_2) | instskip(NEXT) | instid1(VALU_DEP_2)
	v_cmp_eq_u32_e32 vcc_lo, 0, v48
	s_and_b32 s15, s10, vcc_lo
	s_delay_alu instid0(SALU_CYCLE_1)
	s_and_saveexec_b32 s10, s15
	s_cbranch_execz .LBB238_18
; %bb.17:                               ;   in Loop: Header=BB238_4 Depth=2
	s_waitcnt lgkmcnt(0)
	v_bcnt_u32_b32 v0, v0, v47
	ds_store_b32 v49, v0
.LBB238_18:                             ;   in Loop: Header=BB238_4 Depth=2
	s_or_b32 exec_lo, exec_lo, s10
	v_bfe_u32 v0, v23, s14, 1
	v_lshrrev_b32_e32 v1, s14, v23
	; wave barrier
	s_delay_alu instid0(VALU_DEP_2) | instskip(NEXT) | instid1(VALU_DEP_1)
	v_add_co_u32 v0, s10, v0, -1
	v_cndmask_b32_e64 v2, 0, 1, s10
	s_delay_alu instid0(VALU_DEP_3)
	v_lshlrev_b32_e32 v3, 30, v1
	v_lshlrev_b32_e32 v4, 29, v1
	;; [unrolled: 1-line block ×4, first 2 shown]
	v_cmp_ne_u32_e32 vcc_lo, 0, v2
	v_not_b32_e32 v2, v3
	v_cmp_gt_i32_e64 s10, 0, v3
	v_not_b32_e32 v3, v4
	v_lshlrev_b32_e32 v7, 26, v1
	v_xor_b32_e32 v0, vcc_lo, v0
	v_ashrrev_i32_e32 v2, 31, v2
	v_cmp_gt_i32_e32 vcc_lo, 0, v4
	v_not_b32_e32 v4, v5
	v_ashrrev_i32_e32 v3, 31, v3
	v_and_b32_e32 v0, exec_lo, v0
	v_xor_b32_e32 v2, s10, v2
	v_cmp_gt_i32_e64 s10, 0, v5
	v_not_b32_e32 v5, v6
	v_ashrrev_i32_e32 v4, 31, v4
	v_xor_b32_e32 v3, vcc_lo, v3
	v_and_b32_e32 v0, v0, v2
	v_cmp_gt_i32_e32 vcc_lo, 0, v6
	v_not_b32_e32 v2, v7
	v_ashrrev_i32_e32 v5, 31, v5
	v_xor_b32_e32 v4, s10, v4
	v_and_b32_e32 v0, v0, v3
	v_lshlrev_b32_e32 v3, 25, v1
	v_cmp_gt_i32_e64 s10, 0, v7
	v_ashrrev_i32_e32 v2, 31, v2
	v_xor_b32_e32 v5, vcc_lo, v5
	v_and_b32_e32 v0, v0, v4
	v_not_b32_e32 v6, v3
	v_lshlrev_b32_e32 v1, 24, v1
	v_bfe_u32 v4, v23, s14, 8
	v_xor_b32_e32 v2, s10, v2
	v_and_b32_e32 v0, v0, v5
	v_cmp_gt_i32_e32 vcc_lo, 0, v3
	v_ashrrev_i32_e32 v3, 31, v6
	v_not_b32_e32 v5, v1
	v_lshlrev_b32_e32 v4, 4, v4
	v_and_b32_e32 v0, v0, v2
	s_delay_alu instid0(VALU_DEP_4) | instskip(SKIP_3) | instid1(VALU_DEP_4)
	v_xor_b32_e32 v2, vcc_lo, v3
	v_cmp_gt_i32_e32 vcc_lo, 0, v1
	v_ashrrev_i32_e32 v1, 31, v5
	v_add_lshl_u32 v3, v4, v18, 2
	v_and_b32_e32 v0, v0, v2
	s_delay_alu instid0(VALU_DEP_3) | instskip(SKIP_3) | instid1(VALU_DEP_1)
	v_xor_b32_e32 v1, vcc_lo, v1
	ds_load_b32 v50, v3 offset:64
	v_add_nc_u32_e32 v52, 64, v3
	; wave barrier
	v_and_b32_e32 v0, v0, v1
	v_mbcnt_lo_u32_b32 v51, v0, 0
	v_cmp_ne_u32_e64 s10, 0, v0
	s_delay_alu instid0(VALU_DEP_2) | instskip(NEXT) | instid1(VALU_DEP_2)
	v_cmp_eq_u32_e32 vcc_lo, 0, v51
	s_and_b32 s15, s10, vcc_lo
	s_delay_alu instid0(SALU_CYCLE_1)
	s_and_saveexec_b32 s10, s15
	s_cbranch_execz .LBB238_20
; %bb.19:                               ;   in Loop: Header=BB238_4 Depth=2
	s_waitcnt lgkmcnt(0)
	v_bcnt_u32_b32 v0, v0, v50
	ds_store_b32 v52, v0
.LBB238_20:                             ;   in Loop: Header=BB238_4 Depth=2
	s_or_b32 exec_lo, exec_lo, s10
	; wave barrier
	s_waitcnt lgkmcnt(0)
	s_barrier
	buffer_gl0_inv
	ds_load_2addr_b64 v[4:7], v14 offset0:8 offset1:9
	ds_load_2addr_b64 v[0:3], v17 offset0:2 offset1:3
	s_waitcnt lgkmcnt(1)
	v_add_nc_u32_e32 v53, v5, v4
	s_delay_alu instid0(VALU_DEP_1) | instskip(SKIP_1) | instid1(VALU_DEP_1)
	v_add3_u32 v53, v53, v6, v7
	s_waitcnt lgkmcnt(0)
	v_add3_u32 v53, v53, v0, v1
	s_delay_alu instid0(VALU_DEP_1) | instskip(NEXT) | instid1(VALU_DEP_1)
	v_add3_u32 v3, v53, v2, v3
	v_mov_b32_dpp v53, v3 row_shr:1 row_mask:0xf bank_mask:0xf
	s_delay_alu instid0(VALU_DEP_1) | instskip(NEXT) | instid1(VALU_DEP_1)
	v_cndmask_b32_e64 v53, v53, 0, s0
	v_add_nc_u32_e32 v3, v53, v3
	s_delay_alu instid0(VALU_DEP_1) | instskip(NEXT) | instid1(VALU_DEP_1)
	v_mov_b32_dpp v53, v3 row_shr:2 row_mask:0xf bank_mask:0xf
	v_cndmask_b32_e64 v53, 0, v53, s1
	s_delay_alu instid0(VALU_DEP_1) | instskip(NEXT) | instid1(VALU_DEP_1)
	v_add_nc_u32_e32 v3, v3, v53
	v_mov_b32_dpp v53, v3 row_shr:4 row_mask:0xf bank_mask:0xf
	s_delay_alu instid0(VALU_DEP_1) | instskip(NEXT) | instid1(VALU_DEP_1)
	v_cndmask_b32_e64 v53, 0, v53, s2
	v_add_nc_u32_e32 v3, v3, v53
	s_delay_alu instid0(VALU_DEP_1) | instskip(NEXT) | instid1(VALU_DEP_1)
	v_mov_b32_dpp v53, v3 row_shr:8 row_mask:0xf bank_mask:0xf
	v_cndmask_b32_e64 v53, 0, v53, s3
	s_delay_alu instid0(VALU_DEP_1) | instskip(SKIP_3) | instid1(VALU_DEP_1)
	v_add_nc_u32_e32 v3, v3, v53
	ds_swizzle_b32 v53, v3 offset:swizzle(BROADCAST,32,15)
	s_waitcnt lgkmcnt(0)
	v_cndmask_b32_e64 v53, v53, 0, s4
	v_add_nc_u32_e32 v3, v3, v53
	s_and_saveexec_b32 s10, s5
	s_cbranch_execz .LBB238_22
; %bb.21:                               ;   in Loop: Header=BB238_4 Depth=2
	ds_store_b32 v19, v3
.LBB238_22:                             ;   in Loop: Header=BB238_4 Depth=2
	s_or_b32 exec_lo, exec_lo, s10
	s_waitcnt lgkmcnt(0)
	s_barrier
	buffer_gl0_inv
	s_and_saveexec_b32 s10, s6
	s_cbranch_execz .LBB238_24
; %bb.23:                               ;   in Loop: Header=BB238_4 Depth=2
	v_add_nc_u32_e32 v53, v14, v21
	ds_load_b32 v54, v53
	s_waitcnt lgkmcnt(0)
	v_mov_b32_dpp v55, v54 row_shr:1 row_mask:0xf bank_mask:0xf
	s_delay_alu instid0(VALU_DEP_1) | instskip(NEXT) | instid1(VALU_DEP_1)
	v_cndmask_b32_e64 v55, v55, 0, s0
	v_add_nc_u32_e32 v54, v55, v54
	s_delay_alu instid0(VALU_DEP_1) | instskip(NEXT) | instid1(VALU_DEP_1)
	v_mov_b32_dpp v55, v54 row_shr:2 row_mask:0xf bank_mask:0xf
	v_cndmask_b32_e64 v55, 0, v55, s1
	s_delay_alu instid0(VALU_DEP_1) | instskip(NEXT) | instid1(VALU_DEP_1)
	v_add_nc_u32_e32 v54, v54, v55
	v_mov_b32_dpp v55, v54 row_shr:4 row_mask:0xf bank_mask:0xf
	s_delay_alu instid0(VALU_DEP_1) | instskip(NEXT) | instid1(VALU_DEP_1)
	v_cndmask_b32_e64 v55, 0, v55, s2
	v_add_nc_u32_e32 v54, v54, v55
	s_delay_alu instid0(VALU_DEP_1) | instskip(NEXT) | instid1(VALU_DEP_1)
	v_mov_b32_dpp v55, v54 row_shr:8 row_mask:0xf bank_mask:0xf
	v_cndmask_b32_e64 v55, 0, v55, s3
	s_delay_alu instid0(VALU_DEP_1)
	v_add_nc_u32_e32 v54, v54, v55
	ds_store_b32 v53, v54
.LBB238_24:                             ;   in Loop: Header=BB238_4 Depth=2
	s_or_b32 exec_lo, exec_lo, s10
	v_mov_b32_e32 v53, 0
	s_waitcnt lgkmcnt(0)
	s_barrier
	buffer_gl0_inv
	s_and_saveexec_b32 s10, s7
	s_cbranch_execz .LBB238_26
; %bb.25:                               ;   in Loop: Header=BB238_4 Depth=2
	ds_load_b32 v53, v22
.LBB238_26:                             ;   in Loop: Header=BB238_4 Depth=2
	s_or_b32 exec_lo, exec_lo, s10
	s_waitcnt lgkmcnt(0)
	v_add_nc_u32_e32 v3, v53, v3
	s_cmp_gt_u32 s14, 23
	ds_bpermute_b32 v3, v20, v3
	s_waitcnt lgkmcnt(0)
	v_cndmask_b32_e64 v3, v3, v53, s8
	s_delay_alu instid0(VALU_DEP_1) | instskip(NEXT) | instid1(VALU_DEP_1)
	v_cndmask_b32_e64 v3, v3, 0, s9
	v_add_nc_u32_e32 v4, v3, v4
	s_delay_alu instid0(VALU_DEP_1) | instskip(NEXT) | instid1(VALU_DEP_1)
	v_add_nc_u32_e32 v5, v4, v5
	v_add_nc_u32_e32 v6, v5, v6
	s_delay_alu instid0(VALU_DEP_1) | instskip(NEXT) | instid1(VALU_DEP_1)
	v_add_nc_u32_e32 v53, v6, v7
	;; [unrolled: 3-line block ×3, first 2 shown]
	v_add_nc_u32_e32 v1, v0, v2
	ds_store_2addr_b64 v14, v[3:4], v[5:6] offset0:8 offset1:9
	ds_store_2addr_b64 v17, v[53:54], v[0:1] offset0:2 offset1:3
	s_waitcnt lgkmcnt(0)
	s_barrier
	buffer_gl0_inv
	ds_load_b32 v0, v31
	ds_load_b32 v1, v34
	;; [unrolled: 1-line block ×8, first 2 shown]
	s_waitcnt lgkmcnt(7)
	v_add_nc_u32_e32 v40, v0, v30
	s_waitcnt lgkmcnt(6)
	v_add3_u32 v37, v33, v32, v1
	s_waitcnt lgkmcnt(5)
	v_add3_u32 v35, v36, v35, v2
	;; [unrolled: 2-line block ×7, first 2 shown]
	s_cbranch_scc0 .LBB238_3
; %bb.27:                               ;   in Loop: Header=BB238_2 Depth=1
                                        ; implicit-def: $vgpr7
                                        ; implicit-def: $vgpr5
                                        ; implicit-def: $vgpr3
                                        ; implicit-def: $vgpr1
                                        ; implicit-def: $sgpr14
	s_branch .LBB238_1
.LBB238_28:
	v_lshlrev_b32_e32 v0, 2, v9
	s_add_u32 s0, s18, s12
	s_addc_u32 s1, s19, s13
	s_delay_alu instid0(VALU_DEP_1) | instskip(NEXT) | instid1(VALU_DEP_1)
	v_add_co_u32 v15, s2, s0, v0
	v_add_co_ci_u32_e64 v16, null, s1, 0, s2
	s_delay_alu instid0(VALU_DEP_2) | instskip(NEXT) | instid1(VALU_DEP_2)
	v_add_co_u32 v9, vcc_lo, 0x1000, v15
	v_add_co_ci_u32_e32 v10, vcc_lo, 0, v16, vcc_lo
	v_add_co_u32 v11, vcc_lo, v15, 0x2000
	v_add_co_ci_u32_e32 v12, vcc_lo, 0, v16, vcc_lo
	;; [unrolled: 2-line block ×4, first 2 shown]
	s_clause 0x7
	global_store_b32 v[11:12], v5, off
	global_store_b32 v0, v1, s[0:1]
	global_store_b32 v0, v2, s[0:1] offset:2048
	global_store_b32 v[9:10], v4, off offset:2048
	global_store_b32 v[13:14], v6, off offset:2048
	global_store_b32 v[15:16], v7, off
	global_store_b32 v[11:12], v3, off offset:-4096
	global_store_b32 v[15:16], v8, off offset:2048
	s_nop 0
	s_sendmsg sendmsg(MSG_DEALLOC_VGPRS)
	s_endpgm
	.section	.rodata,"a",@progbits
	.p2align	6, 0x0
	.amdhsa_kernel _Z16sort_keys_kernelI22helper_blocked_stripediLj512ELj8ELj10EEvPKT0_PS1_
		.amdhsa_group_segment_fixed_size 16448
		.amdhsa_private_segment_fixed_size 0
		.amdhsa_kernarg_size 272
		.amdhsa_user_sgpr_count 15
		.amdhsa_user_sgpr_dispatch_ptr 0
		.amdhsa_user_sgpr_queue_ptr 0
		.amdhsa_user_sgpr_kernarg_segment_ptr 1
		.amdhsa_user_sgpr_dispatch_id 0
		.amdhsa_user_sgpr_private_segment_size 0
		.amdhsa_wavefront_size32 1
		.amdhsa_uses_dynamic_stack 0
		.amdhsa_enable_private_segment 0
		.amdhsa_system_sgpr_workgroup_id_x 1
		.amdhsa_system_sgpr_workgroup_id_y 0
		.amdhsa_system_sgpr_workgroup_id_z 0
		.amdhsa_system_sgpr_workgroup_info 0
		.amdhsa_system_vgpr_workitem_id 2
		.amdhsa_next_free_vgpr 56
		.amdhsa_next_free_sgpr 20
		.amdhsa_reserve_vcc 1
		.amdhsa_float_round_mode_32 0
		.amdhsa_float_round_mode_16_64 0
		.amdhsa_float_denorm_mode_32 3
		.amdhsa_float_denorm_mode_16_64 3
		.amdhsa_dx10_clamp 1
		.amdhsa_ieee_mode 1
		.amdhsa_fp16_overflow 0
		.amdhsa_workgroup_processor_mode 1
		.amdhsa_memory_ordered 1
		.amdhsa_forward_progress 0
		.amdhsa_shared_vgpr_count 0
		.amdhsa_exception_fp_ieee_invalid_op 0
		.amdhsa_exception_fp_denorm_src 0
		.amdhsa_exception_fp_ieee_div_zero 0
		.amdhsa_exception_fp_ieee_overflow 0
		.amdhsa_exception_fp_ieee_underflow 0
		.amdhsa_exception_fp_ieee_inexact 0
		.amdhsa_exception_int_div_zero 0
	.end_amdhsa_kernel
	.section	.text._Z16sort_keys_kernelI22helper_blocked_stripediLj512ELj8ELj10EEvPKT0_PS1_,"axG",@progbits,_Z16sort_keys_kernelI22helper_blocked_stripediLj512ELj8ELj10EEvPKT0_PS1_,comdat
.Lfunc_end238:
	.size	_Z16sort_keys_kernelI22helper_blocked_stripediLj512ELj8ELj10EEvPKT0_PS1_, .Lfunc_end238-_Z16sort_keys_kernelI22helper_blocked_stripediLj512ELj8ELj10EEvPKT0_PS1_
                                        ; -- End function
	.section	.AMDGPU.csdata,"",@progbits
; Kernel info:
; codeLenInByte = 4536
; NumSgprs: 22
; NumVgprs: 56
; ScratchSize: 0
; MemoryBound: 0
; FloatMode: 240
; IeeeMode: 1
; LDSByteSize: 16448 bytes/workgroup (compile time only)
; SGPRBlocks: 2
; VGPRBlocks: 6
; NumSGPRsForWavesPerEU: 22
; NumVGPRsForWavesPerEU: 56
; Occupancy: 16
; WaveLimiterHint : 1
; COMPUTE_PGM_RSRC2:SCRATCH_EN: 0
; COMPUTE_PGM_RSRC2:USER_SGPR: 15
; COMPUTE_PGM_RSRC2:TRAP_HANDLER: 0
; COMPUTE_PGM_RSRC2:TGID_X_EN: 1
; COMPUTE_PGM_RSRC2:TGID_Y_EN: 0
; COMPUTE_PGM_RSRC2:TGID_Z_EN: 0
; COMPUTE_PGM_RSRC2:TIDIG_COMP_CNT: 2
	.section	.text._Z17sort_pairs_kernelI22helper_blocked_stripediLj512ELj8ELj10EEvPKT0_PS1_,"axG",@progbits,_Z17sort_pairs_kernelI22helper_blocked_stripediLj512ELj8ELj10EEvPKT0_PS1_,comdat
	.protected	_Z17sort_pairs_kernelI22helper_blocked_stripediLj512ELj8ELj10EEvPKT0_PS1_ ; -- Begin function _Z17sort_pairs_kernelI22helper_blocked_stripediLj512ELj8ELj10EEvPKT0_PS1_
	.globl	_Z17sort_pairs_kernelI22helper_blocked_stripediLj512ELj8ELj10EEvPKT0_PS1_
	.p2align	8
	.type	_Z17sort_pairs_kernelI22helper_blocked_stripediLj512ELj8ELj10EEvPKT0_PS1_,@function
_Z17sort_pairs_kernelI22helper_blocked_stripediLj512ELj8ELj10EEvPKT0_PS1_: ; @_Z17sort_pairs_kernelI22helper_blocked_stripediLj512ELj8ELj10EEvPKT0_PS1_
; %bb.0:
	s_clause 0x1
	s_load_b128 s[16:19], s[0:1], 0x0
	s_load_b32 s9, s[0:1], 0x1c
	s_mov_b32 s11, 0
	s_lshl_b32 s10, s15, 12
	v_mbcnt_lo_u32_b32 v12, -1, 0
	s_lshl_b64 s[12:13], s[10:11], 2
	s_mov_b32 s10, s11
	s_delay_alu instid0(SALU_CYCLE_1) | instskip(SKIP_3) | instid1(VALU_DEP_4)
	v_dual_mov_b32 v10, s10 :: v_dual_and_b32 v9, 0x3ff, v0
	v_mov_b32_e32 v11, s11
	v_bfe_u32 v13, v0, 10, 10
	v_bfe_u32 v0, v0, 20, 10
	v_lshlrev_b32_e32 v26, 5, v9
	v_add_nc_u32_e32 v16, -1, v12
	s_mov_b32 s14, s11
	s_mov_b32 s15, s11
	v_and_b32_e32 v14, 15, v12
	v_and_b32_e32 v18, 0x1e0, v9
	v_cmp_gt_i32_e32 vcc_lo, 0, v16
	v_lshlrev_b32_e32 v17, 3, v9
	s_waitcnt lgkmcnt(0)
	s_add_u32 s0, s16, s12
	s_addc_u32 s1, s17, s13
	s_lshr_b32 s10, s9, 16
	s_clause 0x1
	global_load_b128 v[5:8], v26, s[0:1]
	global_load_b128 v[1:4], v26, s[0:1] offset:16
	v_mad_u32_u24 v0, v0, s10, v13
	s_and_b32 s9, s9, 0xffff
	v_and_b32_e32 v15, 16, v12
	v_cmp_eq_u32_e64 s0, 0, v12
	v_cmp_eq_u32_e64 s1, 0, v14
	v_cmp_lt_u32_e64 s2, 1, v14
	v_cmp_lt_u32_e64 s3, 3, v14
	;; [unrolled: 1-line block ×3, first 2 shown]
	v_cndmask_b32_e32 v14, v16, v12, vcc_lo
	v_or_b32_e32 v16, v12, v18
	v_and_or_b32 v17, 0xf00, v17, v12
	v_mad_u64_u32 v[12:13], null, v0, s9, v[9:10]
	v_or_b32_e32 v0, 31, v18
	v_cmp_gt_u32_e64 s6, 16, v9
	v_cmp_lt_u32_e64 s7, 31, v9
	v_cmp_eq_u32_e64 s8, 0, v9
	v_mul_i32_i24_e32 v27, 0xffffffe4, v9
	v_add_nc_u32_e32 v28, 64, v26
	v_lshrrev_b32_e32 v34, 5, v12
	v_mov_b32_e32 v12, s14
	v_cmp_eq_u32_e64 s5, 0, v15
	v_lshrrev_b32_e32 v15, 3, v9
	v_lshlrev_b32_e32 v30, 2, v14
	v_lshlrev_b32_e32 v31, 5, v16
	;; [unrolled: 1-line block ×3, first 2 shown]
	v_cmp_eq_u32_e64 s9, v0, v9
	v_and_b32_e32 v29, 60, v15
	v_mov_b32_e32 v13, s15
	s_delay_alu instid0(VALU_DEP_2)
	v_add_nc_u32_e32 v33, -4, v29
	s_waitcnt vmcnt(1)
	v_add_nc_u32_e32 v22, 1, v5
	v_add_nc_u32_e32 v23, 1, v6
	;; [unrolled: 1-line block ×4, first 2 shown]
	s_waitcnt vmcnt(0)
	v_add_nc_u32_e32 v16, 1, v1
	v_add_nc_u32_e32 v17, 1, v2
	;; [unrolled: 1-line block ×4, first 2 shown]
	s_branch .LBB239_2
.LBB239_1:                              ;   in Loop: Header=BB239_2 Depth=1
	v_lshlrev_b32_e32 v4, 2, v58
	v_lshlrev_b32_e32 v6, 2, v54
	;; [unrolled: 1-line block ×4, first 2 shown]
	s_barrier
	buffer_gl0_inv
	ds_store_b32 v4, v23
	ds_store_b32 v5, v45
	;; [unrolled: 1-line block ×3, first 2 shown]
	v_lshlrev_b32_e32 v14, 2, v49
	ds_store_b32 v7, v43
	v_lshlrev_b32_e32 v17, 2, v46
	v_add_nc_u32_e32 v43, v26, v27
	v_lshlrev_b32_e32 v15, 2, v48
	v_lshlrev_b32_e32 v16, 2, v47
	ds_store_b32 v14, v25
	ds_store_b32 v15, v24
	;; [unrolled: 1-line block ×4, first 2 shown]
	s_waitcnt lgkmcnt(0)
	s_barrier
	buffer_gl0_inv
	ds_load_2addr_stride64_b32 v[0:1], v43 offset1:8
	ds_load_2addr_stride64_b32 v[2:3], v43 offset0:16 offset1:24
	ds_load_2addr_stride64_b32 v[18:19], v43 offset0:32 offset1:40
	;; [unrolled: 1-line block ×3, first 2 shown]
	s_waitcnt lgkmcnt(0)
	s_barrier
	buffer_gl0_inv
	ds_store_b32 v4, v42
	ds_store_b32 v5, v41
	;; [unrolled: 1-line block ×8, first 2 shown]
	s_waitcnt lgkmcnt(0)
	s_barrier
	buffer_gl0_inv
	ds_load_2addr_stride64_b32 v[22:23], v43 offset1:8
	ds_load_2addr_stride64_b32 v[24:25], v43 offset0:16 offset1:24
	ds_load_2addr_stride64_b32 v[16:17], v43 offset0:32 offset1:40
	;; [unrolled: 1-line block ×3, first 2 shown]
	s_add_i32 s11, s11, 1
	s_delay_alu instid0(SALU_CYCLE_1)
	s_cmp_eq_u32 s11, 10
	v_xor_b32_e32 v5, 0x80000000, v0
	v_xor_b32_e32 v6, 0x80000000, v1
	;; [unrolled: 1-line block ×8, first 2 shown]
	s_cbranch_scc1 .LBB239_28
.LBB239_2:                              ; =>This Loop Header: Depth=1
                                        ;     Child Loop BB239_4 Depth 2
	v_xor_b32_e32 v5, 0x80000000, v5
	v_xor_b32_e32 v6, 0x80000000, v6
	;; [unrolled: 1-line block ×8, first 2 shown]
	ds_store_2addr_b64 v31, v[5:6], v[7:8] offset1:1
	ds_store_2addr_b64 v31, v[0:1], v[2:3] offset0:2 offset1:3
	; wave barrier
	ds_load_2addr_b32 v[0:1], v32 offset1:32
	ds_load_2addr_b32 v[2:3], v32 offset0:64 offset1:96
	ds_load_2addr_b32 v[18:19], v32 offset0:128 offset1:160
	ds_load_2addr_b32 v[20:21], v32 offset0:192 offset1:224
	; wave barrier
	s_waitcnt lgkmcnt(8)
	ds_store_2addr_b64 v31, v[22:23], v[24:25] offset1:1
	s_waitcnt lgkmcnt(7)
	ds_store_2addr_b64 v31, v[16:17], v[14:15] offset0:2 offset1:3
	; wave barrier
	ds_load_2addr_b32 v[4:5], v32 offset1:32
	ds_load_2addr_b32 v[6:7], v32 offset0:64 offset1:96
	ds_load_2addr_b32 v[14:15], v32 offset0:128 offset1:160
	;; [unrolled: 1-line block ×3, first 2 shown]
	s_mov_b32 s14, 0
	s_waitcnt lgkmcnt(0)
	s_barrier
	s_branch .LBB239_4
.LBB239_3:                              ;   in Loop: Header=BB239_4 Depth=2
	v_lshlrev_b32_e32 v4, 2, v58
	v_lshlrev_b32_e32 v7, 2, v51
	;; [unrolled: 1-line block ×8, first 2 shown]
	s_barrier
	buffer_gl0_inv
	ds_store_b32 v4, v23
	ds_store_b32 v5, v45
	;; [unrolled: 1-line block ×8, first 2 shown]
	s_waitcnt lgkmcnt(0)
	s_barrier
	buffer_gl0_inv
	ds_load_2addr_b32 v[0:1], v32 offset1:32
	ds_load_2addr_b32 v[2:3], v32 offset0:64 offset1:96
	ds_load_2addr_b32 v[18:19], v32 offset0:128 offset1:160
	;; [unrolled: 1-line block ×3, first 2 shown]
	s_waitcnt lgkmcnt(0)
	s_barrier
	buffer_gl0_inv
	ds_store_b32 v4, v42
	ds_store_b32 v5, v41
	;; [unrolled: 1-line block ×8, first 2 shown]
	s_waitcnt lgkmcnt(0)
	s_barrier
	buffer_gl0_inv
	ds_load_2addr_b32 v[4:5], v32 offset1:32
	ds_load_2addr_b32 v[6:7], v32 offset0:64 offset1:96
	ds_load_2addr_b32 v[14:15], v32 offset0:128 offset1:160
	;; [unrolled: 1-line block ×3, first 2 shown]
	s_add_i32 s14, s14, 8
	s_waitcnt lgkmcnt(0)
	s_barrier
	s_cbranch_execz .LBB239_1
.LBB239_4:                              ;   Parent Loop BB239_2 Depth=1
                                        ; =>  This Inner Loop Header: Depth=2
	v_dual_mov_b32 v23, v0 :: v_dual_mov_b32 v8, v21
	v_mov_b32_e32 v24, v19
	v_dual_mov_b32 v22, v20 :: v_dual_mov_b32 v25, v18
	s_delay_alu instid0(VALU_DEP_3)
	v_bfe_u32 v0, v23, s14, 1
	v_lshrrev_b32_e32 v19, s14, v23
	v_mov_b32_e32 v40, v6
	v_mov_b32_e32 v42, v4
	buffer_gl0_inv
	v_add_co_u32 v0, s10, v0, -1
	s_delay_alu instid0(VALU_DEP_1) | instskip(SKIP_3) | instid1(VALU_DEP_4)
	v_cndmask_b32_e64 v18, 0, 1, s10
	v_dual_mov_b32 v43, v3 :: v_dual_lshlrev_b32 v20, 30, v19
	v_lshlrev_b32_e32 v21, 29, v19
	v_dual_mov_b32 v44, v2 :: v_dual_lshlrev_b32 v35, 28, v19
	v_cmp_ne_u32_e32 vcc_lo, 0, v18
	s_delay_alu instid0(VALU_DEP_4)
	v_not_b32_e32 v18, v20
	v_cmp_gt_i32_e64 s10, 0, v20
	v_not_b32_e32 v20, v21
	v_dual_mov_b32 v45, v1 :: v_dual_lshlrev_b32 v36, 27, v19
	v_xor_b32_e32 v0, vcc_lo, v0
	v_ashrrev_i32_e32 v18, 31, v18
	v_cmp_gt_i32_e32 vcc_lo, 0, v21
	v_not_b32_e32 v21, v35
	v_ashrrev_i32_e32 v20, 31, v20
	v_and_b32_e32 v0, exec_lo, v0
	v_xor_b32_e32 v18, s10, v18
	v_lshlrev_b32_e32 v37, 26, v19
	v_cmp_gt_i32_e64 s10, 0, v35
	v_not_b32_e32 v35, v36
	v_ashrrev_i32_e32 v21, 31, v21
	v_xor_b32_e32 v20, vcc_lo, v20
	v_and_b32_e32 v0, v0, v18
	v_cmp_gt_i32_e32 vcc_lo, 0, v36
	v_ashrrev_i32_e32 v35, 31, v35
	v_xor_b32_e32 v21, s10, v21
	v_mov_b32_e32 v36, v16
	v_not_b32_e32 v18, v37
	v_cmp_gt_i32_e64 s10, 0, v37
	v_dual_mov_b32 v37, v15 :: v_dual_and_b32 v0, v0, v20
	v_dual_mov_b32 v39, v7 :: v_dual_lshlrev_b32 v20, 25, v19
	v_mov_b32_e32 v41, v5
	v_ashrrev_i32_e32 v18, 31, v18
	v_xor_b32_e32 v35, vcc_lo, v35
	v_and_b32_e32 v0, v0, v21
	v_not_b32_e32 v21, v20
	v_dual_mov_b32 v38, v14 :: v_dual_lshlrev_b32 v19, 24, v19
	v_cmp_gt_i32_e32 vcc_lo, 0, v20
	v_xor_b32_e32 v18, s10, v18
	v_and_b32_e32 v0, v0, v35
	v_ashrrev_i32_e32 v20, 31, v21
	v_not_b32_e32 v3, v19
	v_mov_b32_e32 v35, v17
	ds_store_2addr_b64 v26, v[10:11], v[12:13] offset0:8 offset1:9
	ds_store_2addr_b64 v28, v[10:11], v[12:13] offset0:2 offset1:3
	v_and_b32_e32 v0, v0, v18
	v_xor_b32_e32 v2, vcc_lo, v20
	v_cmp_gt_i32_e32 vcc_lo, 0, v19
	v_ashrrev_i32_e32 v3, 31, v3
	s_waitcnt lgkmcnt(0)
	s_barrier
	v_and_b32_e32 v0, v0, v2
	buffer_gl0_inv
	v_xor_b32_e32 v1, vcc_lo, v3
	; wave barrier
	s_delay_alu instid0(VALU_DEP_1) | instskip(SKIP_1) | instid1(VALU_DEP_2)
	v_and_b32_e32 v0, v0, v1
	v_bfe_u32 v1, v23, s14, 8
	v_mbcnt_lo_u32_b32 v14, v0, 0
	s_delay_alu instid0(VALU_DEP_2) | instskip(SKIP_1) | instid1(VALU_DEP_3)
	v_lshl_add_u32 v1, v1, 4, v34
	v_cmp_ne_u32_e64 s10, 0, v0
	v_cmp_eq_u32_e32 vcc_lo, 0, v14
	s_delay_alu instid0(VALU_DEP_3) | instskip(NEXT) | instid1(VALU_DEP_3)
	v_lshl_add_u32 v15, v1, 2, 64
	s_and_b32 s15, s10, vcc_lo
	s_delay_alu instid0(SALU_CYCLE_1)
	s_and_saveexec_b32 s10, s15
	s_cbranch_execz .LBB239_6
; %bb.5:                                ;   in Loop: Header=BB239_4 Depth=2
	v_bcnt_u32_b32 v0, v0, 0
	ds_store_b32 v15, v0
.LBB239_6:                              ;   in Loop: Header=BB239_4 Depth=2
	s_or_b32 exec_lo, exec_lo, s10
	v_bfe_u32 v0, v45, s14, 1
	v_lshrrev_b32_e32 v1, s14, v45
	; wave barrier
	s_delay_alu instid0(VALU_DEP_2) | instskip(NEXT) | instid1(VALU_DEP_1)
	v_add_co_u32 v0, s10, v0, -1
	v_cndmask_b32_e64 v2, 0, 1, s10
	s_delay_alu instid0(VALU_DEP_3)
	v_lshlrev_b32_e32 v3, 30, v1
	v_lshlrev_b32_e32 v4, 29, v1
	;; [unrolled: 1-line block ×4, first 2 shown]
	v_cmp_ne_u32_e32 vcc_lo, 0, v2
	v_not_b32_e32 v2, v3
	v_cmp_gt_i32_e64 s10, 0, v3
	v_not_b32_e32 v3, v4
	v_lshlrev_b32_e32 v7, 26, v1
	v_xor_b32_e32 v0, vcc_lo, v0
	v_ashrrev_i32_e32 v2, 31, v2
	v_cmp_gt_i32_e32 vcc_lo, 0, v4
	v_not_b32_e32 v4, v5
	v_ashrrev_i32_e32 v3, 31, v3
	v_and_b32_e32 v0, exec_lo, v0
	v_xor_b32_e32 v2, s10, v2
	v_cmp_gt_i32_e64 s10, 0, v5
	v_not_b32_e32 v5, v6
	v_ashrrev_i32_e32 v4, 31, v4
	v_xor_b32_e32 v3, vcc_lo, v3
	v_and_b32_e32 v0, v0, v2
	v_cmp_gt_i32_e32 vcc_lo, 0, v6
	v_not_b32_e32 v2, v7
	v_ashrrev_i32_e32 v5, 31, v5
	v_xor_b32_e32 v4, s10, v4
	v_and_b32_e32 v0, v0, v3
	v_lshlrev_b32_e32 v3, 25, v1
	v_cmp_gt_i32_e64 s10, 0, v7
	v_ashrrev_i32_e32 v2, 31, v2
	v_xor_b32_e32 v5, vcc_lo, v5
	v_and_b32_e32 v0, v0, v4
	v_not_b32_e32 v6, v3
	v_lshlrev_b32_e32 v1, 24, v1
	v_bfe_u32 v4, v45, s14, 8
	v_xor_b32_e32 v2, s10, v2
	v_and_b32_e32 v0, v0, v5
	v_cmp_gt_i32_e32 vcc_lo, 0, v3
	v_ashrrev_i32_e32 v3, 31, v6
	v_not_b32_e32 v5, v1
	v_lshlrev_b32_e32 v4, 4, v4
	v_and_b32_e32 v0, v0, v2
	s_delay_alu instid0(VALU_DEP_4) | instskip(SKIP_3) | instid1(VALU_DEP_4)
	v_xor_b32_e32 v2, vcc_lo, v3
	v_cmp_gt_i32_e32 vcc_lo, 0, v1
	v_ashrrev_i32_e32 v1, 31, v5
	v_add_lshl_u32 v3, v4, v34, 2
	v_and_b32_e32 v0, v0, v2
	s_delay_alu instid0(VALU_DEP_3) | instskip(SKIP_3) | instid1(VALU_DEP_1)
	v_xor_b32_e32 v1, vcc_lo, v1
	ds_load_b32 v16, v3 offset:64
	v_add_nc_u32_e32 v18, 64, v3
	; wave barrier
	v_and_b32_e32 v0, v0, v1
	v_mbcnt_lo_u32_b32 v17, v0, 0
	v_cmp_ne_u32_e64 s10, 0, v0
	s_delay_alu instid0(VALU_DEP_2) | instskip(NEXT) | instid1(VALU_DEP_2)
	v_cmp_eq_u32_e32 vcc_lo, 0, v17
	s_and_b32 s15, s10, vcc_lo
	s_delay_alu instid0(SALU_CYCLE_1)
	s_and_saveexec_b32 s10, s15
	s_cbranch_execz .LBB239_8
; %bb.7:                                ;   in Loop: Header=BB239_4 Depth=2
	s_waitcnt lgkmcnt(0)
	v_bcnt_u32_b32 v0, v0, v16
	ds_store_b32 v18, v0
.LBB239_8:                              ;   in Loop: Header=BB239_4 Depth=2
	s_or_b32 exec_lo, exec_lo, s10
	v_bfe_u32 v0, v44, s14, 1
	v_lshrrev_b32_e32 v1, s14, v44
	; wave barrier
	s_delay_alu instid0(VALU_DEP_2) | instskip(NEXT) | instid1(VALU_DEP_1)
	v_add_co_u32 v0, s10, v0, -1
	v_cndmask_b32_e64 v2, 0, 1, s10
	s_delay_alu instid0(VALU_DEP_3)
	v_lshlrev_b32_e32 v3, 30, v1
	v_lshlrev_b32_e32 v4, 29, v1
	;; [unrolled: 1-line block ×4, first 2 shown]
	v_cmp_ne_u32_e32 vcc_lo, 0, v2
	v_not_b32_e32 v2, v3
	v_cmp_gt_i32_e64 s10, 0, v3
	v_not_b32_e32 v3, v4
	v_lshlrev_b32_e32 v7, 26, v1
	v_xor_b32_e32 v0, vcc_lo, v0
	v_ashrrev_i32_e32 v2, 31, v2
	v_cmp_gt_i32_e32 vcc_lo, 0, v4
	v_not_b32_e32 v4, v5
	v_ashrrev_i32_e32 v3, 31, v3
	v_and_b32_e32 v0, exec_lo, v0
	v_xor_b32_e32 v2, s10, v2
	v_cmp_gt_i32_e64 s10, 0, v5
	v_not_b32_e32 v5, v6
	v_ashrrev_i32_e32 v4, 31, v4
	v_xor_b32_e32 v3, vcc_lo, v3
	v_and_b32_e32 v0, v0, v2
	v_cmp_gt_i32_e32 vcc_lo, 0, v6
	v_not_b32_e32 v2, v7
	v_ashrrev_i32_e32 v5, 31, v5
	v_xor_b32_e32 v4, s10, v4
	v_and_b32_e32 v0, v0, v3
	v_lshlrev_b32_e32 v3, 25, v1
	v_cmp_gt_i32_e64 s10, 0, v7
	v_ashrrev_i32_e32 v2, 31, v2
	v_xor_b32_e32 v5, vcc_lo, v5
	v_and_b32_e32 v0, v0, v4
	v_not_b32_e32 v6, v3
	v_lshlrev_b32_e32 v1, 24, v1
	v_bfe_u32 v4, v44, s14, 8
	v_xor_b32_e32 v2, s10, v2
	v_and_b32_e32 v0, v0, v5
	v_cmp_gt_i32_e32 vcc_lo, 0, v3
	v_ashrrev_i32_e32 v3, 31, v6
	v_not_b32_e32 v5, v1
	v_lshlrev_b32_e32 v4, 4, v4
	v_and_b32_e32 v0, v0, v2
	s_delay_alu instid0(VALU_DEP_4) | instskip(SKIP_3) | instid1(VALU_DEP_4)
	v_xor_b32_e32 v2, vcc_lo, v3
	v_cmp_gt_i32_e32 vcc_lo, 0, v1
	v_ashrrev_i32_e32 v1, 31, v5
	v_add_lshl_u32 v3, v4, v34, 2
	v_and_b32_e32 v0, v0, v2
	s_delay_alu instid0(VALU_DEP_3) | instskip(SKIP_3) | instid1(VALU_DEP_1)
	v_xor_b32_e32 v1, vcc_lo, v1
	ds_load_b32 v19, v3 offset:64
	v_add_nc_u32_e32 v21, 64, v3
	; wave barrier
	v_and_b32_e32 v0, v0, v1
	v_mbcnt_lo_u32_b32 v20, v0, 0
	v_cmp_ne_u32_e64 s10, 0, v0
	s_delay_alu instid0(VALU_DEP_2) | instskip(NEXT) | instid1(VALU_DEP_2)
	v_cmp_eq_u32_e32 vcc_lo, 0, v20
	s_and_b32 s15, s10, vcc_lo
	s_delay_alu instid0(SALU_CYCLE_1)
	s_and_saveexec_b32 s10, s15
	s_cbranch_execz .LBB239_10
; %bb.9:                                ;   in Loop: Header=BB239_4 Depth=2
	s_waitcnt lgkmcnt(0)
	v_bcnt_u32_b32 v0, v0, v19
	ds_store_b32 v21, v0
.LBB239_10:                             ;   in Loop: Header=BB239_4 Depth=2
	s_or_b32 exec_lo, exec_lo, s10
	v_bfe_u32 v0, v43, s14, 1
	v_lshrrev_b32_e32 v1, s14, v43
	; wave barrier
	s_delay_alu instid0(VALU_DEP_2) | instskip(NEXT) | instid1(VALU_DEP_1)
	v_add_co_u32 v0, s10, v0, -1
	v_cndmask_b32_e64 v2, 0, 1, s10
	s_delay_alu instid0(VALU_DEP_3)
	v_lshlrev_b32_e32 v3, 30, v1
	v_lshlrev_b32_e32 v4, 29, v1
	;; [unrolled: 1-line block ×4, first 2 shown]
	v_cmp_ne_u32_e32 vcc_lo, 0, v2
	v_not_b32_e32 v2, v3
	v_cmp_gt_i32_e64 s10, 0, v3
	v_not_b32_e32 v3, v4
	v_lshlrev_b32_e32 v7, 26, v1
	v_xor_b32_e32 v0, vcc_lo, v0
	v_ashrrev_i32_e32 v2, 31, v2
	v_cmp_gt_i32_e32 vcc_lo, 0, v4
	v_not_b32_e32 v4, v5
	v_ashrrev_i32_e32 v3, 31, v3
	v_and_b32_e32 v0, exec_lo, v0
	v_xor_b32_e32 v2, s10, v2
	v_cmp_gt_i32_e64 s10, 0, v5
	v_not_b32_e32 v5, v6
	v_ashrrev_i32_e32 v4, 31, v4
	v_xor_b32_e32 v3, vcc_lo, v3
	v_and_b32_e32 v0, v0, v2
	v_cmp_gt_i32_e32 vcc_lo, 0, v6
	v_not_b32_e32 v2, v7
	v_ashrrev_i32_e32 v5, 31, v5
	v_xor_b32_e32 v4, s10, v4
	v_and_b32_e32 v0, v0, v3
	v_lshlrev_b32_e32 v3, 25, v1
	v_cmp_gt_i32_e64 s10, 0, v7
	v_ashrrev_i32_e32 v2, 31, v2
	v_xor_b32_e32 v5, vcc_lo, v5
	v_and_b32_e32 v0, v0, v4
	v_not_b32_e32 v6, v3
	v_lshlrev_b32_e32 v1, 24, v1
	v_bfe_u32 v4, v43, s14, 8
	v_xor_b32_e32 v2, s10, v2
	v_and_b32_e32 v0, v0, v5
	v_cmp_gt_i32_e32 vcc_lo, 0, v3
	v_ashrrev_i32_e32 v3, 31, v6
	v_not_b32_e32 v5, v1
	v_lshlrev_b32_e32 v4, 4, v4
	v_and_b32_e32 v0, v0, v2
	s_delay_alu instid0(VALU_DEP_4) | instskip(SKIP_3) | instid1(VALU_DEP_4)
	v_xor_b32_e32 v2, vcc_lo, v3
	v_cmp_gt_i32_e32 vcc_lo, 0, v1
	v_ashrrev_i32_e32 v1, 31, v5
	v_add_lshl_u32 v3, v4, v34, 2
	v_and_b32_e32 v0, v0, v2
	s_delay_alu instid0(VALU_DEP_3) | instskip(SKIP_3) | instid1(VALU_DEP_1)
	v_xor_b32_e32 v1, vcc_lo, v1
	ds_load_b32 v46, v3 offset:64
	v_add_nc_u32_e32 v48, 64, v3
	; wave barrier
	v_and_b32_e32 v0, v0, v1
	v_mbcnt_lo_u32_b32 v47, v0, 0
	v_cmp_ne_u32_e64 s10, 0, v0
	s_delay_alu instid0(VALU_DEP_2) | instskip(NEXT) | instid1(VALU_DEP_2)
	v_cmp_eq_u32_e32 vcc_lo, 0, v47
	s_and_b32 s15, s10, vcc_lo
	s_delay_alu instid0(SALU_CYCLE_1)
	s_and_saveexec_b32 s10, s15
	s_cbranch_execz .LBB239_12
; %bb.11:                               ;   in Loop: Header=BB239_4 Depth=2
	s_waitcnt lgkmcnt(0)
	v_bcnt_u32_b32 v0, v0, v46
	ds_store_b32 v48, v0
.LBB239_12:                             ;   in Loop: Header=BB239_4 Depth=2
	s_or_b32 exec_lo, exec_lo, s10
	v_bfe_u32 v0, v25, s14, 1
	v_lshrrev_b32_e32 v1, s14, v25
	; wave barrier
	s_delay_alu instid0(VALU_DEP_2) | instskip(NEXT) | instid1(VALU_DEP_1)
	v_add_co_u32 v0, s10, v0, -1
	v_cndmask_b32_e64 v2, 0, 1, s10
	s_delay_alu instid0(VALU_DEP_3)
	v_lshlrev_b32_e32 v3, 30, v1
	v_lshlrev_b32_e32 v4, 29, v1
	;; [unrolled: 1-line block ×4, first 2 shown]
	v_cmp_ne_u32_e32 vcc_lo, 0, v2
	v_not_b32_e32 v2, v3
	v_cmp_gt_i32_e64 s10, 0, v3
	v_not_b32_e32 v3, v4
	v_lshlrev_b32_e32 v7, 26, v1
	v_xor_b32_e32 v0, vcc_lo, v0
	v_ashrrev_i32_e32 v2, 31, v2
	v_cmp_gt_i32_e32 vcc_lo, 0, v4
	v_not_b32_e32 v4, v5
	v_ashrrev_i32_e32 v3, 31, v3
	v_and_b32_e32 v0, exec_lo, v0
	v_xor_b32_e32 v2, s10, v2
	v_cmp_gt_i32_e64 s10, 0, v5
	v_not_b32_e32 v5, v6
	v_ashrrev_i32_e32 v4, 31, v4
	v_xor_b32_e32 v3, vcc_lo, v3
	v_and_b32_e32 v0, v0, v2
	v_cmp_gt_i32_e32 vcc_lo, 0, v6
	v_not_b32_e32 v2, v7
	v_ashrrev_i32_e32 v5, 31, v5
	v_xor_b32_e32 v4, s10, v4
	v_and_b32_e32 v0, v0, v3
	v_lshlrev_b32_e32 v3, 25, v1
	v_cmp_gt_i32_e64 s10, 0, v7
	v_ashrrev_i32_e32 v2, 31, v2
	v_xor_b32_e32 v5, vcc_lo, v5
	v_and_b32_e32 v0, v0, v4
	v_not_b32_e32 v6, v3
	v_lshlrev_b32_e32 v1, 24, v1
	v_bfe_u32 v4, v25, s14, 8
	v_xor_b32_e32 v2, s10, v2
	v_and_b32_e32 v0, v0, v5
	v_cmp_gt_i32_e32 vcc_lo, 0, v3
	v_ashrrev_i32_e32 v3, 31, v6
	v_not_b32_e32 v5, v1
	v_lshlrev_b32_e32 v4, 4, v4
	v_and_b32_e32 v0, v0, v2
	s_delay_alu instid0(VALU_DEP_4) | instskip(SKIP_3) | instid1(VALU_DEP_4)
	v_xor_b32_e32 v2, vcc_lo, v3
	v_cmp_gt_i32_e32 vcc_lo, 0, v1
	v_ashrrev_i32_e32 v1, 31, v5
	v_add_lshl_u32 v3, v4, v34, 2
	v_and_b32_e32 v0, v0, v2
	s_delay_alu instid0(VALU_DEP_3) | instskip(SKIP_3) | instid1(VALU_DEP_1)
	v_xor_b32_e32 v1, vcc_lo, v1
	ds_load_b32 v49, v3 offset:64
	v_add_nc_u32_e32 v51, 64, v3
	; wave barrier
	v_and_b32_e32 v0, v0, v1
	v_mbcnt_lo_u32_b32 v50, v0, 0
	v_cmp_ne_u32_e64 s10, 0, v0
	s_delay_alu instid0(VALU_DEP_2) | instskip(NEXT) | instid1(VALU_DEP_2)
	v_cmp_eq_u32_e32 vcc_lo, 0, v50
	s_and_b32 s15, s10, vcc_lo
	s_delay_alu instid0(SALU_CYCLE_1)
	s_and_saveexec_b32 s10, s15
	s_cbranch_execz .LBB239_14
; %bb.13:                               ;   in Loop: Header=BB239_4 Depth=2
	s_waitcnt lgkmcnt(0)
	v_bcnt_u32_b32 v0, v0, v49
	ds_store_b32 v51, v0
.LBB239_14:                             ;   in Loop: Header=BB239_4 Depth=2
	s_or_b32 exec_lo, exec_lo, s10
	v_bfe_u32 v0, v24, s14, 1
	v_lshrrev_b32_e32 v1, s14, v24
	; wave barrier
	s_delay_alu instid0(VALU_DEP_2) | instskip(NEXT) | instid1(VALU_DEP_1)
	v_add_co_u32 v0, s10, v0, -1
	v_cndmask_b32_e64 v2, 0, 1, s10
	s_delay_alu instid0(VALU_DEP_3)
	v_lshlrev_b32_e32 v3, 30, v1
	v_lshlrev_b32_e32 v4, 29, v1
	;; [unrolled: 1-line block ×4, first 2 shown]
	v_cmp_ne_u32_e32 vcc_lo, 0, v2
	v_not_b32_e32 v2, v3
	v_cmp_gt_i32_e64 s10, 0, v3
	v_not_b32_e32 v3, v4
	v_lshlrev_b32_e32 v7, 26, v1
	v_xor_b32_e32 v0, vcc_lo, v0
	v_ashrrev_i32_e32 v2, 31, v2
	v_cmp_gt_i32_e32 vcc_lo, 0, v4
	v_not_b32_e32 v4, v5
	v_ashrrev_i32_e32 v3, 31, v3
	v_and_b32_e32 v0, exec_lo, v0
	v_xor_b32_e32 v2, s10, v2
	v_cmp_gt_i32_e64 s10, 0, v5
	v_not_b32_e32 v5, v6
	v_ashrrev_i32_e32 v4, 31, v4
	v_xor_b32_e32 v3, vcc_lo, v3
	v_and_b32_e32 v0, v0, v2
	v_cmp_gt_i32_e32 vcc_lo, 0, v6
	v_not_b32_e32 v2, v7
	v_ashrrev_i32_e32 v5, 31, v5
	v_xor_b32_e32 v4, s10, v4
	v_and_b32_e32 v0, v0, v3
	v_lshlrev_b32_e32 v3, 25, v1
	v_cmp_gt_i32_e64 s10, 0, v7
	v_ashrrev_i32_e32 v2, 31, v2
	v_xor_b32_e32 v5, vcc_lo, v5
	v_and_b32_e32 v0, v0, v4
	v_not_b32_e32 v6, v3
	v_lshlrev_b32_e32 v1, 24, v1
	v_bfe_u32 v4, v24, s14, 8
	v_xor_b32_e32 v2, s10, v2
	v_and_b32_e32 v0, v0, v5
	v_cmp_gt_i32_e32 vcc_lo, 0, v3
	v_ashrrev_i32_e32 v3, 31, v6
	v_not_b32_e32 v5, v1
	v_lshlrev_b32_e32 v4, 4, v4
	v_and_b32_e32 v0, v0, v2
	s_delay_alu instid0(VALU_DEP_4) | instskip(SKIP_3) | instid1(VALU_DEP_4)
	v_xor_b32_e32 v2, vcc_lo, v3
	v_cmp_gt_i32_e32 vcc_lo, 0, v1
	v_ashrrev_i32_e32 v1, 31, v5
	v_add_lshl_u32 v3, v4, v34, 2
	v_and_b32_e32 v0, v0, v2
	s_delay_alu instid0(VALU_DEP_3) | instskip(SKIP_3) | instid1(VALU_DEP_1)
	v_xor_b32_e32 v1, vcc_lo, v1
	ds_load_b32 v52, v3 offset:64
	v_add_nc_u32_e32 v54, 64, v3
	; wave barrier
	v_and_b32_e32 v0, v0, v1
	v_mbcnt_lo_u32_b32 v53, v0, 0
	v_cmp_ne_u32_e64 s10, 0, v0
	s_delay_alu instid0(VALU_DEP_2) | instskip(NEXT) | instid1(VALU_DEP_2)
	v_cmp_eq_u32_e32 vcc_lo, 0, v53
	s_and_b32 s15, s10, vcc_lo
	s_delay_alu instid0(SALU_CYCLE_1)
	s_and_saveexec_b32 s10, s15
	s_cbranch_execz .LBB239_16
; %bb.15:                               ;   in Loop: Header=BB239_4 Depth=2
	s_waitcnt lgkmcnt(0)
	v_bcnt_u32_b32 v0, v0, v52
	ds_store_b32 v54, v0
.LBB239_16:                             ;   in Loop: Header=BB239_4 Depth=2
	s_or_b32 exec_lo, exec_lo, s10
	v_bfe_u32 v0, v22, s14, 1
	v_lshrrev_b32_e32 v1, s14, v22
	; wave barrier
	s_delay_alu instid0(VALU_DEP_2) | instskip(NEXT) | instid1(VALU_DEP_1)
	v_add_co_u32 v0, s10, v0, -1
	v_cndmask_b32_e64 v2, 0, 1, s10
	s_delay_alu instid0(VALU_DEP_3)
	v_lshlrev_b32_e32 v3, 30, v1
	v_lshlrev_b32_e32 v4, 29, v1
	;; [unrolled: 1-line block ×4, first 2 shown]
	v_cmp_ne_u32_e32 vcc_lo, 0, v2
	v_not_b32_e32 v2, v3
	v_cmp_gt_i32_e64 s10, 0, v3
	v_not_b32_e32 v3, v4
	v_lshlrev_b32_e32 v7, 26, v1
	v_xor_b32_e32 v0, vcc_lo, v0
	v_ashrrev_i32_e32 v2, 31, v2
	v_cmp_gt_i32_e32 vcc_lo, 0, v4
	v_not_b32_e32 v4, v5
	v_ashrrev_i32_e32 v3, 31, v3
	v_and_b32_e32 v0, exec_lo, v0
	v_xor_b32_e32 v2, s10, v2
	v_cmp_gt_i32_e64 s10, 0, v5
	v_not_b32_e32 v5, v6
	v_ashrrev_i32_e32 v4, 31, v4
	v_xor_b32_e32 v3, vcc_lo, v3
	v_and_b32_e32 v0, v0, v2
	v_cmp_gt_i32_e32 vcc_lo, 0, v6
	v_not_b32_e32 v2, v7
	v_ashrrev_i32_e32 v5, 31, v5
	v_xor_b32_e32 v4, s10, v4
	v_and_b32_e32 v0, v0, v3
	v_lshlrev_b32_e32 v3, 25, v1
	v_cmp_gt_i32_e64 s10, 0, v7
	v_ashrrev_i32_e32 v2, 31, v2
	v_xor_b32_e32 v5, vcc_lo, v5
	v_and_b32_e32 v0, v0, v4
	v_not_b32_e32 v6, v3
	v_lshlrev_b32_e32 v1, 24, v1
	v_bfe_u32 v4, v22, s14, 8
	v_xor_b32_e32 v2, s10, v2
	v_and_b32_e32 v0, v0, v5
	v_cmp_gt_i32_e32 vcc_lo, 0, v3
	v_ashrrev_i32_e32 v3, 31, v6
	v_not_b32_e32 v5, v1
	v_lshlrev_b32_e32 v4, 4, v4
	v_and_b32_e32 v0, v0, v2
	s_delay_alu instid0(VALU_DEP_4) | instskip(SKIP_3) | instid1(VALU_DEP_4)
	v_xor_b32_e32 v2, vcc_lo, v3
	v_cmp_gt_i32_e32 vcc_lo, 0, v1
	v_ashrrev_i32_e32 v1, 31, v5
	v_add_lshl_u32 v3, v4, v34, 2
	v_and_b32_e32 v0, v0, v2
	s_delay_alu instid0(VALU_DEP_3) | instskip(SKIP_3) | instid1(VALU_DEP_1)
	v_xor_b32_e32 v1, vcc_lo, v1
	ds_load_b32 v55, v3 offset:64
	v_add_nc_u32_e32 v57, 64, v3
	; wave barrier
	v_and_b32_e32 v0, v0, v1
	v_mbcnt_lo_u32_b32 v56, v0, 0
	v_cmp_ne_u32_e64 s10, 0, v0
	s_delay_alu instid0(VALU_DEP_2) | instskip(NEXT) | instid1(VALU_DEP_2)
	v_cmp_eq_u32_e32 vcc_lo, 0, v56
	s_and_b32 s15, s10, vcc_lo
	s_delay_alu instid0(SALU_CYCLE_1)
	s_and_saveexec_b32 s10, s15
	s_cbranch_execz .LBB239_18
; %bb.17:                               ;   in Loop: Header=BB239_4 Depth=2
	s_waitcnt lgkmcnt(0)
	v_bcnt_u32_b32 v0, v0, v55
	ds_store_b32 v57, v0
.LBB239_18:                             ;   in Loop: Header=BB239_4 Depth=2
	s_or_b32 exec_lo, exec_lo, s10
	v_bfe_u32 v0, v8, s14, 1
	v_lshrrev_b32_e32 v1, s14, v8
	; wave barrier
	s_delay_alu instid0(VALU_DEP_2) | instskip(NEXT) | instid1(VALU_DEP_1)
	v_add_co_u32 v0, s10, v0, -1
	v_cndmask_b32_e64 v2, 0, 1, s10
	s_delay_alu instid0(VALU_DEP_3)
	v_lshlrev_b32_e32 v3, 30, v1
	v_lshlrev_b32_e32 v4, 29, v1
	;; [unrolled: 1-line block ×4, first 2 shown]
	v_cmp_ne_u32_e32 vcc_lo, 0, v2
	v_not_b32_e32 v2, v3
	v_cmp_gt_i32_e64 s10, 0, v3
	v_not_b32_e32 v3, v4
	v_lshlrev_b32_e32 v7, 26, v1
	v_xor_b32_e32 v0, vcc_lo, v0
	v_ashrrev_i32_e32 v2, 31, v2
	v_cmp_gt_i32_e32 vcc_lo, 0, v4
	v_not_b32_e32 v4, v5
	v_ashrrev_i32_e32 v3, 31, v3
	v_and_b32_e32 v0, exec_lo, v0
	v_xor_b32_e32 v2, s10, v2
	v_cmp_gt_i32_e64 s10, 0, v5
	v_not_b32_e32 v5, v6
	v_ashrrev_i32_e32 v4, 31, v4
	v_xor_b32_e32 v3, vcc_lo, v3
	v_and_b32_e32 v0, v0, v2
	v_cmp_gt_i32_e32 vcc_lo, 0, v6
	v_not_b32_e32 v2, v7
	v_ashrrev_i32_e32 v5, 31, v5
	v_xor_b32_e32 v4, s10, v4
	v_and_b32_e32 v0, v0, v3
	v_lshlrev_b32_e32 v3, 25, v1
	v_cmp_gt_i32_e64 s10, 0, v7
	v_ashrrev_i32_e32 v2, 31, v2
	v_xor_b32_e32 v5, vcc_lo, v5
	v_and_b32_e32 v0, v0, v4
	v_not_b32_e32 v6, v3
	v_lshlrev_b32_e32 v1, 24, v1
	v_bfe_u32 v4, v8, s14, 8
	v_xor_b32_e32 v2, s10, v2
	v_and_b32_e32 v0, v0, v5
	v_cmp_gt_i32_e32 vcc_lo, 0, v3
	v_ashrrev_i32_e32 v3, 31, v6
	v_not_b32_e32 v5, v1
	v_lshlrev_b32_e32 v4, 4, v4
	v_and_b32_e32 v0, v0, v2
	s_delay_alu instid0(VALU_DEP_4) | instskip(SKIP_3) | instid1(VALU_DEP_4)
	v_xor_b32_e32 v2, vcc_lo, v3
	v_cmp_gt_i32_e32 vcc_lo, 0, v1
	v_ashrrev_i32_e32 v1, 31, v5
	v_add_lshl_u32 v3, v4, v34, 2
	v_and_b32_e32 v0, v0, v2
	s_delay_alu instid0(VALU_DEP_3) | instskip(SKIP_3) | instid1(VALU_DEP_1)
	v_xor_b32_e32 v1, vcc_lo, v1
	ds_load_b32 v59, v3 offset:64
	v_add_nc_u32_e32 v58, 64, v3
	; wave barrier
	v_and_b32_e32 v0, v0, v1
	v_mbcnt_lo_u32_b32 v60, v0, 0
	v_cmp_ne_u32_e64 s10, 0, v0
	s_delay_alu instid0(VALU_DEP_2) | instskip(NEXT) | instid1(VALU_DEP_2)
	v_cmp_eq_u32_e32 vcc_lo, 0, v60
	s_and_b32 s15, s10, vcc_lo
	s_delay_alu instid0(SALU_CYCLE_1)
	s_and_saveexec_b32 s10, s15
	s_cbranch_execz .LBB239_20
; %bb.19:                               ;   in Loop: Header=BB239_4 Depth=2
	s_waitcnt lgkmcnt(0)
	v_bcnt_u32_b32 v0, v0, v59
	ds_store_b32 v58, v0
.LBB239_20:                             ;   in Loop: Header=BB239_4 Depth=2
	s_or_b32 exec_lo, exec_lo, s10
	; wave barrier
	s_waitcnt lgkmcnt(0)
	s_barrier
	buffer_gl0_inv
	ds_load_2addr_b64 v[4:7], v26 offset0:8 offset1:9
	ds_load_2addr_b64 v[0:3], v28 offset0:2 offset1:3
	s_waitcnt lgkmcnt(1)
	v_add_nc_u32_e32 v61, v5, v4
	s_delay_alu instid0(VALU_DEP_1) | instskip(SKIP_1) | instid1(VALU_DEP_1)
	v_add3_u32 v61, v61, v6, v7
	s_waitcnt lgkmcnt(0)
	v_add3_u32 v61, v61, v0, v1
	s_delay_alu instid0(VALU_DEP_1) | instskip(NEXT) | instid1(VALU_DEP_1)
	v_add3_u32 v3, v61, v2, v3
	v_mov_b32_dpp v61, v3 row_shr:1 row_mask:0xf bank_mask:0xf
	s_delay_alu instid0(VALU_DEP_1) | instskip(NEXT) | instid1(VALU_DEP_1)
	v_cndmask_b32_e64 v61, v61, 0, s1
	v_add_nc_u32_e32 v3, v61, v3
	s_delay_alu instid0(VALU_DEP_1) | instskip(NEXT) | instid1(VALU_DEP_1)
	v_mov_b32_dpp v61, v3 row_shr:2 row_mask:0xf bank_mask:0xf
	v_cndmask_b32_e64 v61, 0, v61, s2
	s_delay_alu instid0(VALU_DEP_1) | instskip(NEXT) | instid1(VALU_DEP_1)
	v_add_nc_u32_e32 v3, v3, v61
	v_mov_b32_dpp v61, v3 row_shr:4 row_mask:0xf bank_mask:0xf
	s_delay_alu instid0(VALU_DEP_1) | instskip(NEXT) | instid1(VALU_DEP_1)
	v_cndmask_b32_e64 v61, 0, v61, s3
	v_add_nc_u32_e32 v3, v3, v61
	s_delay_alu instid0(VALU_DEP_1) | instskip(NEXT) | instid1(VALU_DEP_1)
	v_mov_b32_dpp v61, v3 row_shr:8 row_mask:0xf bank_mask:0xf
	v_cndmask_b32_e64 v61, 0, v61, s4
	s_delay_alu instid0(VALU_DEP_1) | instskip(SKIP_3) | instid1(VALU_DEP_1)
	v_add_nc_u32_e32 v3, v3, v61
	ds_swizzle_b32 v61, v3 offset:swizzle(BROADCAST,32,15)
	s_waitcnt lgkmcnt(0)
	v_cndmask_b32_e64 v61, v61, 0, s5
	v_add_nc_u32_e32 v3, v3, v61
	s_and_saveexec_b32 s10, s9
	s_cbranch_execz .LBB239_22
; %bb.21:                               ;   in Loop: Header=BB239_4 Depth=2
	ds_store_b32 v29, v3
.LBB239_22:                             ;   in Loop: Header=BB239_4 Depth=2
	s_or_b32 exec_lo, exec_lo, s10
	s_waitcnt lgkmcnt(0)
	s_barrier
	buffer_gl0_inv
	s_and_saveexec_b32 s10, s6
	s_cbranch_execz .LBB239_24
; %bb.23:                               ;   in Loop: Header=BB239_4 Depth=2
	v_add_nc_u32_e32 v61, v26, v27
	ds_load_b32 v62, v61
	s_waitcnt lgkmcnt(0)
	v_mov_b32_dpp v63, v62 row_shr:1 row_mask:0xf bank_mask:0xf
	s_delay_alu instid0(VALU_DEP_1) | instskip(NEXT) | instid1(VALU_DEP_1)
	v_cndmask_b32_e64 v63, v63, 0, s1
	v_add_nc_u32_e32 v62, v63, v62
	s_delay_alu instid0(VALU_DEP_1) | instskip(NEXT) | instid1(VALU_DEP_1)
	v_mov_b32_dpp v63, v62 row_shr:2 row_mask:0xf bank_mask:0xf
	v_cndmask_b32_e64 v63, 0, v63, s2
	s_delay_alu instid0(VALU_DEP_1) | instskip(NEXT) | instid1(VALU_DEP_1)
	v_add_nc_u32_e32 v62, v62, v63
	v_mov_b32_dpp v63, v62 row_shr:4 row_mask:0xf bank_mask:0xf
	s_delay_alu instid0(VALU_DEP_1) | instskip(NEXT) | instid1(VALU_DEP_1)
	v_cndmask_b32_e64 v63, 0, v63, s3
	v_add_nc_u32_e32 v62, v62, v63
	s_delay_alu instid0(VALU_DEP_1) | instskip(NEXT) | instid1(VALU_DEP_1)
	v_mov_b32_dpp v63, v62 row_shr:8 row_mask:0xf bank_mask:0xf
	v_cndmask_b32_e64 v63, 0, v63, s4
	s_delay_alu instid0(VALU_DEP_1)
	v_add_nc_u32_e32 v62, v62, v63
	ds_store_b32 v61, v62
.LBB239_24:                             ;   in Loop: Header=BB239_4 Depth=2
	s_or_b32 exec_lo, exec_lo, s10
	v_mov_b32_e32 v61, 0
	s_waitcnt lgkmcnt(0)
	s_barrier
	buffer_gl0_inv
	s_and_saveexec_b32 s10, s7
	s_cbranch_execz .LBB239_26
; %bb.25:                               ;   in Loop: Header=BB239_4 Depth=2
	ds_load_b32 v61, v33
.LBB239_26:                             ;   in Loop: Header=BB239_4 Depth=2
	s_or_b32 exec_lo, exec_lo, s10
	s_waitcnt lgkmcnt(0)
	v_add_nc_u32_e32 v3, v61, v3
	s_cmp_gt_u32 s14, 23
	ds_bpermute_b32 v3, v30, v3
	s_waitcnt lgkmcnt(0)
	v_cndmask_b32_e64 v3, v3, v61, s0
	s_delay_alu instid0(VALU_DEP_1) | instskip(NEXT) | instid1(VALU_DEP_1)
	v_cndmask_b32_e64 v3, v3, 0, s8
	v_add_nc_u32_e32 v4, v3, v4
	s_delay_alu instid0(VALU_DEP_1) | instskip(NEXT) | instid1(VALU_DEP_1)
	v_add_nc_u32_e32 v5, v4, v5
	v_add_nc_u32_e32 v6, v5, v6
	s_delay_alu instid0(VALU_DEP_1) | instskip(NEXT) | instid1(VALU_DEP_1)
	v_add_nc_u32_e32 v61, v6, v7
	;; [unrolled: 3-line block ×3, first 2 shown]
	v_add_nc_u32_e32 v1, v0, v2
	ds_store_2addr_b64 v26, v[3:4], v[5:6] offset0:8 offset1:9
	ds_store_2addr_b64 v28, v[61:62], v[0:1] offset0:2 offset1:3
	s_waitcnt lgkmcnt(0)
	s_barrier
	buffer_gl0_inv
	ds_load_b32 v0, v15
	ds_load_b32 v1, v18
	;; [unrolled: 1-line block ×8, first 2 shown]
	s_waitcnt lgkmcnt(7)
	v_add_nc_u32_e32 v58, v0, v14
	s_waitcnt lgkmcnt(6)
	v_add3_u32 v57, v17, v16, v1
	s_waitcnt lgkmcnt(5)
	v_add3_u32 v54, v20, v19, v2
	;; [unrolled: 2-line block ×7, first 2 shown]
	s_cbranch_scc0 .LBB239_3
; %bb.27:                               ;   in Loop: Header=BB239_2 Depth=1
                                        ; implicit-def: $vgpr21
                                        ; implicit-def: $vgpr19
                                        ; implicit-def: $vgpr3
                                        ; implicit-def: $vgpr1
                                        ; implicit-def: $vgpr17
                                        ; implicit-def: $vgpr15
                                        ; implicit-def: $vgpr7
                                        ; implicit-def: $vgpr5
                                        ; implicit-def: $sgpr14
	s_branch .LBB239_1
.LBB239_28:
	v_lshlrev_b32_e32 v9, 2, v9
	s_add_u32 s0, s18, s12
	s_waitcnt lgkmcnt(2)
	v_add_nc_u32_e32 v12, v7, v24
	s_addc_u32 s1, s19, s13
	v_add_nc_u32_e32 v11, v6, v23
	v_add_co_u32 v7, s2, s0, v9
	s_waitcnt lgkmcnt(1)
	v_add_nc_u32_e32 v6, v1, v16
	v_add_co_ci_u32_e64 v16, null, s1, 0, s2
	s_delay_alu instid0(VALU_DEP_3) | instskip(SKIP_1) | instid1(VALU_DEP_3)
	v_add_co_u32 v0, vcc_lo, 0x1000, v7
	v_add_nc_u32_e32 v13, v2, v17
	v_add_co_ci_u32_e32 v1, vcc_lo, 0, v16, vcc_lo
	v_add_co_u32 v2, vcc_lo, v7, 0x2000
	s_waitcnt lgkmcnt(0)
	v_add_nc_u32_e32 v14, v3, v14
	v_add_co_ci_u32_e32 v3, vcc_lo, 0, v16, vcc_lo
	v_add_nc_u32_e32 v15, v4, v15
	v_add_co_u32 v4, vcc_lo, 0x2000, v7
	v_add_nc_u32_e32 v10, v5, v22
	v_add_co_ci_u32_e32 v5, vcc_lo, 0, v16, vcc_lo
	v_add_nc_u32_e32 v8, v8, v25
	global_store_b32 v[2:3], v6, off
	v_add_co_u32 v6, vcc_lo, 0x3000, v7
	v_add_co_ci_u32_e32 v7, vcc_lo, 0, v16, vcc_lo
	s_clause 0x6
	global_store_b32 v9, v10, s[0:1]
	global_store_b32 v9, v11, s[0:1] offset:2048
	global_store_b32 v[0:1], v8, off offset:2048
	global_store_b32 v[4:5], v13, off offset:2048
	global_store_b32 v[6:7], v14, off
	global_store_b32 v[2:3], v12, off offset:-4096
	global_store_b32 v[6:7], v15, off offset:2048
	s_nop 0
	s_sendmsg sendmsg(MSG_DEALLOC_VGPRS)
	s_endpgm
	.section	.rodata,"a",@progbits
	.p2align	6, 0x0
	.amdhsa_kernel _Z17sort_pairs_kernelI22helper_blocked_stripediLj512ELj8ELj10EEvPKT0_PS1_
		.amdhsa_group_segment_fixed_size 16448
		.amdhsa_private_segment_fixed_size 0
		.amdhsa_kernarg_size 272
		.amdhsa_user_sgpr_count 15
		.amdhsa_user_sgpr_dispatch_ptr 0
		.amdhsa_user_sgpr_queue_ptr 0
		.amdhsa_user_sgpr_kernarg_segment_ptr 1
		.amdhsa_user_sgpr_dispatch_id 0
		.amdhsa_user_sgpr_private_segment_size 0
		.amdhsa_wavefront_size32 1
		.amdhsa_uses_dynamic_stack 0
		.amdhsa_enable_private_segment 0
		.amdhsa_system_sgpr_workgroup_id_x 1
		.amdhsa_system_sgpr_workgroup_id_y 0
		.amdhsa_system_sgpr_workgroup_id_z 0
		.amdhsa_system_sgpr_workgroup_info 0
		.amdhsa_system_vgpr_workitem_id 2
		.amdhsa_next_free_vgpr 64
		.amdhsa_next_free_sgpr 20
		.amdhsa_reserve_vcc 1
		.amdhsa_float_round_mode_32 0
		.amdhsa_float_round_mode_16_64 0
		.amdhsa_float_denorm_mode_32 3
		.amdhsa_float_denorm_mode_16_64 3
		.amdhsa_dx10_clamp 1
		.amdhsa_ieee_mode 1
		.amdhsa_fp16_overflow 0
		.amdhsa_workgroup_processor_mode 1
		.amdhsa_memory_ordered 1
		.amdhsa_forward_progress 0
		.amdhsa_shared_vgpr_count 0
		.amdhsa_exception_fp_ieee_invalid_op 0
		.amdhsa_exception_fp_denorm_src 0
		.amdhsa_exception_fp_ieee_div_zero 0
		.amdhsa_exception_fp_ieee_overflow 0
		.amdhsa_exception_fp_ieee_underflow 0
		.amdhsa_exception_fp_ieee_inexact 0
		.amdhsa_exception_int_div_zero 0
	.end_amdhsa_kernel
	.section	.text._Z17sort_pairs_kernelI22helper_blocked_stripediLj512ELj8ELj10EEvPKT0_PS1_,"axG",@progbits,_Z17sort_pairs_kernelI22helper_blocked_stripediLj512ELj8ELj10EEvPKT0_PS1_,comdat
.Lfunc_end239:
	.size	_Z17sort_pairs_kernelI22helper_blocked_stripediLj512ELj8ELj10EEvPKT0_PS1_, .Lfunc_end239-_Z17sort_pairs_kernelI22helper_blocked_stripediLj512ELj8ELj10EEvPKT0_PS1_
                                        ; -- End function
	.section	.AMDGPU.csdata,"",@progbits
; Kernel info:
; codeLenInByte = 4904
; NumSgprs: 22
; NumVgprs: 64
; ScratchSize: 0
; MemoryBound: 0
; FloatMode: 240
; IeeeMode: 1
; LDSByteSize: 16448 bytes/workgroup (compile time only)
; SGPRBlocks: 2
; VGPRBlocks: 7
; NumSGPRsForWavesPerEU: 22
; NumVGPRsForWavesPerEU: 64
; Occupancy: 16
; WaveLimiterHint : 1
; COMPUTE_PGM_RSRC2:SCRATCH_EN: 0
; COMPUTE_PGM_RSRC2:USER_SGPR: 15
; COMPUTE_PGM_RSRC2:TRAP_HANDLER: 0
; COMPUTE_PGM_RSRC2:TGID_X_EN: 1
; COMPUTE_PGM_RSRC2:TGID_Y_EN: 0
; COMPUTE_PGM_RSRC2:TGID_Z_EN: 0
; COMPUTE_PGM_RSRC2:TIDIG_COMP_CNT: 2
	.section	.text._Z16sort_keys_kernelI22helper_blocked_stripedaLj64ELj1ELj10EEvPKT0_PS1_,"axG",@progbits,_Z16sort_keys_kernelI22helper_blocked_stripedaLj64ELj1ELj10EEvPKT0_PS1_,comdat
	.protected	_Z16sort_keys_kernelI22helper_blocked_stripedaLj64ELj1ELj10EEvPKT0_PS1_ ; -- Begin function _Z16sort_keys_kernelI22helper_blocked_stripedaLj64ELj1ELj10EEvPKT0_PS1_
	.globl	_Z16sort_keys_kernelI22helper_blocked_stripedaLj64ELj1ELj10EEvPKT0_PS1_
	.p2align	8
	.type	_Z16sort_keys_kernelI22helper_blocked_stripedaLj64ELj1ELj10EEvPKT0_PS1_,@function
_Z16sort_keys_kernelI22helper_blocked_stripedaLj64ELj1ELj10EEvPKT0_PS1_: ; @_Z16sort_keys_kernelI22helper_blocked_stripedaLj64ELj1ELj10EEvPKT0_PS1_
; %bb.0:
	s_clause 0x1
	s_load_b128 s[16:19], s[0:1], 0x0
	s_load_b32 s8, s[0:1], 0x1c
	s_lshl_b32 s13, s15, 6
	v_and_b32_e32 v8, 0x3ff, v0
	v_mbcnt_lo_u32_b32 v1, -1, 0
	v_bfe_u32 v3, v0, 10, 10
	v_bfe_u32 v0, v0, 20, 10
	s_mov_b32 s14, 10
	s_delay_alu instid0(VALU_DEP_3)
	v_add_nc_u32_e32 v6, -1, v1
	v_and_b32_e32 v4, 15, v1
	v_cmp_eq_u32_e32 vcc_lo, 0, v1
	v_and_b32_e32 v7, 1, v1
	v_and_b32_e32 v5, 16, v1
	v_cmp_gt_i32_e64 s7, 0, v6
	s_delay_alu instid0(VALU_DEP_2) | instskip(NEXT) | instid1(VALU_DEP_2)
	v_cmp_eq_u32_e64 s4, 0, v5
	v_cndmask_b32_e64 v5, v6, v1, s7
	s_waitcnt lgkmcnt(0)
	s_add_u32 s0, s16, s13
	s_addc_u32 s1, s17, 0
	s_lshr_b32 s9, s8, 16
	global_load_u8 v2, v8, s[0:1]
	s_mov_b32 s0, 0
	v_mad_u32_u24 v3, v0, s9, v3
	s_mov_b32 s3, s0
	s_mov_b32 s1, s0
	;; [unrolled: 1-line block ×3, first 2 shown]
	v_mov_b32_e32 v12, s3
	v_dual_mov_b32 v10, s1 :: v_dual_mov_b32 v11, s2
	v_mov_b32_e32 v9, s0
	v_lshrrev_b32_e32 v6, 3, v8
	s_and_b32 s8, s8, 0xffff
	v_lshlrev_b32_e32 v13, 5, v8
	v_cmp_eq_u32_e64 s0, 0, v4
	v_mad_u64_u32 v[0:1], null, v3, s8, v[8:9]
	v_cmp_lt_u32_e64 s1, 1, v4
	v_cmp_lt_u32_e64 s2, 3, v4
	;; [unrolled: 1-line block ×3, first 2 shown]
	v_or_b32_e32 v4, 31, v8
	v_mul_u32_u24_e32 v1, 3, v8
	v_and_b32_e32 v14, 4, v6
	v_cmp_gt_u32_e64 s5, 2, v8
	v_cmp_lt_u32_e64 s6, 31, v8
	v_cmp_eq_u32_e64 s7, 0, v8
	v_cmp_eq_u32_e64 s8, 0, v7
	v_or_b32_e32 v15, 8, v13
	v_cmp_eq_u32_e64 s9, v4, v8
	v_lshlrev_b32_e32 v16, 2, v5
	v_add_nc_u32_e32 v17, -4, v14
	v_lshrrev_b32_e32 v18, 5, v0
	v_add_nc_u32_e32 v19, v8, v1
	s_waitcnt vmcnt(0)
	v_xor_b32_e32 v20, 0xffffff80, v2
	s_branch .LBB240_2
.LBB240_1:                              ;   in Loop: Header=BB240_2 Depth=1
	s_or_b32 exec_lo, exec_lo, s10
	s_waitcnt lgkmcnt(0)
	v_add_nc_u32_e32 v3, v23, v3
	s_add_i32 s14, s14, -1
	s_delay_alu instid0(SALU_CYCLE_1) | instskip(SKIP_3) | instid1(VALU_DEP_1)
	s_cmp_eq_u32 s14, 0
	ds_bpermute_b32 v3, v16, v3
	s_waitcnt lgkmcnt(0)
	v_cndmask_b32_e32 v3, v3, v23, vcc_lo
	v_cndmask_b32_e64 v3, v3, 0, s7
	s_delay_alu instid0(VALU_DEP_1) | instskip(NEXT) | instid1(VALU_DEP_1)
	v_add_nc_u32_e32 v4, v3, v4
	v_add_nc_u32_e32 v5, v4, v5
	s_delay_alu instid0(VALU_DEP_1) | instskip(NEXT) | instid1(VALU_DEP_1)
	v_add_nc_u32_e32 v6, v5, v6
	v_add_nc_u32_e32 v23, v6, v7
	;; [unrolled: 3-line block ×3, first 2 shown]
	s_delay_alu instid0(VALU_DEP_1)
	v_add_nc_u32_e32 v1, v0, v2
	ds_store_2addr_b64 v13, v[3:4], v[5:6] offset0:1 offset1:2
	ds_store_2addr_b64 v15, v[23:24], v[0:1] offset0:2 offset1:3
	s_waitcnt lgkmcnt(0)
	s_barrier
	buffer_gl0_inv
	ds_load_b32 v0, v22
	s_waitcnt lgkmcnt(0)
	s_barrier
	buffer_gl0_inv
	v_add_nc_u32_e32 v0, v0, v21
	ds_store_b8 v0, v20
	s_waitcnt lgkmcnt(0)
	s_barrier
	buffer_gl0_inv
	ds_load_u8 v20, v8
	s_cbranch_scc1 .LBB240_10
.LBB240_2:                              ; =>This Inner Loop Header: Depth=1
	s_waitcnt lgkmcnt(0)
	s_delay_alu instid0(VALU_DEP_1)
	v_and_b32_e32 v0, 1, v20
	v_lshlrev_b32_e32 v1, 30, v20
	v_lshlrev_b32_e32 v2, 29, v20
	;; [unrolled: 1-line block ×4, first 2 shown]
	v_add_co_u32 v0, s10, v0, -1
	s_delay_alu instid0(VALU_DEP_1)
	v_cndmask_b32_e64 v3, 0, 1, s10
	v_not_b32_e32 v7, v1
	v_cmp_gt_i32_e64 s11, 0, v1
	v_not_b32_e32 v1, v2
	v_lshlrev_b32_e32 v6, 26, v20
	v_cmp_ne_u32_e64 s10, 0, v3
	v_ashrrev_i32_e32 v7, 31, v7
	v_lshlrev_b32_e32 v3, 25, v20
	v_ashrrev_i32_e32 v1, 31, v1
	v_cmp_gt_i32_e64 s12, 0, v5
	v_xor_b32_e32 v0, s10, v0
	v_cmp_gt_i32_e64 s10, 0, v2
	v_not_b32_e32 v2, v4
	v_xor_b32_e32 v7, s11, v7
	v_cmp_gt_i32_e64 s11, 0, v4
	v_and_b32_e32 v0, exec_lo, v0
	v_xor_b32_e32 v1, s10, v1
	v_ashrrev_i32_e32 v2, 31, v2
	v_not_b32_e32 v4, v5
	v_not_b32_e32 v5, v6
	v_and_b32_e32 v0, v0, v7
	v_cmp_gt_i32_e64 s10, 0, v6
	v_xor_b32_e32 v2, s11, v2
	v_not_b32_e32 v6, v3
	ds_store_2addr_b64 v13, v[9:10], v[11:12] offset0:1 offset1:2
	ds_store_2addr_b64 v15, v[9:10], v[11:12] offset0:2 offset1:3
	v_and_b32_e32 v0, v0, v1
	v_ashrrev_i32_e32 v1, 31, v4
	v_ashrrev_i32_e32 v4, 31, v5
	v_lshlrev_b32_e32 v5, 24, v20
	s_waitcnt lgkmcnt(0)
	v_and_b32_e32 v0, v0, v2
	v_xor_b32_e32 v1, s12, v1
	v_xor_b32_e32 v2, s10, v4
	v_cmp_gt_i32_e64 s10, 0, v3
	v_not_b32_e32 v3, v5
	v_ashrrev_i32_e32 v4, 31, v6
	v_and_b32_e32 v0, v0, v1
	v_cmp_gt_i32_e64 s11, 0, v5
	s_barrier
	v_ashrrev_i32_e32 v1, 31, v3
	v_xor_b32_e32 v3, s10, v4
	v_and_b32_e32 v0, v0, v2
	buffer_gl0_inv
	v_xor_b32_e32 v1, s11, v1
	; wave barrier
	v_and_b32_e32 v0, v0, v3
	s_delay_alu instid0(VALU_DEP_1) | instskip(SKIP_1) | instid1(VALU_DEP_2)
	v_and_b32_e32 v0, v0, v1
	v_and_b32_e32 v1, 0xff, v20
	v_mbcnt_lo_u32_b32 v21, v0, 0
	s_delay_alu instid0(VALU_DEP_2) | instskip(SKIP_1) | instid1(VALU_DEP_3)
	v_lshl_add_u32 v1, v1, 1, v18
	v_cmp_ne_u32_e64 s11, 0, v0
	v_cmp_eq_u32_e64 s10, 0, v21
	s_delay_alu instid0(VALU_DEP_3) | instskip(NEXT) | instid1(VALU_DEP_2)
	v_lshl_add_u32 v22, v1, 2, 8
	s_and_b32 s11, s11, s10
	s_delay_alu instid0(SALU_CYCLE_1)
	s_and_saveexec_b32 s10, s11
	s_cbranch_execz .LBB240_4
; %bb.3:                                ;   in Loop: Header=BB240_2 Depth=1
	v_bcnt_u32_b32 v0, v0, 0
	ds_store_b32 v22, v0
.LBB240_4:                              ;   in Loop: Header=BB240_2 Depth=1
	s_or_b32 exec_lo, exec_lo, s10
	; wave barrier
	s_waitcnt lgkmcnt(0)
	s_barrier
	buffer_gl0_inv
	ds_load_2addr_b64 v[4:7], v13 offset0:1 offset1:2
	ds_load_2addr_b64 v[0:3], v15 offset0:2 offset1:3
	s_waitcnt lgkmcnt(1)
	v_add_nc_u32_e32 v23, v5, v4
	s_delay_alu instid0(VALU_DEP_1) | instskip(SKIP_1) | instid1(VALU_DEP_1)
	v_add3_u32 v23, v23, v6, v7
	s_waitcnt lgkmcnt(0)
	v_add3_u32 v23, v23, v0, v1
	s_delay_alu instid0(VALU_DEP_1) | instskip(NEXT) | instid1(VALU_DEP_1)
	v_add3_u32 v3, v23, v2, v3
	v_mov_b32_dpp v23, v3 row_shr:1 row_mask:0xf bank_mask:0xf
	s_delay_alu instid0(VALU_DEP_1) | instskip(NEXT) | instid1(VALU_DEP_1)
	v_cndmask_b32_e64 v23, v23, 0, s0
	v_add_nc_u32_e32 v3, v23, v3
	s_delay_alu instid0(VALU_DEP_1) | instskip(NEXT) | instid1(VALU_DEP_1)
	v_mov_b32_dpp v23, v3 row_shr:2 row_mask:0xf bank_mask:0xf
	v_cndmask_b32_e64 v23, 0, v23, s1
	s_delay_alu instid0(VALU_DEP_1) | instskip(NEXT) | instid1(VALU_DEP_1)
	v_add_nc_u32_e32 v3, v3, v23
	v_mov_b32_dpp v23, v3 row_shr:4 row_mask:0xf bank_mask:0xf
	s_delay_alu instid0(VALU_DEP_1) | instskip(NEXT) | instid1(VALU_DEP_1)
	v_cndmask_b32_e64 v23, 0, v23, s2
	v_add_nc_u32_e32 v3, v3, v23
	s_delay_alu instid0(VALU_DEP_1) | instskip(NEXT) | instid1(VALU_DEP_1)
	v_mov_b32_dpp v23, v3 row_shr:8 row_mask:0xf bank_mask:0xf
	v_cndmask_b32_e64 v23, 0, v23, s3
	s_delay_alu instid0(VALU_DEP_1) | instskip(SKIP_3) | instid1(VALU_DEP_1)
	v_add_nc_u32_e32 v3, v3, v23
	ds_swizzle_b32 v23, v3 offset:swizzle(BROADCAST,32,15)
	s_waitcnt lgkmcnt(0)
	v_cndmask_b32_e64 v23, v23, 0, s4
	v_add_nc_u32_e32 v3, v3, v23
	s_and_saveexec_b32 s10, s9
	s_cbranch_execz .LBB240_6
; %bb.5:                                ;   in Loop: Header=BB240_2 Depth=1
	ds_store_b32 v14, v3
.LBB240_6:                              ;   in Loop: Header=BB240_2 Depth=1
	s_or_b32 exec_lo, exec_lo, s10
	s_waitcnt lgkmcnt(0)
	s_barrier
	buffer_gl0_inv
	s_and_saveexec_b32 s10, s5
	s_cbranch_execz .LBB240_8
; %bb.7:                                ;   in Loop: Header=BB240_2 Depth=1
	ds_load_b32 v23, v19
	s_waitcnt lgkmcnt(0)
	v_mov_b32_dpp v24, v23 row_shr:1 row_mask:0xf bank_mask:0xf
	s_delay_alu instid0(VALU_DEP_1) | instskip(NEXT) | instid1(VALU_DEP_1)
	v_cndmask_b32_e64 v24, v24, 0, s8
	v_add_nc_u32_e32 v23, v24, v23
	ds_store_b32 v19, v23
.LBB240_8:                              ;   in Loop: Header=BB240_2 Depth=1
	s_or_b32 exec_lo, exec_lo, s10
	v_mov_b32_e32 v23, 0
	s_waitcnt lgkmcnt(0)
	s_barrier
	buffer_gl0_inv
	s_and_saveexec_b32 s10, s6
	s_cbranch_execz .LBB240_1
; %bb.9:                                ;   in Loop: Header=BB240_2 Depth=1
	ds_load_b32 v23, v17
	s_branch .LBB240_1
.LBB240_10:
	s_add_u32 s0, s18, s13
	s_addc_u32 s1, s19, 0
	v_add_co_u32 v0, s0, s0, v8
	s_waitcnt lgkmcnt(0)
	v_xor_b32_e32 v2, 0x80, v20
	v_add_co_ci_u32_e64 v1, null, s1, 0, s0
	global_store_b8 v[0:1], v2, off
	s_nop 0
	s_sendmsg sendmsg(MSG_DEALLOC_VGPRS)
	s_endpgm
	.section	.rodata,"a",@progbits
	.p2align	6, 0x0
	.amdhsa_kernel _Z16sort_keys_kernelI22helper_blocked_stripedaLj64ELj1ELj10EEvPKT0_PS1_
		.amdhsa_group_segment_fixed_size 2064
		.amdhsa_private_segment_fixed_size 0
		.amdhsa_kernarg_size 272
		.amdhsa_user_sgpr_count 15
		.amdhsa_user_sgpr_dispatch_ptr 0
		.amdhsa_user_sgpr_queue_ptr 0
		.amdhsa_user_sgpr_kernarg_segment_ptr 1
		.amdhsa_user_sgpr_dispatch_id 0
		.amdhsa_user_sgpr_private_segment_size 0
		.amdhsa_wavefront_size32 1
		.amdhsa_uses_dynamic_stack 0
		.amdhsa_enable_private_segment 0
		.amdhsa_system_sgpr_workgroup_id_x 1
		.amdhsa_system_sgpr_workgroup_id_y 0
		.amdhsa_system_sgpr_workgroup_id_z 0
		.amdhsa_system_sgpr_workgroup_info 0
		.amdhsa_system_vgpr_workitem_id 2
		.amdhsa_next_free_vgpr 25
		.amdhsa_next_free_sgpr 20
		.amdhsa_reserve_vcc 1
		.amdhsa_float_round_mode_32 0
		.amdhsa_float_round_mode_16_64 0
		.amdhsa_float_denorm_mode_32 3
		.amdhsa_float_denorm_mode_16_64 3
		.amdhsa_dx10_clamp 1
		.amdhsa_ieee_mode 1
		.amdhsa_fp16_overflow 0
		.amdhsa_workgroup_processor_mode 1
		.amdhsa_memory_ordered 1
		.amdhsa_forward_progress 0
		.amdhsa_shared_vgpr_count 0
		.amdhsa_exception_fp_ieee_invalid_op 0
		.amdhsa_exception_fp_denorm_src 0
		.amdhsa_exception_fp_ieee_div_zero 0
		.amdhsa_exception_fp_ieee_overflow 0
		.amdhsa_exception_fp_ieee_underflow 0
		.amdhsa_exception_fp_ieee_inexact 0
		.amdhsa_exception_int_div_zero 0
	.end_amdhsa_kernel
	.section	.text._Z16sort_keys_kernelI22helper_blocked_stripedaLj64ELj1ELj10EEvPKT0_PS1_,"axG",@progbits,_Z16sort_keys_kernelI22helper_blocked_stripedaLj64ELj1ELj10EEvPKT0_PS1_,comdat
.Lfunc_end240:
	.size	_Z16sort_keys_kernelI22helper_blocked_stripedaLj64ELj1ELj10EEvPKT0_PS1_, .Lfunc_end240-_Z16sort_keys_kernelI22helper_blocked_stripedaLj64ELj1ELj10EEvPKT0_PS1_
                                        ; -- End function
	.section	.AMDGPU.csdata,"",@progbits
; Kernel info:
; codeLenInByte = 1272
; NumSgprs: 22
; NumVgprs: 25
; ScratchSize: 0
; MemoryBound: 0
; FloatMode: 240
; IeeeMode: 1
; LDSByteSize: 2064 bytes/workgroup (compile time only)
; SGPRBlocks: 2
; VGPRBlocks: 3
; NumSGPRsForWavesPerEU: 22
; NumVGPRsForWavesPerEU: 25
; Occupancy: 16
; WaveLimiterHint : 0
; COMPUTE_PGM_RSRC2:SCRATCH_EN: 0
; COMPUTE_PGM_RSRC2:USER_SGPR: 15
; COMPUTE_PGM_RSRC2:TRAP_HANDLER: 0
; COMPUTE_PGM_RSRC2:TGID_X_EN: 1
; COMPUTE_PGM_RSRC2:TGID_Y_EN: 0
; COMPUTE_PGM_RSRC2:TGID_Z_EN: 0
; COMPUTE_PGM_RSRC2:TIDIG_COMP_CNT: 2
	.section	.text._Z17sort_pairs_kernelI22helper_blocked_stripedaLj64ELj1ELj10EEvPKT0_PS1_,"axG",@progbits,_Z17sort_pairs_kernelI22helper_blocked_stripedaLj64ELj1ELj10EEvPKT0_PS1_,comdat
	.protected	_Z17sort_pairs_kernelI22helper_blocked_stripedaLj64ELj1ELj10EEvPKT0_PS1_ ; -- Begin function _Z17sort_pairs_kernelI22helper_blocked_stripedaLj64ELj1ELj10EEvPKT0_PS1_
	.globl	_Z17sort_pairs_kernelI22helper_blocked_stripedaLj64ELj1ELj10EEvPKT0_PS1_
	.p2align	8
	.type	_Z17sort_pairs_kernelI22helper_blocked_stripedaLj64ELj1ELj10EEvPKT0_PS1_,@function
_Z17sort_pairs_kernelI22helper_blocked_stripedaLj64ELj1ELj10EEvPKT0_PS1_: ; @_Z17sort_pairs_kernelI22helper_blocked_stripedaLj64ELj1ELj10EEvPKT0_PS1_
; %bb.0:
	s_clause 0x1
	s_load_b128 s[16:19], s[0:1], 0x0
	s_load_b32 s8, s[0:1], 0x1c
	s_lshl_b32 s13, s15, 6
	v_and_b32_e32 v8, 0x3ff, v0
	v_mbcnt_lo_u32_b32 v1, -1, 0
	v_bfe_u32 v3, v0, 10, 10
	v_bfe_u32 v0, v0, 20, 10
	s_mov_b32 s14, 10
	s_delay_alu instid0(VALU_DEP_3)
	v_add_nc_u32_e32 v6, -1, v1
	v_and_b32_e32 v4, 15, v1
	v_cmp_eq_u32_e32 vcc_lo, 0, v1
	v_and_b32_e32 v7, 1, v1
	v_and_b32_e32 v5, 16, v1
	v_cmp_gt_i32_e64 s7, 0, v6
	s_delay_alu instid0(VALU_DEP_2) | instskip(NEXT) | instid1(VALU_DEP_2)
	v_cmp_eq_u32_e64 s4, 0, v5
	v_cndmask_b32_e64 v5, v6, v1, s7
	s_waitcnt lgkmcnt(0)
	s_add_u32 s0, s16, s13
	s_addc_u32 s1, s17, 0
	s_lshr_b32 s9, s8, 16
	global_load_u8 v2, v8, s[0:1]
	s_mov_b32 s0, 0
	v_mad_u32_u24 v3, v0, s9, v3
	s_mov_b32 s3, s0
	s_mov_b32 s1, s0
	;; [unrolled: 1-line block ×3, first 2 shown]
	v_mov_b32_e32 v12, s3
	v_dual_mov_b32 v10, s1 :: v_dual_mov_b32 v11, s2
	v_mov_b32_e32 v9, s0
	v_lshrrev_b32_e32 v6, 3, v8
	s_and_b32 s8, s8, 0xffff
	v_lshlrev_b32_e32 v13, 5, v8
	v_cmp_eq_u32_e64 s0, 0, v4
	v_mad_u64_u32 v[0:1], null, v3, s8, v[8:9]
	v_cmp_lt_u32_e64 s1, 1, v4
	v_cmp_lt_u32_e64 s2, 3, v4
	;; [unrolled: 1-line block ×3, first 2 shown]
	v_or_b32_e32 v4, 31, v8
	v_mul_u32_u24_e32 v1, 3, v8
	v_and_b32_e32 v14, 4, v6
	v_cmp_gt_u32_e64 s5, 2, v8
	v_cmp_lt_u32_e64 s6, 31, v8
	v_cmp_eq_u32_e64 s7, 0, v8
	v_cmp_eq_u32_e64 s8, 0, v7
	v_or_b32_e32 v15, 8, v13
	v_cmp_eq_u32_e64 s9, v4, v8
	v_lshlrev_b32_e32 v16, 2, v5
	v_add_nc_u32_e32 v17, -4, v14
	v_lshrrev_b32_e32 v18, 5, v0
	v_add_nc_u32_e32 v19, v8, v1
	s_waitcnt vmcnt(0)
	v_add_nc_u16 v20, v2, 1
	v_xor_b32_e32 v21, 0xffffff80, v2
	s_branch .LBB241_2
.LBB241_1:                              ;   in Loop: Header=BB241_2 Depth=1
	s_or_b32 exec_lo, exec_lo, s10
	s_waitcnt lgkmcnt(0)
	v_add_nc_u32_e32 v3, v24, v3
	s_add_i32 s14, s14, -1
	s_delay_alu instid0(SALU_CYCLE_1) | instskip(SKIP_3) | instid1(VALU_DEP_1)
	s_cmp_lg_u32 s14, 0
	ds_bpermute_b32 v3, v16, v3
	s_waitcnt lgkmcnt(0)
	v_cndmask_b32_e32 v3, v3, v24, vcc_lo
	v_cndmask_b32_e64 v3, v3, 0, s7
	s_delay_alu instid0(VALU_DEP_1) | instskip(NEXT) | instid1(VALU_DEP_1)
	v_add_nc_u32_e32 v4, v3, v4
	v_add_nc_u32_e32 v5, v4, v5
	s_delay_alu instid0(VALU_DEP_1) | instskip(NEXT) | instid1(VALU_DEP_1)
	v_add_nc_u32_e32 v6, v5, v6
	v_add_nc_u32_e32 v24, v6, v7
	;; [unrolled: 3-line block ×3, first 2 shown]
	s_delay_alu instid0(VALU_DEP_1)
	v_add_nc_u32_e32 v1, v0, v2
	ds_store_2addr_b64 v13, v[3:4], v[5:6] offset0:1 offset1:2
	ds_store_2addr_b64 v15, v[24:25], v[0:1] offset0:2 offset1:3
	s_waitcnt lgkmcnt(0)
	s_barrier
	buffer_gl0_inv
	ds_load_b32 v0, v23
	s_waitcnt lgkmcnt(0)
	s_barrier
	buffer_gl0_inv
	v_add_nc_u32_e32 v0, v0, v22
	ds_store_b8 v0, v21
	s_waitcnt lgkmcnt(0)
	s_barrier
	buffer_gl0_inv
	ds_load_u8 v21, v8
	s_waitcnt lgkmcnt(0)
	s_barrier
	buffer_gl0_inv
	ds_store_b8 v0, v20
	s_waitcnt lgkmcnt(0)
	s_barrier
	buffer_gl0_inv
	ds_load_u8 v20, v8
	s_cbranch_scc0 .LBB241_10
.LBB241_2:                              ; =>This Inner Loop Header: Depth=1
	s_delay_alu instid0(VALU_DEP_1)
	v_and_b32_e32 v0, 1, v21
	v_lshlrev_b32_e32 v1, 30, v21
	v_lshlrev_b32_e32 v2, 29, v21
	;; [unrolled: 1-line block ×4, first 2 shown]
	v_add_co_u32 v0, s10, v0, -1
	s_delay_alu instid0(VALU_DEP_1)
	v_cndmask_b32_e64 v3, 0, 1, s10
	v_not_b32_e32 v7, v1
	v_cmp_gt_i32_e64 s11, 0, v1
	v_not_b32_e32 v1, v2
	v_lshlrev_b32_e32 v6, 26, v21
	v_cmp_ne_u32_e64 s10, 0, v3
	v_ashrrev_i32_e32 v7, 31, v7
	v_lshlrev_b32_e32 v3, 25, v21
	v_ashrrev_i32_e32 v1, 31, v1
	v_cmp_gt_i32_e64 s12, 0, v5
	v_xor_b32_e32 v0, s10, v0
	v_cmp_gt_i32_e64 s10, 0, v2
	v_not_b32_e32 v2, v4
	v_xor_b32_e32 v7, s11, v7
	v_cmp_gt_i32_e64 s11, 0, v4
	v_and_b32_e32 v0, exec_lo, v0
	v_xor_b32_e32 v1, s10, v1
	v_ashrrev_i32_e32 v2, 31, v2
	v_not_b32_e32 v4, v5
	v_not_b32_e32 v5, v6
	v_and_b32_e32 v0, v0, v7
	v_cmp_gt_i32_e64 s10, 0, v6
	v_xor_b32_e32 v2, s11, v2
	v_not_b32_e32 v6, v3
	ds_store_2addr_b64 v13, v[9:10], v[11:12] offset0:1 offset1:2
	ds_store_2addr_b64 v15, v[9:10], v[11:12] offset0:2 offset1:3
	v_and_b32_e32 v0, v0, v1
	v_ashrrev_i32_e32 v1, 31, v4
	v_ashrrev_i32_e32 v4, 31, v5
	v_lshlrev_b32_e32 v5, 24, v21
	s_waitcnt lgkmcnt(0)
	v_and_b32_e32 v0, v0, v2
	v_xor_b32_e32 v1, s12, v1
	v_xor_b32_e32 v2, s10, v4
	v_cmp_gt_i32_e64 s10, 0, v3
	v_not_b32_e32 v3, v5
	v_ashrrev_i32_e32 v4, 31, v6
	v_and_b32_e32 v0, v0, v1
	v_cmp_gt_i32_e64 s11, 0, v5
	s_barrier
	v_ashrrev_i32_e32 v1, 31, v3
	v_xor_b32_e32 v3, s10, v4
	v_and_b32_e32 v0, v0, v2
	buffer_gl0_inv
	v_xor_b32_e32 v1, s11, v1
	; wave barrier
	v_and_b32_e32 v0, v0, v3
	s_delay_alu instid0(VALU_DEP_1) | instskip(SKIP_1) | instid1(VALU_DEP_2)
	v_and_b32_e32 v0, v0, v1
	v_and_b32_e32 v1, 0xff, v21
	v_mbcnt_lo_u32_b32 v22, v0, 0
	s_delay_alu instid0(VALU_DEP_2) | instskip(SKIP_1) | instid1(VALU_DEP_3)
	v_lshl_add_u32 v1, v1, 1, v18
	v_cmp_ne_u32_e64 s11, 0, v0
	v_cmp_eq_u32_e64 s10, 0, v22
	s_delay_alu instid0(VALU_DEP_3) | instskip(NEXT) | instid1(VALU_DEP_2)
	v_lshl_add_u32 v23, v1, 2, 8
	s_and_b32 s11, s11, s10
	s_delay_alu instid0(SALU_CYCLE_1)
	s_and_saveexec_b32 s10, s11
	s_cbranch_execz .LBB241_4
; %bb.3:                                ;   in Loop: Header=BB241_2 Depth=1
	v_bcnt_u32_b32 v0, v0, 0
	ds_store_b32 v23, v0
.LBB241_4:                              ;   in Loop: Header=BB241_2 Depth=1
	s_or_b32 exec_lo, exec_lo, s10
	; wave barrier
	s_waitcnt lgkmcnt(0)
	s_barrier
	buffer_gl0_inv
	ds_load_2addr_b64 v[4:7], v13 offset0:1 offset1:2
	ds_load_2addr_b64 v[0:3], v15 offset0:2 offset1:3
	s_waitcnt lgkmcnt(1)
	v_add_nc_u32_e32 v24, v5, v4
	s_delay_alu instid0(VALU_DEP_1) | instskip(SKIP_1) | instid1(VALU_DEP_1)
	v_add3_u32 v24, v24, v6, v7
	s_waitcnt lgkmcnt(0)
	v_add3_u32 v24, v24, v0, v1
	s_delay_alu instid0(VALU_DEP_1) | instskip(NEXT) | instid1(VALU_DEP_1)
	v_add3_u32 v3, v24, v2, v3
	v_mov_b32_dpp v24, v3 row_shr:1 row_mask:0xf bank_mask:0xf
	s_delay_alu instid0(VALU_DEP_1) | instskip(NEXT) | instid1(VALU_DEP_1)
	v_cndmask_b32_e64 v24, v24, 0, s0
	v_add_nc_u32_e32 v3, v24, v3
	s_delay_alu instid0(VALU_DEP_1) | instskip(NEXT) | instid1(VALU_DEP_1)
	v_mov_b32_dpp v24, v3 row_shr:2 row_mask:0xf bank_mask:0xf
	v_cndmask_b32_e64 v24, 0, v24, s1
	s_delay_alu instid0(VALU_DEP_1) | instskip(NEXT) | instid1(VALU_DEP_1)
	v_add_nc_u32_e32 v3, v3, v24
	v_mov_b32_dpp v24, v3 row_shr:4 row_mask:0xf bank_mask:0xf
	s_delay_alu instid0(VALU_DEP_1) | instskip(NEXT) | instid1(VALU_DEP_1)
	v_cndmask_b32_e64 v24, 0, v24, s2
	v_add_nc_u32_e32 v3, v3, v24
	s_delay_alu instid0(VALU_DEP_1) | instskip(NEXT) | instid1(VALU_DEP_1)
	v_mov_b32_dpp v24, v3 row_shr:8 row_mask:0xf bank_mask:0xf
	v_cndmask_b32_e64 v24, 0, v24, s3
	s_delay_alu instid0(VALU_DEP_1) | instskip(SKIP_3) | instid1(VALU_DEP_1)
	v_add_nc_u32_e32 v3, v3, v24
	ds_swizzle_b32 v24, v3 offset:swizzle(BROADCAST,32,15)
	s_waitcnt lgkmcnt(0)
	v_cndmask_b32_e64 v24, v24, 0, s4
	v_add_nc_u32_e32 v3, v3, v24
	s_and_saveexec_b32 s10, s9
	s_cbranch_execz .LBB241_6
; %bb.5:                                ;   in Loop: Header=BB241_2 Depth=1
	ds_store_b32 v14, v3
.LBB241_6:                              ;   in Loop: Header=BB241_2 Depth=1
	s_or_b32 exec_lo, exec_lo, s10
	s_waitcnt lgkmcnt(0)
	s_barrier
	buffer_gl0_inv
	s_and_saveexec_b32 s10, s5
	s_cbranch_execz .LBB241_8
; %bb.7:                                ;   in Loop: Header=BB241_2 Depth=1
	ds_load_b32 v24, v19
	s_waitcnt lgkmcnt(0)
	v_mov_b32_dpp v25, v24 row_shr:1 row_mask:0xf bank_mask:0xf
	s_delay_alu instid0(VALU_DEP_1) | instskip(NEXT) | instid1(VALU_DEP_1)
	v_cndmask_b32_e64 v25, v25, 0, s8
	v_add_nc_u32_e32 v24, v25, v24
	ds_store_b32 v19, v24
.LBB241_8:                              ;   in Loop: Header=BB241_2 Depth=1
	s_or_b32 exec_lo, exec_lo, s10
	v_mov_b32_e32 v24, 0
	s_waitcnt lgkmcnt(0)
	s_barrier
	buffer_gl0_inv
	s_and_saveexec_b32 s10, s6
	s_cbranch_execz .LBB241_1
; %bb.9:                                ;   in Loop: Header=BB241_2 Depth=1
	ds_load_b32 v24, v17
	s_branch .LBB241_1
.LBB241_10:
	s_waitcnt lgkmcnt(0)
	v_add_nc_u16 v0, v20, v21
	s_add_u32 s0, s18, s13
	s_addc_u32 s1, s19, 0
	s_delay_alu instid0(VALU_DEP_1) | instskip(SKIP_1) | instid1(VALU_DEP_1)
	v_add_nc_u16 v2, v0, 0xff80
	v_add_co_u32 v0, s0, s0, v8
	v_add_co_ci_u32_e64 v1, null, s1, 0, s0
	global_store_b8 v[0:1], v2, off
	s_nop 0
	s_sendmsg sendmsg(MSG_DEALLOC_VGPRS)
	s_endpgm
	.section	.rodata,"a",@progbits
	.p2align	6, 0x0
	.amdhsa_kernel _Z17sort_pairs_kernelI22helper_blocked_stripedaLj64ELj1ELj10EEvPKT0_PS1_
		.amdhsa_group_segment_fixed_size 2064
		.amdhsa_private_segment_fixed_size 0
		.amdhsa_kernarg_size 272
		.amdhsa_user_sgpr_count 15
		.amdhsa_user_sgpr_dispatch_ptr 0
		.amdhsa_user_sgpr_queue_ptr 0
		.amdhsa_user_sgpr_kernarg_segment_ptr 1
		.amdhsa_user_sgpr_dispatch_id 0
		.amdhsa_user_sgpr_private_segment_size 0
		.amdhsa_wavefront_size32 1
		.amdhsa_uses_dynamic_stack 0
		.amdhsa_enable_private_segment 0
		.amdhsa_system_sgpr_workgroup_id_x 1
		.amdhsa_system_sgpr_workgroup_id_y 0
		.amdhsa_system_sgpr_workgroup_id_z 0
		.amdhsa_system_sgpr_workgroup_info 0
		.amdhsa_system_vgpr_workitem_id 2
		.amdhsa_next_free_vgpr 26
		.amdhsa_next_free_sgpr 20
		.amdhsa_reserve_vcc 1
		.amdhsa_float_round_mode_32 0
		.amdhsa_float_round_mode_16_64 0
		.amdhsa_float_denorm_mode_32 3
		.amdhsa_float_denorm_mode_16_64 3
		.amdhsa_dx10_clamp 1
		.amdhsa_ieee_mode 1
		.amdhsa_fp16_overflow 0
		.amdhsa_workgroup_processor_mode 1
		.amdhsa_memory_ordered 1
		.amdhsa_forward_progress 0
		.amdhsa_shared_vgpr_count 0
		.amdhsa_exception_fp_ieee_invalid_op 0
		.amdhsa_exception_fp_denorm_src 0
		.amdhsa_exception_fp_ieee_div_zero 0
		.amdhsa_exception_fp_ieee_overflow 0
		.amdhsa_exception_fp_ieee_underflow 0
		.amdhsa_exception_fp_ieee_inexact 0
		.amdhsa_exception_int_div_zero 0
	.end_amdhsa_kernel
	.section	.text._Z17sort_pairs_kernelI22helper_blocked_stripedaLj64ELj1ELj10EEvPKT0_PS1_,"axG",@progbits,_Z17sort_pairs_kernelI22helper_blocked_stripedaLj64ELj1ELj10EEvPKT0_PS1_,comdat
.Lfunc_end241:
	.size	_Z17sort_pairs_kernelI22helper_blocked_stripedaLj64ELj1ELj10EEvPKT0_PS1_, .Lfunc_end241-_Z17sort_pairs_kernelI22helper_blocked_stripedaLj64ELj1ELj10EEvPKT0_PS1_
                                        ; -- End function
	.section	.AMDGPU.csdata,"",@progbits
; Kernel info:
; codeLenInByte = 1340
; NumSgprs: 22
; NumVgprs: 26
; ScratchSize: 0
; MemoryBound: 0
; FloatMode: 240
; IeeeMode: 1
; LDSByteSize: 2064 bytes/workgroup (compile time only)
; SGPRBlocks: 2
; VGPRBlocks: 3
; NumSGPRsForWavesPerEU: 22
; NumVGPRsForWavesPerEU: 26
; Occupancy: 16
; WaveLimiterHint : 0
; COMPUTE_PGM_RSRC2:SCRATCH_EN: 0
; COMPUTE_PGM_RSRC2:USER_SGPR: 15
; COMPUTE_PGM_RSRC2:TRAP_HANDLER: 0
; COMPUTE_PGM_RSRC2:TGID_X_EN: 1
; COMPUTE_PGM_RSRC2:TGID_Y_EN: 0
; COMPUTE_PGM_RSRC2:TGID_Z_EN: 0
; COMPUTE_PGM_RSRC2:TIDIG_COMP_CNT: 2
	.section	.text._Z16sort_keys_kernelI22helper_blocked_stripedaLj64ELj3ELj10EEvPKT0_PS1_,"axG",@progbits,_Z16sort_keys_kernelI22helper_blocked_stripedaLj64ELj3ELj10EEvPKT0_PS1_,comdat
	.protected	_Z16sort_keys_kernelI22helper_blocked_stripedaLj64ELj3ELj10EEvPKT0_PS1_ ; -- Begin function _Z16sort_keys_kernelI22helper_blocked_stripedaLj64ELj3ELj10EEvPKT0_PS1_
	.globl	_Z16sort_keys_kernelI22helper_blocked_stripedaLj64ELj3ELj10EEvPKT0_PS1_
	.p2align	8
	.type	_Z16sort_keys_kernelI22helper_blocked_stripedaLj64ELj3ELj10EEvPKT0_PS1_,@function
_Z16sort_keys_kernelI22helper_blocked_stripedaLj64ELj3ELj10EEvPKT0_PS1_: ; @_Z16sort_keys_kernelI22helper_blocked_stripedaLj64ELj3ELj10EEvPKT0_PS1_
; %bb.0:
	s_clause 0x1
	s_load_b128 s[16:19], s[0:1], 0x0
	s_load_b32 s9, s[0:1], 0x1c
	v_and_b32_e32 v8, 0x3ff, v0
	s_mul_i32 s12, s15, 0xc0
	v_mbcnt_lo_u32_b32 v4, -1, 0
	v_bfe_u32 v6, v0, 10, 10
	v_bfe_u32 v0, v0, 20, 10
	v_mul_u32_u24_e32 v2, 3, v8
	s_mov_b32 s13, 10
	v_and_b32_e32 v14, 16, v4
	v_add_nc_u32_e32 v15, -1, v4
	v_mul_u32_u24_e32 v5, 3, v4
	v_and_b32_e32 v16, 1, v4
	v_cmp_eq_u32_e32 vcc_lo, 0, v4
	v_cmp_eq_u32_e64 s4, 0, v14
	v_cmp_gt_i32_e64 s7, 0, v15
	v_and_b32_e32 v7, 15, v4
	v_cmp_eq_u32_e64 s8, 0, v16
	s_waitcnt lgkmcnt(0)
	s_add_u32 s0, s16, s12
	s_addc_u32 s1, s17, 0
	s_clause 0x1
	global_load_u16 v1, v2, s[0:1]
	global_load_u8 v3, v2, s[0:1] offset:2
	s_mov_b32 s0, 0
	v_cndmask_b32_e64 v18, v15, v4, s7
	s_mov_b32 s1, s0
	s_lshr_b32 s10, s9, 16
	s_mov_b32 s2, s0
	s_mov_b32 s3, s0
	v_dual_mov_b32 v10, s1 :: v_dual_mov_b32 v9, s0
	v_mad_u32_u24 v6, v0, s10, v6
	v_mov_b32_e32 v12, s3
	v_lshrrev_b32_e32 v17, 5, v8
	s_and_b32 s9, s9, 0xffff
	v_mov_b32_e32 v11, s2
	v_lshlrev_b32_e32 v13, 5, v8
	v_cmp_eq_u32_e64 s0, 0, v7
	v_cmp_lt_u32_e64 s1, 1, v7
	v_cmp_lt_u32_e64 s2, 3, v7
	;; [unrolled: 1-line block ×3, first 2 shown]
	v_or_b32_e32 v7, 31, v8
	v_mul_u32_u24_e32 v19, 0x60, v17
	v_cmp_gt_u32_e64 s5, 2, v8
	v_cmp_lt_u32_e64 s6, 31, v8
	v_cmp_eq_u32_e64 s7, 0, v8
	v_lshlrev_b32_e32 v16, 2, v18
	v_add_nc_u32_e32 v21, v8, v2
	s_waitcnt vmcnt(1)
	v_lshrrev_b32_e32 v14, 8, v1
	v_and_b32_e32 v1, 0xff, v1
	s_delay_alu instid0(VALU_DEP_2) | instskip(SKIP_1) | instid1(VALU_DEP_2)
	v_lshlrev_b16 v15, 8, v14
	v_or_b32_e32 v14, 8, v13
	v_or_b32_e32 v20, v1, v15
	v_mad_u64_u32 v[0:1], null, v6, s9, v[8:9]
	v_lshlrev_b32_e32 v15, 2, v17
	v_cmp_eq_u32_e64 s9, v7, v8
	s_delay_alu instid0(VALU_DEP_4)
	v_and_b32_e32 v1, 0xffff, v20
	v_or_b32_e32 v17, v4, v19
	v_add_nc_u32_e32 v19, v5, v19
	v_add_nc_u32_e32 v18, -4, v15
	v_lshrrev_b32_e32 v20, 5, v0
	s_waitcnt vmcnt(0)
	v_lshl_or_b32 v3, v3, 16, v1
	s_branch .LBB242_2
.LBB242_1:                              ;   in Loop: Header=BB242_2 Depth=1
	s_or_b32 exec_lo, exec_lo, s10
	s_waitcnt lgkmcnt(0)
	v_add_nc_u32_e32 v3, v33, v3
	s_add_i32 s13, s13, -1
	s_delay_alu instid0(SALU_CYCLE_1) | instskip(SKIP_3) | instid1(VALU_DEP_1)
	s_cmp_eq_u32 s13, 0
	ds_bpermute_b32 v3, v16, v3
	s_waitcnt lgkmcnt(0)
	v_cndmask_b32_e32 v3, v3, v33, vcc_lo
	v_cndmask_b32_e64 v3, v3, 0, s7
	s_delay_alu instid0(VALU_DEP_1) | instskip(NEXT) | instid1(VALU_DEP_1)
	v_add_nc_u32_e32 v4, v3, v4
	v_add_nc_u32_e32 v5, v4, v5
	s_delay_alu instid0(VALU_DEP_1) | instskip(NEXT) | instid1(VALU_DEP_1)
	v_add_nc_u32_e32 v6, v5, v6
	v_add_nc_u32_e32 v33, v6, v7
	;; [unrolled: 3-line block ×3, first 2 shown]
	s_delay_alu instid0(VALU_DEP_1)
	v_add_nc_u32_e32 v1, v0, v2
	ds_store_2addr_b64 v13, v[3:4], v[5:6] offset0:1 offset1:2
	ds_store_2addr_b64 v14, v[33:34], v[0:1] offset0:2 offset1:3
	s_waitcnt lgkmcnt(0)
	s_barrier
	buffer_gl0_inv
	ds_load_b32 v0, v26
	ds_load_b32 v1, v29
	;; [unrolled: 1-line block ×3, first 2 shown]
	s_waitcnt lgkmcnt(0)
	s_barrier
	buffer_gl0_inv
	v_add_nc_u32_e32 v0, v0, v25
	v_add3_u32 v1, v28, v27, v1
	v_add3_u32 v2, v31, v30, v2
	ds_store_b8 v0, v22
	ds_store_b8 v1, v23
	;; [unrolled: 1-line block ×3, first 2 shown]
	s_waitcnt lgkmcnt(0)
	s_barrier
	buffer_gl0_inv
	ds_load_u8 v0, v8 offset:64
	ds_load_u8 v1, v8
	ds_load_u8 v3, v8 offset:128
	s_waitcnt lgkmcnt(2)
	v_xor_b32_e32 v0, 0xffffff80, v0
	s_waitcnt lgkmcnt(1)
	v_xor_b32_e32 v2, 0xffffff80, v1
	;; [unrolled: 2-line block ×3, first 2 shown]
	v_lshlrev_b16 v3, 8, v0
	s_delay_alu instid0(VALU_DEP_3) | instskip(NEXT) | instid1(VALU_DEP_3)
	v_and_b32_e32 v4, 0xff, v2
	v_and_b32_e32 v5, 0xff, v1
	s_delay_alu instid0(VALU_DEP_2) | instskip(NEXT) | instid1(VALU_DEP_2)
	v_or_b32_e32 v3, v4, v3
	v_lshlrev_b32_e32 v4, 16, v5
	s_delay_alu instid0(VALU_DEP_2) | instskip(NEXT) | instid1(VALU_DEP_1)
	v_and_b32_e32 v3, 0xffff, v3
	v_or_b32_e32 v3, v3, v4
	s_cbranch_scc1 .LBB242_14
.LBB242_2:                              ; =>This Inner Loop Header: Depth=1
	s_delay_alu instid0(VALU_DEP_1) | instskip(SKIP_2) | instid1(VALU_DEP_3)
	v_lshrrev_b32_e32 v0, 8, v3
	v_lshrrev_b32_e32 v1, 16, v3
	v_xor_b32_e32 v2, 0x80, v3
	v_xor_b32_e32 v0, 0x80, v0
	s_delay_alu instid0(VALU_DEP_3)
	v_xor_b32_e32 v1, 0x80, v1
	ds_store_b8 v19, v2
	ds_store_b8 v19, v0 offset:1
	ds_store_b8 v19, v1 offset:2
	; wave barrier
	ds_load_u8 v22, v17
	ds_load_u8 v23, v17 offset:32
	ds_load_u8 v24, v17 offset:64
	; wave barrier
	; wave barrier
	s_waitcnt lgkmcnt(0)
	s_barrier
	buffer_gl0_inv
	ds_store_2addr_b64 v13, v[9:10], v[11:12] offset0:1 offset1:2
	ds_store_2addr_b64 v14, v[9:10], v[11:12] offset0:2 offset1:3
	s_waitcnt lgkmcnt(0)
	s_barrier
	buffer_gl0_inv
	; wave barrier
	v_and_b32_e32 v0, 1, v22
	v_lshlrev_b32_e32 v1, 30, v22
	v_lshlrev_b32_e32 v2, 29, v22
	v_lshlrev_b32_e32 v3, 28, v22
	v_lshlrev_b32_e32 v5, 27, v22
	v_add_co_u32 v0, s10, v0, -1
	s_delay_alu instid0(VALU_DEP_1)
	v_cndmask_b32_e64 v4, 0, 1, s10
	v_not_b32_e32 v25, v1
	v_cmp_gt_i32_e64 s11, 0, v1
	v_not_b32_e32 v1, v2
	v_lshlrev_b32_e32 v6, 26, v22
	v_cmp_ne_u32_e64 s10, 0, v4
	v_ashrrev_i32_e32 v25, 31, v25
	v_lshlrev_b32_e32 v7, 25, v22
	v_ashrrev_i32_e32 v1, 31, v1
	v_lshlrev_b32_e32 v4, 24, v22
	v_xor_b32_e32 v0, s10, v0
	v_cmp_gt_i32_e64 s10, 0, v2
	v_not_b32_e32 v2, v3
	v_xor_b32_e32 v25, s11, v25
	v_cmp_gt_i32_e64 s11, 0, v3
	v_and_b32_e32 v0, exec_lo, v0
	v_not_b32_e32 v3, v5
	v_ashrrev_i32_e32 v2, 31, v2
	v_xor_b32_e32 v1, s10, v1
	v_cmp_gt_i32_e64 s10, 0, v5
	v_and_b32_e32 v0, v0, v25
	v_not_b32_e32 v5, v6
	v_ashrrev_i32_e32 v3, 31, v3
	v_xor_b32_e32 v2, s11, v2
	v_cmp_gt_i32_e64 s11, 0, v6
	v_and_b32_e32 v0, v0, v1
	;; [unrolled: 5-line block ×4, first 2 shown]
	v_ashrrev_i32_e32 v2, 31, v2
	v_xor_b32_e32 v1, s10, v1
	s_delay_alu instid0(VALU_DEP_3) | instskip(NEXT) | instid1(VALU_DEP_3)
	v_and_b32_e32 v0, v0, v5
	v_xor_b32_e32 v2, s11, v2
	s_delay_alu instid0(VALU_DEP_2) | instskip(SKIP_1) | instid1(VALU_DEP_2)
	v_and_b32_e32 v0, v0, v1
	v_and_b32_e32 v1, 0xff, v22
	;; [unrolled: 1-line block ×3, first 2 shown]
	s_delay_alu instid0(VALU_DEP_2) | instskip(NEXT) | instid1(VALU_DEP_2)
	v_lshl_add_u32 v1, v1, 1, v20
	v_mbcnt_lo_u32_b32 v25, v0, 0
	v_cmp_ne_u32_e64 s11, 0, v0
	s_delay_alu instid0(VALU_DEP_3) | instskip(NEXT) | instid1(VALU_DEP_3)
	v_lshl_add_u32 v26, v1, 2, 8
	v_cmp_eq_u32_e64 s10, 0, v25
	s_delay_alu instid0(VALU_DEP_1) | instskip(NEXT) | instid1(SALU_CYCLE_1)
	s_and_b32 s11, s11, s10
	s_and_saveexec_b32 s10, s11
	s_cbranch_execz .LBB242_4
; %bb.3:                                ;   in Loop: Header=BB242_2 Depth=1
	v_bcnt_u32_b32 v0, v0, 0
	ds_store_b32 v26, v0
.LBB242_4:                              ;   in Loop: Header=BB242_2 Depth=1
	s_or_b32 exec_lo, exec_lo, s10
	v_and_b32_e32 v0, 1, v23
	v_lshlrev_b32_e32 v2, 30, v23
	v_lshlrev_b32_e32 v4, 29, v23
	;; [unrolled: 1-line block ×4, first 2 shown]
	v_add_co_u32 v0, s10, v0, -1
	s_delay_alu instid0(VALU_DEP_1)
	v_cndmask_b32_e64 v3, 0, 1, s10
	v_not_b32_e32 v7, v2
	v_cmp_gt_i32_e64 s11, 0, v2
	v_not_b32_e32 v2, v4
	v_and_b32_e32 v1, 0xff, v23
	v_cmp_ne_u32_e64 s10, 0, v3
	v_ashrrev_i32_e32 v7, 31, v7
	v_lshlrev_b32_e32 v3, 26, v23
	v_ashrrev_i32_e32 v2, 31, v2
	v_lshlrev_b32_e32 v1, 1, v1
	v_xor_b32_e32 v0, s10, v0
	v_cmp_gt_i32_e64 s10, 0, v4
	v_not_b32_e32 v4, v5
	v_xor_b32_e32 v7, s11, v7
	v_cmp_gt_i32_e64 s11, 0, v5
	v_and_b32_e32 v0, exec_lo, v0
	v_not_b32_e32 v5, v6
	v_ashrrev_i32_e32 v4, 31, v4
	v_xor_b32_e32 v2, s10, v2
	v_cmp_gt_i32_e64 s10, 0, v6
	v_and_b32_e32 v0, v0, v7
	v_lshlrev_b32_e32 v7, 25, v23
	v_ashrrev_i32_e32 v5, 31, v5
	v_xor_b32_e32 v4, s11, v4
	v_not_b32_e32 v6, v3
	v_and_b32_e32 v0, v0, v2
	v_lshlrev_b32_e32 v2, 24, v23
	v_not_b32_e32 v27, v7
	v_xor_b32_e32 v5, s10, v5
	v_cmp_gt_i32_e64 s10, 0, v3
	v_and_b32_e32 v0, v0, v4
	v_ashrrev_i32_e32 v3, 31, v6
	v_cmp_gt_i32_e64 s11, 0, v7
	v_ashrrev_i32_e32 v4, 31, v27
	v_add_lshl_u32 v1, v20, v1, 2
	v_and_b32_e32 v0, v0, v5
	v_not_b32_e32 v5, v2
	v_xor_b32_e32 v3, s10, v3
	v_xor_b32_e32 v4, s11, v4
	v_cmp_gt_i32_e64 s10, 0, v2
	s_delay_alu instid0(VALU_DEP_4) | instskip(NEXT) | instid1(VALU_DEP_4)
	v_ashrrev_i32_e32 v2, 31, v5
	v_and_b32_e32 v0, v0, v3
	; wave barrier
	ds_load_b32 v27, v1 offset:8
	v_add_nc_u32_e32 v29, 8, v1
	v_xor_b32_e32 v2, s10, v2
	v_and_b32_e32 v0, v0, v4
	; wave barrier
	s_delay_alu instid0(VALU_DEP_1) | instskip(NEXT) | instid1(VALU_DEP_1)
	v_and_b32_e32 v0, v0, v2
	v_mbcnt_lo_u32_b32 v28, v0, 0
	v_cmp_ne_u32_e64 s11, 0, v0
	s_delay_alu instid0(VALU_DEP_2) | instskip(NEXT) | instid1(VALU_DEP_1)
	v_cmp_eq_u32_e64 s10, 0, v28
	s_and_b32 s11, s11, s10
	s_delay_alu instid0(SALU_CYCLE_1)
	s_and_saveexec_b32 s10, s11
	s_cbranch_execz .LBB242_6
; %bb.5:                                ;   in Loop: Header=BB242_2 Depth=1
	s_waitcnt lgkmcnt(0)
	v_bcnt_u32_b32 v0, v0, v27
	ds_store_b32 v29, v0
.LBB242_6:                              ;   in Loop: Header=BB242_2 Depth=1
	s_or_b32 exec_lo, exec_lo, s10
	v_and_b32_e32 v0, 1, v24
	v_lshlrev_b32_e32 v2, 30, v24
	v_lshlrev_b32_e32 v4, 29, v24
	;; [unrolled: 1-line block ×4, first 2 shown]
	v_add_co_u32 v0, s10, v0, -1
	s_delay_alu instid0(VALU_DEP_1)
	v_cndmask_b32_e64 v3, 0, 1, s10
	v_not_b32_e32 v7, v2
	v_cmp_gt_i32_e64 s11, 0, v2
	v_not_b32_e32 v2, v4
	v_and_b32_e32 v1, 0xff, v24
	v_cmp_ne_u32_e64 s10, 0, v3
	v_ashrrev_i32_e32 v7, 31, v7
	v_lshlrev_b32_e32 v3, 26, v24
	v_ashrrev_i32_e32 v2, 31, v2
	v_lshlrev_b32_e32 v1, 1, v1
	v_xor_b32_e32 v0, s10, v0
	v_cmp_gt_i32_e64 s10, 0, v4
	v_not_b32_e32 v4, v5
	v_xor_b32_e32 v7, s11, v7
	v_cmp_gt_i32_e64 s11, 0, v5
	v_and_b32_e32 v0, exec_lo, v0
	v_not_b32_e32 v5, v6
	v_ashrrev_i32_e32 v4, 31, v4
	v_xor_b32_e32 v2, s10, v2
	v_cmp_gt_i32_e64 s10, 0, v6
	v_and_b32_e32 v0, v0, v7
	v_lshlrev_b32_e32 v7, 25, v24
	v_ashrrev_i32_e32 v5, 31, v5
	v_xor_b32_e32 v4, s11, v4
	v_not_b32_e32 v6, v3
	v_and_b32_e32 v0, v0, v2
	v_lshlrev_b32_e32 v2, 24, v24
	v_not_b32_e32 v30, v7
	v_xor_b32_e32 v5, s10, v5
	v_cmp_gt_i32_e64 s10, 0, v3
	v_and_b32_e32 v0, v0, v4
	v_ashrrev_i32_e32 v3, 31, v6
	v_cmp_gt_i32_e64 s11, 0, v7
	v_ashrrev_i32_e32 v4, 31, v30
	v_add_lshl_u32 v1, v20, v1, 2
	v_and_b32_e32 v0, v0, v5
	v_not_b32_e32 v5, v2
	v_xor_b32_e32 v3, s10, v3
	v_xor_b32_e32 v4, s11, v4
	v_cmp_gt_i32_e64 s10, 0, v2
	s_delay_alu instid0(VALU_DEP_4) | instskip(NEXT) | instid1(VALU_DEP_4)
	v_ashrrev_i32_e32 v2, 31, v5
	v_and_b32_e32 v0, v0, v3
	; wave barrier
	ds_load_b32 v30, v1 offset:8
	v_add_nc_u32_e32 v32, 8, v1
	v_xor_b32_e32 v2, s10, v2
	v_and_b32_e32 v0, v0, v4
	; wave barrier
	s_delay_alu instid0(VALU_DEP_1) | instskip(NEXT) | instid1(VALU_DEP_1)
	v_and_b32_e32 v0, v0, v2
	v_mbcnt_lo_u32_b32 v31, v0, 0
	v_cmp_ne_u32_e64 s11, 0, v0
	s_delay_alu instid0(VALU_DEP_2) | instskip(NEXT) | instid1(VALU_DEP_1)
	v_cmp_eq_u32_e64 s10, 0, v31
	s_and_b32 s11, s11, s10
	s_delay_alu instid0(SALU_CYCLE_1)
	s_and_saveexec_b32 s10, s11
	s_cbranch_execz .LBB242_8
; %bb.7:                                ;   in Loop: Header=BB242_2 Depth=1
	s_waitcnt lgkmcnt(0)
	v_bcnt_u32_b32 v0, v0, v30
	ds_store_b32 v32, v0
.LBB242_8:                              ;   in Loop: Header=BB242_2 Depth=1
	s_or_b32 exec_lo, exec_lo, s10
	; wave barrier
	s_waitcnt lgkmcnt(0)
	s_barrier
	buffer_gl0_inv
	ds_load_2addr_b64 v[4:7], v13 offset0:1 offset1:2
	ds_load_2addr_b64 v[0:3], v14 offset0:2 offset1:3
	s_waitcnt lgkmcnt(1)
	v_add_nc_u32_e32 v33, v5, v4
	s_delay_alu instid0(VALU_DEP_1) | instskip(SKIP_1) | instid1(VALU_DEP_1)
	v_add3_u32 v33, v33, v6, v7
	s_waitcnt lgkmcnt(0)
	v_add3_u32 v33, v33, v0, v1
	s_delay_alu instid0(VALU_DEP_1) | instskip(NEXT) | instid1(VALU_DEP_1)
	v_add3_u32 v3, v33, v2, v3
	v_mov_b32_dpp v33, v3 row_shr:1 row_mask:0xf bank_mask:0xf
	s_delay_alu instid0(VALU_DEP_1) | instskip(NEXT) | instid1(VALU_DEP_1)
	v_cndmask_b32_e64 v33, v33, 0, s0
	v_add_nc_u32_e32 v3, v33, v3
	s_delay_alu instid0(VALU_DEP_1) | instskip(NEXT) | instid1(VALU_DEP_1)
	v_mov_b32_dpp v33, v3 row_shr:2 row_mask:0xf bank_mask:0xf
	v_cndmask_b32_e64 v33, 0, v33, s1
	s_delay_alu instid0(VALU_DEP_1) | instskip(NEXT) | instid1(VALU_DEP_1)
	v_add_nc_u32_e32 v3, v3, v33
	v_mov_b32_dpp v33, v3 row_shr:4 row_mask:0xf bank_mask:0xf
	s_delay_alu instid0(VALU_DEP_1) | instskip(NEXT) | instid1(VALU_DEP_1)
	v_cndmask_b32_e64 v33, 0, v33, s2
	v_add_nc_u32_e32 v3, v3, v33
	s_delay_alu instid0(VALU_DEP_1) | instskip(NEXT) | instid1(VALU_DEP_1)
	v_mov_b32_dpp v33, v3 row_shr:8 row_mask:0xf bank_mask:0xf
	v_cndmask_b32_e64 v33, 0, v33, s3
	s_delay_alu instid0(VALU_DEP_1) | instskip(SKIP_3) | instid1(VALU_DEP_1)
	v_add_nc_u32_e32 v3, v3, v33
	ds_swizzle_b32 v33, v3 offset:swizzle(BROADCAST,32,15)
	s_waitcnt lgkmcnt(0)
	v_cndmask_b32_e64 v33, v33, 0, s4
	v_add_nc_u32_e32 v3, v3, v33
	s_and_saveexec_b32 s10, s9
	s_cbranch_execz .LBB242_10
; %bb.9:                                ;   in Loop: Header=BB242_2 Depth=1
	ds_store_b32 v15, v3
.LBB242_10:                             ;   in Loop: Header=BB242_2 Depth=1
	s_or_b32 exec_lo, exec_lo, s10
	s_waitcnt lgkmcnt(0)
	s_barrier
	buffer_gl0_inv
	s_and_saveexec_b32 s10, s5
	s_cbranch_execz .LBB242_12
; %bb.11:                               ;   in Loop: Header=BB242_2 Depth=1
	ds_load_b32 v33, v21
	s_waitcnt lgkmcnt(0)
	v_mov_b32_dpp v34, v33 row_shr:1 row_mask:0xf bank_mask:0xf
	s_delay_alu instid0(VALU_DEP_1) | instskip(NEXT) | instid1(VALU_DEP_1)
	v_cndmask_b32_e64 v34, v34, 0, s8
	v_add_nc_u32_e32 v33, v34, v33
	ds_store_b32 v21, v33
.LBB242_12:                             ;   in Loop: Header=BB242_2 Depth=1
	s_or_b32 exec_lo, exec_lo, s10
	v_mov_b32_e32 v33, 0
	s_waitcnt lgkmcnt(0)
	s_barrier
	buffer_gl0_inv
	s_and_saveexec_b32 s10, s6
	s_cbranch_execz .LBB242_1
; %bb.13:                               ;   in Loop: Header=BB242_2 Depth=1
	ds_load_b32 v33, v18
	s_branch .LBB242_1
.LBB242_14:
	s_add_u32 s0, s18, s12
	s_addc_u32 s1, s19, 0
	s_clause 0x2
	global_store_b8 v8, v2, s[0:1]
	global_store_b8 v8, v0, s[0:1] offset:64
	global_store_b8 v8, v1, s[0:1] offset:128
	s_nop 0
	s_sendmsg sendmsg(MSG_DEALLOC_VGPRS)
	s_endpgm
	.section	.rodata,"a",@progbits
	.p2align	6, 0x0
	.amdhsa_kernel _Z16sort_keys_kernelI22helper_blocked_stripedaLj64ELj3ELj10EEvPKT0_PS1_
		.amdhsa_group_segment_fixed_size 2064
		.amdhsa_private_segment_fixed_size 0
		.amdhsa_kernarg_size 272
		.amdhsa_user_sgpr_count 15
		.amdhsa_user_sgpr_dispatch_ptr 0
		.amdhsa_user_sgpr_queue_ptr 0
		.amdhsa_user_sgpr_kernarg_segment_ptr 1
		.amdhsa_user_sgpr_dispatch_id 0
		.amdhsa_user_sgpr_private_segment_size 0
		.amdhsa_wavefront_size32 1
		.amdhsa_uses_dynamic_stack 0
		.amdhsa_enable_private_segment 0
		.amdhsa_system_sgpr_workgroup_id_x 1
		.amdhsa_system_sgpr_workgroup_id_y 0
		.amdhsa_system_sgpr_workgroup_id_z 0
		.amdhsa_system_sgpr_workgroup_info 0
		.amdhsa_system_vgpr_workitem_id 2
		.amdhsa_next_free_vgpr 35
		.amdhsa_next_free_sgpr 20
		.amdhsa_reserve_vcc 1
		.amdhsa_float_round_mode_32 0
		.amdhsa_float_round_mode_16_64 0
		.amdhsa_float_denorm_mode_32 3
		.amdhsa_float_denorm_mode_16_64 3
		.amdhsa_dx10_clamp 1
		.amdhsa_ieee_mode 1
		.amdhsa_fp16_overflow 0
		.amdhsa_workgroup_processor_mode 1
		.amdhsa_memory_ordered 1
		.amdhsa_forward_progress 0
		.amdhsa_shared_vgpr_count 0
		.amdhsa_exception_fp_ieee_invalid_op 0
		.amdhsa_exception_fp_denorm_src 0
		.amdhsa_exception_fp_ieee_div_zero 0
		.amdhsa_exception_fp_ieee_overflow 0
		.amdhsa_exception_fp_ieee_underflow 0
		.amdhsa_exception_fp_ieee_inexact 0
		.amdhsa_exception_int_div_zero 0
	.end_amdhsa_kernel
	.section	.text._Z16sort_keys_kernelI22helper_blocked_stripedaLj64ELj3ELj10EEvPKT0_PS1_,"axG",@progbits,_Z16sort_keys_kernelI22helper_blocked_stripedaLj64ELj3ELj10EEvPKT0_PS1_,comdat
.Lfunc_end242:
	.size	_Z16sort_keys_kernelI22helper_blocked_stripedaLj64ELj3ELj10EEvPKT0_PS1_, .Lfunc_end242-_Z16sort_keys_kernelI22helper_blocked_stripedaLj64ELj3ELj10EEvPKT0_PS1_
                                        ; -- End function
	.section	.AMDGPU.csdata,"",@progbits
; Kernel info:
; codeLenInByte = 2280
; NumSgprs: 22
; NumVgprs: 35
; ScratchSize: 0
; MemoryBound: 0
; FloatMode: 240
; IeeeMode: 1
; LDSByteSize: 2064 bytes/workgroup (compile time only)
; SGPRBlocks: 2
; VGPRBlocks: 4
; NumSGPRsForWavesPerEU: 22
; NumVGPRsForWavesPerEU: 35
; Occupancy: 16
; WaveLimiterHint : 0
; COMPUTE_PGM_RSRC2:SCRATCH_EN: 0
; COMPUTE_PGM_RSRC2:USER_SGPR: 15
; COMPUTE_PGM_RSRC2:TRAP_HANDLER: 0
; COMPUTE_PGM_RSRC2:TGID_X_EN: 1
; COMPUTE_PGM_RSRC2:TGID_Y_EN: 0
; COMPUTE_PGM_RSRC2:TGID_Z_EN: 0
; COMPUTE_PGM_RSRC2:TIDIG_COMP_CNT: 2
	.section	.text._Z17sort_pairs_kernelI22helper_blocked_stripedaLj64ELj3ELj10EEvPKT0_PS1_,"axG",@progbits,_Z17sort_pairs_kernelI22helper_blocked_stripedaLj64ELj3ELj10EEvPKT0_PS1_,comdat
	.protected	_Z17sort_pairs_kernelI22helper_blocked_stripedaLj64ELj3ELj10EEvPKT0_PS1_ ; -- Begin function _Z17sort_pairs_kernelI22helper_blocked_stripedaLj64ELj3ELj10EEvPKT0_PS1_
	.globl	_Z17sort_pairs_kernelI22helper_blocked_stripedaLj64ELj3ELj10EEvPKT0_PS1_
	.p2align	8
	.type	_Z17sort_pairs_kernelI22helper_blocked_stripedaLj64ELj3ELj10EEvPKT0_PS1_,@function
_Z17sort_pairs_kernelI22helper_blocked_stripedaLj64ELj3ELj10EEvPKT0_PS1_: ; @_Z17sort_pairs_kernelI22helper_blocked_stripedaLj64ELj3ELj10EEvPKT0_PS1_
; %bb.0:
	s_clause 0x1
	s_load_b128 s[16:19], s[0:1], 0x0
	s_load_b32 s10, s[0:1], 0x1c
	v_and_b32_e32 v8, 0x3ff, v0
	s_mul_i32 s12, s15, 0xc0
	v_mbcnt_lo_u32_b32 v4, -1, 0
	v_bfe_u32 v6, v0, 10, 10
	v_bfe_u32 v0, v0, 20, 10
	v_mul_u32_u24_e32 v2, 3, v8
	s_mov_b32 s13, 10
	v_and_b32_e32 v16, 1, v4
	v_add_nc_u32_e32 v15, -1, v4
	v_mul_u32_u24_e32 v5, 3, v4
	v_and_b32_e32 v14, 16, v4
	v_cmp_eq_u32_e32 vcc_lo, 0, v4
	v_cmp_eq_u32_e64 s8, 0, v16
	v_cmp_gt_i32_e64 s7, 0, v15
	v_and_b32_e32 v7, 15, v4
	v_cmp_eq_u32_e64 s4, 0, v14
	s_waitcnt lgkmcnt(0)
	s_add_u32 s0, s16, s12
	s_addc_u32 s1, s17, 0
	s_clause 0x1
	global_load_u16 v1, v2, s[0:1]
	global_load_i8 v3, v2, s[0:1] offset:2
	s_mov_b32 s0, 0
	s_lshr_b32 s11, s10, 16
	s_mov_b32 s3, s0
	s_mov_b32 s2, s0
	v_mov_b32_e32 v12, s3
	s_mov_b32 s1, s0
	s_delay_alu instid0(SALU_CYCLE_1)
	v_dual_mov_b32 v11, s2 :: v_dual_mov_b32 v10, s1
	v_mov_b32_e32 v9, s0
	v_cmp_eq_u32_e64 s0, 0, v7
	v_cmp_lt_u32_e64 s1, 1, v7
	v_cmp_lt_u32_e64 s2, 3, v7
	;; [unrolled: 1-line block ×3, first 2 shown]
	v_or_b32_e32 v7, 31, v8
	v_lshrrev_b32_e32 v17, 5, v8
	v_mad_u32_u24 v6, v0, s11, v6
	s_and_b32 s10, s10, 0xffff
	v_lshlrev_b32_e32 v13, 5, v8
	v_cmp_eq_u32_e64 s9, v7, v8
	v_mul_u32_u24_e32 v19, 0x60, v17
	v_lshlrev_b32_e32 v16, 2, v17
	v_cndmask_b32_e64 v15, v15, v4, s7
	v_cmp_gt_u32_e64 s5, 2, v8
	v_cmp_lt_u32_e64 s6, 31, v8
	v_cmp_eq_u32_e64 s7, 0, v8
	v_or_b32_e32 v14, 8, v13
	v_lshlrev_b32_e32 v15, 2, v15
	v_add_nc_u32_e32 v21, v8, v2
	s_waitcnt vmcnt(1)
	v_lshrrev_b32_e32 v7, 8, v1
	v_add_nc_u16 v18, v1, 1
	s_waitcnt vmcnt(0)
	v_add_nc_u16 v20, v3, 1
	s_delay_alu instid0(VALU_DEP_3) | instskip(NEXT) | instid1(VALU_DEP_3)
	v_lshlrev_b16 v7, 8, v7
	v_and_b32_e32 v17, 0xff, v18
	v_and_b32_e32 v18, 0xff, v1
	v_mad_u64_u32 v[0:1], null, v6, s10, v[8:9]
	v_and_b32_e32 v1, 0xff, v3
	s_delay_alu instid0(VALU_DEP_4)
	v_or_b32_e32 v17, v7, v17
	v_and_b32_e32 v3, 0xff, v20
	v_or_b32_e32 v6, v18, v7
	v_add_nc_u32_e32 v18, -4, v16
	v_lshlrev_b32_e32 v1, 16, v1
	v_add_nc_u16 v7, v17, 0x100
	v_or_b32_e32 v17, v4, v19
	v_lshlrev_b32_e32 v3, 16, v3
	v_and_b32_e32 v4, 0xffff, v6
	v_add_nc_u32_e32 v19, v5, v19
	v_and_b32_e32 v6, 0xffff, v7
	v_lshrrev_b32_e32 v20, 5, v0
	s_delay_alu instid0(VALU_DEP_4) | instskip(NEXT) | instid1(VALU_DEP_3)
	v_or_b32_e32 v7, v4, v1
	v_or_b32_e32 v0, v6, v3
	s_branch .LBB243_2
.LBB243_1:                              ;   in Loop: Header=BB243_2 Depth=1
	s_or_b32 exec_lo, exec_lo, s10
	s_waitcnt lgkmcnt(0)
	v_add_nc_u32_e32 v3, v36, v3
	s_add_i32 s13, s13, -1
	s_delay_alu instid0(SALU_CYCLE_1) | instskip(SKIP_3) | instid1(VALU_DEP_1)
	s_cmp_eq_u32 s13, 0
	ds_bpermute_b32 v3, v15, v3
	s_waitcnt lgkmcnt(0)
	v_cndmask_b32_e32 v3, v3, v36, vcc_lo
	v_cndmask_b32_e64 v3, v3, 0, s7
	s_delay_alu instid0(VALU_DEP_1) | instskip(NEXT) | instid1(VALU_DEP_1)
	v_add_nc_u32_e32 v4, v3, v4
	v_add_nc_u32_e32 v5, v4, v5
	s_delay_alu instid0(VALU_DEP_1) | instskip(NEXT) | instid1(VALU_DEP_1)
	v_add_nc_u32_e32 v6, v5, v6
	v_add_nc_u32_e32 v36, v6, v7
	s_delay_alu instid0(VALU_DEP_1) | instskip(NEXT) | instid1(VALU_DEP_1)
	v_add_nc_u32_e32 v37, v36, v0
	v_add_nc_u32_e32 v0, v37, v1
	s_delay_alu instid0(VALU_DEP_1)
	v_add_nc_u32_e32 v1, v0, v2
	ds_store_2addr_b64 v13, v[3:4], v[5:6] offset0:1 offset1:2
	ds_store_2addr_b64 v14, v[36:37], v[0:1] offset0:2 offset1:3
	s_waitcnt lgkmcnt(0)
	s_barrier
	buffer_gl0_inv
	ds_load_b32 v0, v29
	ds_load_b32 v1, v32
	;; [unrolled: 1-line block ×3, first 2 shown]
	s_waitcnt lgkmcnt(0)
	s_barrier
	buffer_gl0_inv
	v_add_nc_u32_e32 v0, v0, v28
	v_add3_u32 v1, v31, v30, v1
	v_add3_u32 v2, v34, v33, v2
	ds_store_b8 v0, v22
	ds_store_b8 v1, v23
	;; [unrolled: 1-line block ×3, first 2 shown]
	s_waitcnt lgkmcnt(0)
	s_barrier
	buffer_gl0_inv
	ds_load_u8 v5, v8
	ds_load_u8 v4, v8 offset:64
	ds_load_u8 v6, v8 offset:128
	s_waitcnt lgkmcnt(0)
	s_barrier
	buffer_gl0_inv
	ds_store_b8 v0, v25
	ds_store_b8 v1, v26
	;; [unrolled: 1-line block ×3, first 2 shown]
	s_waitcnt lgkmcnt(0)
	s_barrier
	buffer_gl0_inv
	ds_load_u8 v1, v8 offset:64
	ds_load_u8 v3, v8
	ds_load_u8 v2, v8 offset:128
	v_xor_b32_e32 v5, 0xffffff80, v5
	v_xor_b32_e32 v4, 0xffffff80, v4
	;; [unrolled: 1-line block ×3, first 2 shown]
	s_delay_alu instid0(VALU_DEP_3) | instskip(NEXT) | instid1(VALU_DEP_3)
	v_and_b32_e32 v22, 0xff, v5
	v_lshlrev_b16 v7, 8, v4
	s_delay_alu instid0(VALU_DEP_3) | instskip(SKIP_2) | instid1(VALU_DEP_3)
	v_and_b32_e32 v23, 0xff, v6
	s_waitcnt lgkmcnt(2)
	v_lshlrev_b16 v0, 8, v1
	v_or_b32_e32 v7, v22, v7
	s_waitcnt lgkmcnt(0)
	v_lshlrev_b32_e32 v22, 16, v2
	s_delay_alu instid0(VALU_DEP_3) | instskip(SKIP_2) | instid1(VALU_DEP_3)
	v_or_b32_e32 v0, v3, v0
	v_lshlrev_b32_e32 v23, 16, v23
	v_and_b32_e32 v7, 0xffff, v7
	v_and_b32_e32 v0, 0xffff, v0
	s_delay_alu instid0(VALU_DEP_2) | instskip(NEXT) | instid1(VALU_DEP_2)
	v_or_b32_e32 v7, v7, v23
	v_or_b32_e32 v0, v0, v22
	s_cbranch_scc1 .LBB243_14
.LBB243_2:                              ; =>This Inner Loop Header: Depth=1
	s_delay_alu instid0(VALU_DEP_2) | instskip(SKIP_2) | instid1(VALU_DEP_3)
	v_lshrrev_b32_e32 v1, 8, v7
	v_lshrrev_b32_e32 v2, 16, v7
	v_xor_b32_e32 v3, 0x80, v7
	v_xor_b32_e32 v1, 0x80, v1
	s_delay_alu instid0(VALU_DEP_3)
	v_xor_b32_e32 v2, 0x80, v2
	ds_store_b8 v19, v3
	ds_store_b8 v19, v1 offset:1
	ds_store_b8 v19, v2 offset:2
	; wave barrier
	ds_load_u8 v22, v17
	v_lshrrev_b32_e32 v1, 8, v0
	ds_load_u8 v23, v17 offset:32
	ds_load_u8 v24, v17 offset:64
	; wave barrier
	ds_store_b8 v19, v0
	ds_store_b8 v19, v1 offset:1
	ds_store_b8_d16_hi v19, v0 offset:2
	; wave barrier
	s_waitcnt lgkmcnt(5)
	v_and_b32_e32 v2, 1, v22
	v_lshlrev_b32_e32 v3, 30, v22
	v_lshlrev_b32_e32 v4, 29, v22
	;; [unrolled: 1-line block ×4, first 2 shown]
	v_add_co_u32 v2, s10, v2, -1
	s_delay_alu instid0(VALU_DEP_1)
	v_cndmask_b32_e64 v6, 0, 1, s10
	v_not_b32_e32 v27, v3
	v_cmp_gt_i32_e64 s11, 0, v3
	v_not_b32_e32 v3, v4
	v_lshlrev_b32_e32 v25, 26, v22
	v_cmp_ne_u32_e64 s10, 0, v6
	v_ashrrev_i32_e32 v27, 31, v27
	v_lshlrev_b32_e32 v26, 25, v22
	v_ashrrev_i32_e32 v3, 31, v3
	v_lshlrev_b32_e32 v6, 24, v22
	v_xor_b32_e32 v2, s10, v2
	v_cmp_gt_i32_e64 s10, 0, v4
	v_not_b32_e32 v4, v5
	v_xor_b32_e32 v27, s11, v27
	v_cmp_gt_i32_e64 s11, 0, v5
	v_and_b32_e32 v2, exec_lo, v2
	v_not_b32_e32 v5, v7
	v_ashrrev_i32_e32 v4, 31, v4
	v_xor_b32_e32 v3, s10, v3
	v_cmp_gt_i32_e64 s10, 0, v7
	v_and_b32_e32 v2, v2, v27
	v_not_b32_e32 v7, v25
	v_ashrrev_i32_e32 v5, 31, v5
	v_xor_b32_e32 v4, s11, v4
	v_cmp_gt_i32_e64 s11, 0, v25
	v_and_b32_e32 v2, v2, v3
	;; [unrolled: 5-line block ×4, first 2 shown]
	v_ashrrev_i32_e32 v4, 31, v4
	v_xor_b32_e32 v3, s10, v3
	ds_load_u8 v25, v17
	ds_load_u8 v26, v17 offset:32
	ds_load_u8 v27, v17 offset:64
	s_waitcnt lgkmcnt(0)
	v_and_b32_e32 v2, v2, v7
	v_xor_b32_e32 v0, s11, v4
	s_barrier
	buffer_gl0_inv
	ds_store_2addr_b64 v13, v[9:10], v[11:12] offset0:1 offset1:2
	ds_store_2addr_b64 v14, v[9:10], v[11:12] offset0:2 offset1:3
	v_and_b32_e32 v1, v2, v3
	s_waitcnt lgkmcnt(0)
	s_barrier
	buffer_gl0_inv
	v_and_b32_e32 v0, v1, v0
	v_and_b32_e32 v1, 0xff, v22
	; wave barrier
	s_delay_alu instid0(VALU_DEP_2) | instskip(NEXT) | instid1(VALU_DEP_2)
	v_mbcnt_lo_u32_b32 v28, v0, 0
	v_lshl_add_u32 v1, v1, 1, v20
	v_cmp_ne_u32_e64 s11, 0, v0
	s_delay_alu instid0(VALU_DEP_3) | instskip(NEXT) | instid1(VALU_DEP_3)
	v_cmp_eq_u32_e64 s10, 0, v28
	v_lshl_add_u32 v29, v1, 2, 8
	s_delay_alu instid0(VALU_DEP_2) | instskip(NEXT) | instid1(SALU_CYCLE_1)
	s_and_b32 s11, s11, s10
	s_and_saveexec_b32 s10, s11
	s_cbranch_execz .LBB243_4
; %bb.3:                                ;   in Loop: Header=BB243_2 Depth=1
	v_bcnt_u32_b32 v0, v0, 0
	ds_store_b32 v29, v0
.LBB243_4:                              ;   in Loop: Header=BB243_2 Depth=1
	s_or_b32 exec_lo, exec_lo, s10
	v_and_b32_e32 v0, 1, v23
	v_lshlrev_b32_e32 v2, 30, v23
	v_lshlrev_b32_e32 v4, 29, v23
	;; [unrolled: 1-line block ×4, first 2 shown]
	v_add_co_u32 v0, s10, v0, -1
	s_delay_alu instid0(VALU_DEP_1)
	v_cndmask_b32_e64 v3, 0, 1, s10
	v_not_b32_e32 v7, v2
	v_cmp_gt_i32_e64 s11, 0, v2
	v_not_b32_e32 v2, v4
	v_and_b32_e32 v1, 0xff, v23
	v_cmp_ne_u32_e64 s10, 0, v3
	v_ashrrev_i32_e32 v7, 31, v7
	v_lshlrev_b32_e32 v3, 26, v23
	v_ashrrev_i32_e32 v2, 31, v2
	v_lshlrev_b32_e32 v1, 1, v1
	v_xor_b32_e32 v0, s10, v0
	v_cmp_gt_i32_e64 s10, 0, v4
	v_not_b32_e32 v4, v5
	v_xor_b32_e32 v7, s11, v7
	v_cmp_gt_i32_e64 s11, 0, v5
	v_and_b32_e32 v0, exec_lo, v0
	v_not_b32_e32 v5, v6
	v_ashrrev_i32_e32 v4, 31, v4
	v_xor_b32_e32 v2, s10, v2
	v_cmp_gt_i32_e64 s10, 0, v6
	v_and_b32_e32 v0, v0, v7
	v_lshlrev_b32_e32 v7, 25, v23
	v_ashrrev_i32_e32 v5, 31, v5
	v_xor_b32_e32 v4, s11, v4
	v_not_b32_e32 v6, v3
	v_and_b32_e32 v0, v0, v2
	v_lshlrev_b32_e32 v2, 24, v23
	v_not_b32_e32 v30, v7
	v_xor_b32_e32 v5, s10, v5
	v_cmp_gt_i32_e64 s10, 0, v3
	v_and_b32_e32 v0, v0, v4
	v_ashrrev_i32_e32 v3, 31, v6
	v_cmp_gt_i32_e64 s11, 0, v7
	v_ashrrev_i32_e32 v4, 31, v30
	v_add_lshl_u32 v1, v20, v1, 2
	v_and_b32_e32 v0, v0, v5
	v_not_b32_e32 v5, v2
	v_xor_b32_e32 v3, s10, v3
	v_xor_b32_e32 v4, s11, v4
	v_cmp_gt_i32_e64 s10, 0, v2
	s_delay_alu instid0(VALU_DEP_4) | instskip(NEXT) | instid1(VALU_DEP_4)
	v_ashrrev_i32_e32 v2, 31, v5
	v_and_b32_e32 v0, v0, v3
	; wave barrier
	ds_load_b32 v30, v1 offset:8
	v_add_nc_u32_e32 v32, 8, v1
	v_xor_b32_e32 v2, s10, v2
	v_and_b32_e32 v0, v0, v4
	; wave barrier
	s_delay_alu instid0(VALU_DEP_1) | instskip(NEXT) | instid1(VALU_DEP_1)
	v_and_b32_e32 v0, v0, v2
	v_mbcnt_lo_u32_b32 v31, v0, 0
	v_cmp_ne_u32_e64 s11, 0, v0
	s_delay_alu instid0(VALU_DEP_2) | instskip(NEXT) | instid1(VALU_DEP_1)
	v_cmp_eq_u32_e64 s10, 0, v31
	s_and_b32 s11, s11, s10
	s_delay_alu instid0(SALU_CYCLE_1)
	s_and_saveexec_b32 s10, s11
	s_cbranch_execz .LBB243_6
; %bb.5:                                ;   in Loop: Header=BB243_2 Depth=1
	s_waitcnt lgkmcnt(0)
	v_bcnt_u32_b32 v0, v0, v30
	ds_store_b32 v32, v0
.LBB243_6:                              ;   in Loop: Header=BB243_2 Depth=1
	s_or_b32 exec_lo, exec_lo, s10
	v_and_b32_e32 v0, 1, v24
	v_lshlrev_b32_e32 v2, 30, v24
	v_lshlrev_b32_e32 v4, 29, v24
	;; [unrolled: 1-line block ×4, first 2 shown]
	v_add_co_u32 v0, s10, v0, -1
	s_delay_alu instid0(VALU_DEP_1)
	v_cndmask_b32_e64 v3, 0, 1, s10
	v_not_b32_e32 v7, v2
	v_cmp_gt_i32_e64 s11, 0, v2
	v_not_b32_e32 v2, v4
	v_and_b32_e32 v1, 0xff, v24
	v_cmp_ne_u32_e64 s10, 0, v3
	v_ashrrev_i32_e32 v7, 31, v7
	v_lshlrev_b32_e32 v3, 26, v24
	v_ashrrev_i32_e32 v2, 31, v2
	v_lshlrev_b32_e32 v1, 1, v1
	v_xor_b32_e32 v0, s10, v0
	v_cmp_gt_i32_e64 s10, 0, v4
	v_not_b32_e32 v4, v5
	v_xor_b32_e32 v7, s11, v7
	v_cmp_gt_i32_e64 s11, 0, v5
	v_and_b32_e32 v0, exec_lo, v0
	v_not_b32_e32 v5, v6
	v_ashrrev_i32_e32 v4, 31, v4
	v_xor_b32_e32 v2, s10, v2
	v_cmp_gt_i32_e64 s10, 0, v6
	v_and_b32_e32 v0, v0, v7
	v_lshlrev_b32_e32 v7, 25, v24
	v_ashrrev_i32_e32 v5, 31, v5
	v_xor_b32_e32 v4, s11, v4
	v_not_b32_e32 v6, v3
	v_and_b32_e32 v0, v0, v2
	v_lshlrev_b32_e32 v2, 24, v24
	v_not_b32_e32 v33, v7
	v_xor_b32_e32 v5, s10, v5
	v_cmp_gt_i32_e64 s10, 0, v3
	v_and_b32_e32 v0, v0, v4
	v_ashrrev_i32_e32 v3, 31, v6
	v_cmp_gt_i32_e64 s11, 0, v7
	v_ashrrev_i32_e32 v4, 31, v33
	v_add_lshl_u32 v1, v20, v1, 2
	v_and_b32_e32 v0, v0, v5
	v_not_b32_e32 v5, v2
	v_xor_b32_e32 v3, s10, v3
	v_xor_b32_e32 v4, s11, v4
	v_cmp_gt_i32_e64 s10, 0, v2
	s_delay_alu instid0(VALU_DEP_4) | instskip(NEXT) | instid1(VALU_DEP_4)
	v_ashrrev_i32_e32 v2, 31, v5
	v_and_b32_e32 v0, v0, v3
	; wave barrier
	ds_load_b32 v33, v1 offset:8
	v_add_nc_u32_e32 v35, 8, v1
	v_xor_b32_e32 v2, s10, v2
	v_and_b32_e32 v0, v0, v4
	; wave barrier
	s_delay_alu instid0(VALU_DEP_1) | instskip(NEXT) | instid1(VALU_DEP_1)
	v_and_b32_e32 v0, v0, v2
	v_mbcnt_lo_u32_b32 v34, v0, 0
	v_cmp_ne_u32_e64 s11, 0, v0
	s_delay_alu instid0(VALU_DEP_2) | instskip(NEXT) | instid1(VALU_DEP_1)
	v_cmp_eq_u32_e64 s10, 0, v34
	s_and_b32 s11, s11, s10
	s_delay_alu instid0(SALU_CYCLE_1)
	s_and_saveexec_b32 s10, s11
	s_cbranch_execz .LBB243_8
; %bb.7:                                ;   in Loop: Header=BB243_2 Depth=1
	s_waitcnt lgkmcnt(0)
	v_bcnt_u32_b32 v0, v0, v33
	ds_store_b32 v35, v0
.LBB243_8:                              ;   in Loop: Header=BB243_2 Depth=1
	s_or_b32 exec_lo, exec_lo, s10
	; wave barrier
	s_waitcnt lgkmcnt(0)
	s_barrier
	buffer_gl0_inv
	ds_load_2addr_b64 v[4:7], v13 offset0:1 offset1:2
	ds_load_2addr_b64 v[0:3], v14 offset0:2 offset1:3
	s_waitcnt lgkmcnt(1)
	v_add_nc_u32_e32 v36, v5, v4
	s_delay_alu instid0(VALU_DEP_1) | instskip(SKIP_1) | instid1(VALU_DEP_1)
	v_add3_u32 v36, v36, v6, v7
	s_waitcnt lgkmcnt(0)
	v_add3_u32 v36, v36, v0, v1
	s_delay_alu instid0(VALU_DEP_1) | instskip(NEXT) | instid1(VALU_DEP_1)
	v_add3_u32 v3, v36, v2, v3
	v_mov_b32_dpp v36, v3 row_shr:1 row_mask:0xf bank_mask:0xf
	s_delay_alu instid0(VALU_DEP_1) | instskip(NEXT) | instid1(VALU_DEP_1)
	v_cndmask_b32_e64 v36, v36, 0, s0
	v_add_nc_u32_e32 v3, v36, v3
	s_delay_alu instid0(VALU_DEP_1) | instskip(NEXT) | instid1(VALU_DEP_1)
	v_mov_b32_dpp v36, v3 row_shr:2 row_mask:0xf bank_mask:0xf
	v_cndmask_b32_e64 v36, 0, v36, s1
	s_delay_alu instid0(VALU_DEP_1) | instskip(NEXT) | instid1(VALU_DEP_1)
	v_add_nc_u32_e32 v3, v3, v36
	v_mov_b32_dpp v36, v3 row_shr:4 row_mask:0xf bank_mask:0xf
	s_delay_alu instid0(VALU_DEP_1) | instskip(NEXT) | instid1(VALU_DEP_1)
	v_cndmask_b32_e64 v36, 0, v36, s2
	v_add_nc_u32_e32 v3, v3, v36
	s_delay_alu instid0(VALU_DEP_1) | instskip(NEXT) | instid1(VALU_DEP_1)
	v_mov_b32_dpp v36, v3 row_shr:8 row_mask:0xf bank_mask:0xf
	v_cndmask_b32_e64 v36, 0, v36, s3
	s_delay_alu instid0(VALU_DEP_1) | instskip(SKIP_3) | instid1(VALU_DEP_1)
	v_add_nc_u32_e32 v3, v3, v36
	ds_swizzle_b32 v36, v3 offset:swizzle(BROADCAST,32,15)
	s_waitcnt lgkmcnt(0)
	v_cndmask_b32_e64 v36, v36, 0, s4
	v_add_nc_u32_e32 v3, v3, v36
	s_and_saveexec_b32 s10, s9
	s_cbranch_execz .LBB243_10
; %bb.9:                                ;   in Loop: Header=BB243_2 Depth=1
	ds_store_b32 v16, v3
.LBB243_10:                             ;   in Loop: Header=BB243_2 Depth=1
	s_or_b32 exec_lo, exec_lo, s10
	s_waitcnt lgkmcnt(0)
	s_barrier
	buffer_gl0_inv
	s_and_saveexec_b32 s10, s5
	s_cbranch_execz .LBB243_12
; %bb.11:                               ;   in Loop: Header=BB243_2 Depth=1
	ds_load_b32 v36, v21
	s_waitcnt lgkmcnt(0)
	v_mov_b32_dpp v37, v36 row_shr:1 row_mask:0xf bank_mask:0xf
	s_delay_alu instid0(VALU_DEP_1) | instskip(NEXT) | instid1(VALU_DEP_1)
	v_cndmask_b32_e64 v37, v37, 0, s8
	v_add_nc_u32_e32 v36, v37, v36
	ds_store_b32 v21, v36
.LBB243_12:                             ;   in Loop: Header=BB243_2 Depth=1
	s_or_b32 exec_lo, exec_lo, s10
	v_mov_b32_e32 v36, 0
	s_waitcnt lgkmcnt(0)
	s_barrier
	buffer_gl0_inv
	s_and_saveexec_b32 s10, s6
	s_cbranch_execz .LBB243_1
; %bb.13:                               ;   in Loop: Header=BB243_2 Depth=1
	ds_load_b32 v36, v18
	s_branch .LBB243_1
.LBB243_14:
	v_add_nc_u16 v0, v5, v3
	v_add_nc_u16 v1, v4, v1
	;; [unrolled: 1-line block ×3, first 2 shown]
	s_add_u32 s0, s18, s12
	s_addc_u32 s1, s19, 0
	s_clause 0x2
	global_store_b8 v8, v0, s[0:1]
	global_store_b8 v8, v1, s[0:1] offset:64
	global_store_b8 v8, v2, s[0:1] offset:128
	s_nop 0
	s_sendmsg sendmsg(MSG_DEALLOC_VGPRS)
	s_endpgm
	.section	.rodata,"a",@progbits
	.p2align	6, 0x0
	.amdhsa_kernel _Z17sort_pairs_kernelI22helper_blocked_stripedaLj64ELj3ELj10EEvPKT0_PS1_
		.amdhsa_group_segment_fixed_size 2064
		.amdhsa_private_segment_fixed_size 0
		.amdhsa_kernarg_size 272
		.amdhsa_user_sgpr_count 15
		.amdhsa_user_sgpr_dispatch_ptr 0
		.amdhsa_user_sgpr_queue_ptr 0
		.amdhsa_user_sgpr_kernarg_segment_ptr 1
		.amdhsa_user_sgpr_dispatch_id 0
		.amdhsa_user_sgpr_private_segment_size 0
		.amdhsa_wavefront_size32 1
		.amdhsa_uses_dynamic_stack 0
		.amdhsa_enable_private_segment 0
		.amdhsa_system_sgpr_workgroup_id_x 1
		.amdhsa_system_sgpr_workgroup_id_y 0
		.amdhsa_system_sgpr_workgroup_id_z 0
		.amdhsa_system_sgpr_workgroup_info 0
		.amdhsa_system_vgpr_workitem_id 2
		.amdhsa_next_free_vgpr 38
		.amdhsa_next_free_sgpr 20
		.amdhsa_reserve_vcc 1
		.amdhsa_float_round_mode_32 0
		.amdhsa_float_round_mode_16_64 0
		.amdhsa_float_denorm_mode_32 3
		.amdhsa_float_denorm_mode_16_64 3
		.amdhsa_dx10_clamp 1
		.amdhsa_ieee_mode 1
		.amdhsa_fp16_overflow 0
		.amdhsa_workgroup_processor_mode 1
		.amdhsa_memory_ordered 1
		.amdhsa_forward_progress 0
		.amdhsa_shared_vgpr_count 0
		.amdhsa_exception_fp_ieee_invalid_op 0
		.amdhsa_exception_fp_denorm_src 0
		.amdhsa_exception_fp_ieee_div_zero 0
		.amdhsa_exception_fp_ieee_overflow 0
		.amdhsa_exception_fp_ieee_underflow 0
		.amdhsa_exception_fp_ieee_inexact 0
		.amdhsa_exception_int_div_zero 0
	.end_amdhsa_kernel
	.section	.text._Z17sort_pairs_kernelI22helper_blocked_stripedaLj64ELj3ELj10EEvPKT0_PS1_,"axG",@progbits,_Z17sort_pairs_kernelI22helper_blocked_stripedaLj64ELj3ELj10EEvPKT0_PS1_,comdat
.Lfunc_end243:
	.size	_Z17sort_pairs_kernelI22helper_blocked_stripedaLj64ELj3ELj10EEvPKT0_PS1_, .Lfunc_end243-_Z17sort_pairs_kernelI22helper_blocked_stripedaLj64ELj3ELj10EEvPKT0_PS1_
                                        ; -- End function
	.section	.AMDGPU.csdata,"",@progbits
; Kernel info:
; codeLenInByte = 2540
; NumSgprs: 22
; NumVgprs: 38
; ScratchSize: 0
; MemoryBound: 0
; FloatMode: 240
; IeeeMode: 1
; LDSByteSize: 2064 bytes/workgroup (compile time only)
; SGPRBlocks: 2
; VGPRBlocks: 4
; NumSGPRsForWavesPerEU: 22
; NumVGPRsForWavesPerEU: 38
; Occupancy: 16
; WaveLimiterHint : 0
; COMPUTE_PGM_RSRC2:SCRATCH_EN: 0
; COMPUTE_PGM_RSRC2:USER_SGPR: 15
; COMPUTE_PGM_RSRC2:TRAP_HANDLER: 0
; COMPUTE_PGM_RSRC2:TGID_X_EN: 1
; COMPUTE_PGM_RSRC2:TGID_Y_EN: 0
; COMPUTE_PGM_RSRC2:TGID_Z_EN: 0
; COMPUTE_PGM_RSRC2:TIDIG_COMP_CNT: 2
	.section	.text._Z16sort_keys_kernelI22helper_blocked_stripedaLj64ELj4ELj10EEvPKT0_PS1_,"axG",@progbits,_Z16sort_keys_kernelI22helper_blocked_stripedaLj64ELj4ELj10EEvPKT0_PS1_,comdat
	.protected	_Z16sort_keys_kernelI22helper_blocked_stripedaLj64ELj4ELj10EEvPKT0_PS1_ ; -- Begin function _Z16sort_keys_kernelI22helper_blocked_stripedaLj64ELj4ELj10EEvPKT0_PS1_
	.globl	_Z16sort_keys_kernelI22helper_blocked_stripedaLj64ELj4ELj10EEvPKT0_PS1_
	.p2align	8
	.type	_Z16sort_keys_kernelI22helper_blocked_stripedaLj64ELj4ELj10EEvPKT0_PS1_,@function
_Z16sort_keys_kernelI22helper_blocked_stripedaLj64ELj4ELj10EEvPKT0_PS1_: ; @_Z16sort_keys_kernelI22helper_blocked_stripedaLj64ELj4ELj10EEvPKT0_PS1_
; %bb.0:
	s_clause 0x1
	s_load_b128 s[16:19], s[0:1], 0x0
	s_load_b32 s2, s[0:1], 0x1c
	s_mov_b32 s14, 0
	s_lshl_b32 s20, s15, 8
	s_mov_b32 s15, s14
	v_and_b32_e32 v8, 0x3ff, v0
	v_bfe_u32 v2, v0, 10, 10
	v_bfe_u32 v0, v0, 20, 10
	v_mbcnt_lo_u32_b32 v4, -1, 0
	s_delay_alu instid0(VALU_DEP_4) | instskip(NEXT) | instid1(VALU_DEP_2)
	v_lshlrev_b32_e32 v1, 2, v8
	v_and_b32_e32 v13, 28, v4
	v_cmp_eq_u32_e64 s11, 0, v4
	s_delay_alu instid0(VALU_DEP_2)
	v_or_b32_e32 v15, 32, v13
	v_or_b32_e32 v16, 64, v13
	s_waitcnt lgkmcnt(0)
	s_add_u32 s0, s16, s20
	s_addc_u32 s1, s17, 0
	s_mov_b32 s16, s14
	global_load_b32 v1, v1, s[0:1]
	s_lshr_b32 s1, s2, 16
	s_and_b32 s2, s2, 0xffff
	v_mad_u32_u24 v0, v0, s1, v2
	s_mov_b32 s17, s14
	v_and_b32_e32 v5, 3, v4
	v_or_b32_e32 v17, 0x60, v13
	v_dual_mov_b32 v11, s16 :: v_dual_mov_b32 v12, s17
	v_mad_u64_u32 v[2:3], null, v0, s2, v[8:9]
	v_add_nc_u32_e32 v3, -1, v4
	v_dual_mov_b32 v9, s14 :: v_dual_and_b32 v0, 15, v4
	v_lshlrev_b32_e32 v14, 5, v8
	v_cmp_eq_u32_e32 vcc_lo, 3, v5
	s_delay_alu instid0(VALU_DEP_4)
	v_cmp_gt_i32_e64 s8, 0, v3
	v_lshrrev_b32_e32 v19, 5, v2
	v_and_b32_e32 v2, 16, v4
	v_cmp_eq_u32_e64 s3, 0, v0
	v_cmp_lt_u32_e64 s4, 1, v0
	v_cmp_lt_u32_e64 s5, 3, v0
	;; [unrolled: 1-line block ×3, first 2 shown]
	v_cmp_eq_u32_e64 s7, 0, v2
	v_cndmask_b32_e64 v0, v3, v4, s8
	v_lshrrev_b32_e32 v2, 3, v8
	v_cmp_eq_u32_e64 s0, 2, v5
	v_cmp_eq_u32_e64 s1, 1, v5
	;; [unrolled: 1-line block ×3, first 2 shown]
	v_or_b32_e32 v5, 31, v8
	v_lshlrev_b32_e32 v20, 2, v0
	v_and_b32_e32 v0, 1, v4
	v_and_b32_e32 v21, 4, v2
	v_mul_u32_u24_e32 v2, 3, v8
	v_or_b32_e32 v18, 8, v14
	v_cmp_eq_u32_e64 s8, v5, v8
	v_cmp_gt_u32_e64 s9, 2, v8
	v_cmp_lt_u32_e64 s10, 31, v8
	v_cmp_eq_u32_e64 s12, 0, v8
	v_cmp_eq_u32_e64 s13, 0, v0
	v_add_nc_u32_e32 v22, -4, v21
	v_dual_mov_b32 v10, s15 :: v_dual_add_nc_u32 v23, v8, v2
	s_mov_b32 s16, 10
	s_branch .LBB244_2
.LBB244_1:                              ;   in Loop: Header=BB244_2 Depth=1
	s_or_b32 exec_lo, exec_lo, s14
	s_waitcnt lgkmcnt(0)
	v_add_nc_u32_e32 v3, v39, v3
	s_add_i32 s16, s16, -1
	s_delay_alu instid0(SALU_CYCLE_1) | instskip(SKIP_3) | instid1(VALU_DEP_1)
	s_cmp_eq_u32 s16, 0
	ds_bpermute_b32 v3, v20, v3
	s_waitcnt lgkmcnt(0)
	v_cndmask_b32_e64 v3, v3, v39, s11
	v_cndmask_b32_e64 v3, v3, 0, s12
	s_delay_alu instid0(VALU_DEP_1) | instskip(NEXT) | instid1(VALU_DEP_1)
	v_add_nc_u32_e32 v4, v3, v4
	v_add_nc_u32_e32 v5, v4, v5
	s_delay_alu instid0(VALU_DEP_1) | instskip(NEXT) | instid1(VALU_DEP_1)
	v_add_nc_u32_e32 v6, v5, v6
	v_add_nc_u32_e32 v39, v6, v7
	;; [unrolled: 3-line block ×3, first 2 shown]
	s_delay_alu instid0(VALU_DEP_1)
	v_add_nc_u32_e32 v1, v0, v2
	ds_store_2addr_b64 v14, v[3:4], v[5:6] offset0:1 offset1:2
	ds_store_2addr_b64 v18, v[39:40], v[0:1] offset0:2 offset1:3
	s_waitcnt lgkmcnt(0)
	s_barrier
	buffer_gl0_inv
	ds_load_b32 v0, v26
	ds_load_b32 v1, v30
	;; [unrolled: 1-line block ×4, first 2 shown]
	s_waitcnt lgkmcnt(0)
	s_barrier
	buffer_gl0_inv
	v_add_nc_u32_e32 v0, v0, v25
	v_add3_u32 v1, v29, v28, v1
	v_add3_u32 v2, v33, v32, v2
	;; [unrolled: 1-line block ×3, first 2 shown]
	ds_store_b8 v0, v24
	ds_store_b8 v1, v27
	;; [unrolled: 1-line block ×4, first 2 shown]
	s_waitcnt lgkmcnt(0)
	s_barrier
	buffer_gl0_inv
	ds_load_u8 v0, v8 offset:64
	ds_load_u8 v1, v8
	ds_load_u8 v2, v8 offset:192
	ds_load_u8 v4, v8 offset:128
	s_waitcnt lgkmcnt(3)
	v_xor_b32_e32 v0, 0xffffff80, v0
	s_waitcnt lgkmcnt(2)
	v_xor_b32_e32 v3, 0xffffff80, v1
	;; [unrolled: 2-line block ×4, first 2 shown]
	v_lshlrev_b16 v1, 8, v0
	v_and_b32_e32 v5, 0xff, v3
	v_lshlrev_b16 v6, 8, v2
	s_delay_alu instid0(VALU_DEP_4) | instskip(NEXT) | instid1(VALU_DEP_3)
	v_and_b32_e32 v7, 0xff, v4
	v_or_b32_e32 v1, v5, v1
	s_delay_alu instid0(VALU_DEP_2) | instskip(NEXT) | instid1(VALU_DEP_2)
	v_or_b32_e32 v5, v7, v6
	v_and_b32_e32 v1, 0xffff, v1
	s_delay_alu instid0(VALU_DEP_2) | instskip(NEXT) | instid1(VALU_DEP_1)
	v_lshlrev_b32_e32 v5, 16, v5
	v_or_b32_e32 v1, v1, v5
	s_cbranch_scc1 .LBB244_16
.LBB244_2:                              ; =>This Inner Loop Header: Depth=1
	s_waitcnt vmcnt(0)
	s_delay_alu instid0(VALU_DEP_1) | instskip(SKIP_3) | instid1(VALU_DEP_4)
	v_lshrrev_b32_e32 v0, 8, v1
	v_xor_b32_e32 v2, 0x80, v1
	v_lshrrev_b32_e32 v3, 16, v1
	v_lshrrev_b32_e32 v1, 24, v1
	v_xor_b32_e32 v0, 0x80, v0
	s_delay_alu instid0(VALU_DEP_4) | instskip(NEXT) | instid1(VALU_DEP_4)
	v_and_b32_e32 v2, 0xff, v2
	v_xor_b32_e32 v3, 0x80, v3
	s_delay_alu instid0(VALU_DEP_4)
	v_xor_b32_e32 v1, 0x80, v1
	s_barrier
	v_and_b32_e32 v0, 0xff, v0
	ds_bpermute_b32 v4, v13, v2
	v_and_b32_e32 v3, 0xff, v3
	v_and_b32_e32 v1, 0xffff, v1
	s_waitcnt lgkmcnt(0)
	buffer_gl0_inv
	ds_bpermute_b32 v5, v13, v0
	ds_store_2addr_b64 v14, v[9:10], v[11:12] offset0:1 offset1:2
	ds_store_2addr_b64 v18, v[9:10], v[11:12] offset0:2 offset1:3
	ds_bpermute_b32 v6, v13, v3
	ds_bpermute_b32 v7, v13, v1
	s_waitcnt lgkmcnt(0)
	s_barrier
	buffer_gl0_inv
	; wave barrier
	v_perm_b32 v5, v5, v4, 0x3020104
	s_delay_alu instid0(VALU_DEP_1) | instskip(SKIP_2) | instid1(VALU_DEP_1)
	v_cndmask_b32_e64 v4, v4, v5, s1
	ds_bpermute_b32 v5, v15, v2
	v_perm_b32 v6, v6, v4, 0x3020104
	v_cndmask_b32_e64 v4, v4, v6, s0
	s_delay_alu instid0(VALU_DEP_1) | instskip(SKIP_4) | instid1(VALU_DEP_2)
	v_perm_b32 v6, v7, v4, 0x3020104
	ds_bpermute_b32 v7, v15, v0
	v_cndmask_b32_e32 v4, v4, v6, vcc_lo
	s_waitcnt lgkmcnt(1)
	v_lshlrev_b16 v5, 8, v5
	v_and_b32_e32 v6, 0xff, v4
	s_delay_alu instid0(VALU_DEP_1) | instskip(NEXT) | instid1(VALU_DEP_1)
	v_or_b32_e32 v5, v6, v5
	v_and_b32_e32 v5, 0xffff, v5
	s_delay_alu instid0(VALU_DEP_1) | instskip(NEXT) | instid1(VALU_DEP_1)
	v_and_or_b32 v5, 0xffff0000, v4, v5
	v_cndmask_b32_e64 v4, v4, v5, s2
	s_waitcnt lgkmcnt(0)
	v_lshlrev_b16 v5, 8, v7
	ds_bpermute_b32 v7, v15, v3
	v_and_b32_e32 v6, 0xff, v4
	s_delay_alu instid0(VALU_DEP_1) | instskip(NEXT) | instid1(VALU_DEP_1)
	v_or_b32_e32 v5, v6, v5
	v_and_b32_e32 v5, 0xffff, v5
	s_delay_alu instid0(VALU_DEP_1) | instskip(NEXT) | instid1(VALU_DEP_1)
	v_and_or_b32 v5, 0xffff0000, v4, v5
	v_cndmask_b32_e64 v4, v4, v5, s1
	s_waitcnt lgkmcnt(0)
	v_lshlrev_b16 v5, 8, v7
	ds_bpermute_b32 v7, v15, v1
	v_and_b32_e32 v6, 0xff, v4
	s_delay_alu instid0(VALU_DEP_1) | instskip(NEXT) | instid1(VALU_DEP_1)
	v_or_b32_e32 v5, v6, v5
	v_and_b32_e32 v5, 0xffff, v5
	s_delay_alu instid0(VALU_DEP_1) | instskip(NEXT) | instid1(VALU_DEP_1)
	v_and_or_b32 v5, 0xffff0000, v4, v5
	v_cndmask_b32_e64 v4, v4, v5, s0
	s_waitcnt lgkmcnt(0)
	v_lshlrev_b16 v5, 8, v7
	s_delay_alu instid0(VALU_DEP_2) | instskip(NEXT) | instid1(VALU_DEP_1)
	v_and_b32_e32 v6, 0xff, v4
	v_or_b32_e32 v5, v6, v5
	ds_bpermute_b32 v6, v16, v2
	ds_bpermute_b32 v2, v17, v2
	v_and_b32_e32 v5, 0xffff, v5
	s_delay_alu instid0(VALU_DEP_1) | instskip(NEXT) | instid1(VALU_DEP_1)
	v_and_or_b32 v5, 0xffff0000, v4, v5
	v_cndmask_b32_e32 v4, v4, v5, vcc_lo
	s_delay_alu instid0(VALU_DEP_1)
	v_lshrrev_b32_e32 v5, 16, v4
	s_waitcnt lgkmcnt(1)
	v_and_b32_e32 v6, 0xff, v6
	s_waitcnt lgkmcnt(0)
	v_lshlrev_b16 v2, 8, v2
	v_and_b32_e32 v5, 0xffffff00, v5
	s_delay_alu instid0(VALU_DEP_1) | instskip(SKIP_3) | instid1(VALU_DEP_1)
	v_or_b32_e32 v5, v6, v5
	ds_bpermute_b32 v6, v16, v0
	ds_bpermute_b32 v0, v17, v0
	v_lshlrev_b32_e32 v5, 16, v5
	v_and_or_b32 v5, 0xffff, v4, v5
	s_delay_alu instid0(VALU_DEP_1) | instskip(NEXT) | instid1(VALU_DEP_1)
	v_cndmask_b32_e64 v4, v4, v5, s2
	v_lshrrev_b32_e32 v5, 16, v4
	s_waitcnt lgkmcnt(1)
	v_and_b32_e32 v6, 0xff, v6
	s_waitcnt lgkmcnt(0)
	v_lshlrev_b16 v0, 8, v0
	v_and_b32_e32 v5, 0xffffff00, v5
	s_delay_alu instid0(VALU_DEP_1) | instskip(SKIP_3) | instid1(VALU_DEP_1)
	v_or_b32_e32 v5, v6, v5
	ds_bpermute_b32 v6, v16, v3
	ds_bpermute_b32 v3, v17, v3
	v_lshlrev_b32_e32 v5, 16, v5
	v_and_or_b32 v5, 0xffff, v4, v5
	s_delay_alu instid0(VALU_DEP_1) | instskip(NEXT) | instid1(VALU_DEP_1)
	v_cndmask_b32_e64 v4, v4, v5, s1
	;; [unrolled: 14-line block ×3, first 2 shown]
	v_lshrrev_b32_e32 v5, 16, v4
	s_waitcnt lgkmcnt(1)
	v_and_b32_e32 v6, 0xff, v6
	s_waitcnt lgkmcnt(0)
	v_lshlrev_b16 v1, 8, v1
	v_and_b32_e32 v5, 0xffffff00, v5
	s_delay_alu instid0(VALU_DEP_1) | instskip(NEXT) | instid1(VALU_DEP_1)
	v_or_b32_e32 v5, v6, v5
	v_lshlrev_b32_e32 v5, 16, v5
	s_delay_alu instid0(VALU_DEP_1) | instskip(NEXT) | instid1(VALU_DEP_1)
	v_and_or_b32 v5, 0xffff, v4, v5
	v_cndmask_b32_e32 v4, v4, v5, vcc_lo
	s_delay_alu instid0(VALU_DEP_1) | instskip(NEXT) | instid1(VALU_DEP_1)
	v_lshrrev_b32_e32 v5, 16, v4
	v_and_b32_e32 v5, 0xff, v5
	s_delay_alu instid0(VALU_DEP_1) | instskip(NEXT) | instid1(VALU_DEP_1)
	v_or_b32_e32 v2, v5, v2
	v_lshlrev_b32_e32 v2, 16, v2
	s_delay_alu instid0(VALU_DEP_1) | instskip(NEXT) | instid1(VALU_DEP_1)
	v_and_or_b32 v2, 0xffff, v4, v2
	v_cndmask_b32_e64 v2, v4, v2, s2
	s_delay_alu instid0(VALU_DEP_1) | instskip(NEXT) | instid1(VALU_DEP_1)
	v_lshrrev_b32_e32 v4, 16, v2
	v_and_b32_e32 v4, 0xff, v4
	s_delay_alu instid0(VALU_DEP_1) | instskip(NEXT) | instid1(VALU_DEP_1)
	v_or_b32_e32 v0, v4, v0
	v_lshlrev_b32_e32 v0, 16, v0
	s_delay_alu instid0(VALU_DEP_1) | instskip(NEXT) | instid1(VALU_DEP_1)
	v_and_or_b32 v0, 0xffff, v2, v0
	v_cndmask_b32_e64 v0, v2, v0, s1
	;; [unrolled: 9-line block ×3, first 2 shown]
	s_delay_alu instid0(VALU_DEP_1) | instskip(NEXT) | instid1(VALU_DEP_1)
	v_lshrrev_b32_e32 v2, 16, v0
	v_and_b32_e32 v2, 0xff, v2
	s_delay_alu instid0(VALU_DEP_1) | instskip(NEXT) | instid1(VALU_DEP_1)
	v_or_b32_e32 v1, v2, v1
	v_lshlrev_b32_e32 v1, 16, v1
	s_delay_alu instid0(VALU_DEP_1) | instskip(NEXT) | instid1(VALU_DEP_1)
	v_and_or_b32 v1, 0xffff, v0, v1
	v_cndmask_b32_e32 v24, v0, v1, vcc_lo
	s_delay_alu instid0(VALU_DEP_1)
	v_lshlrev_b32_e32 v3, 28, v24
	v_and_b32_e32 v0, 1, v24
	v_lshlrev_b32_e32 v1, 30, v24
	v_lshlrev_b32_e32 v2, 29, v24
	;; [unrolled: 1-line block ×4, first 2 shown]
	v_add_co_u32 v0, s14, v0, -1
	s_delay_alu instid0(VALU_DEP_1)
	v_cndmask_b32_e64 v4, 0, 1, s14
	v_not_b32_e32 v25, v1
	v_cmp_gt_i32_e64 s15, 0, v1
	v_not_b32_e32 v1, v2
	v_lshlrev_b32_e32 v7, 25, v24
	v_cmp_ne_u32_e64 s14, 0, v4
	v_ashrrev_i32_e32 v25, 31, v25
	v_lshlrev_b32_e32 v4, 24, v24
	v_ashrrev_i32_e32 v1, 31, v1
	s_delay_alu instid0(VALU_DEP_4)
	v_xor_b32_e32 v0, s14, v0
	v_cmp_gt_i32_e64 s14, 0, v2
	v_not_b32_e32 v2, v3
	v_xor_b32_e32 v25, s15, v25
	v_cmp_gt_i32_e64 s15, 0, v3
	v_and_b32_e32 v0, exec_lo, v0
	v_not_b32_e32 v3, v5
	v_ashrrev_i32_e32 v2, 31, v2
	v_xor_b32_e32 v1, s14, v1
	v_cmp_gt_i32_e64 s14, 0, v5
	v_and_b32_e32 v0, v0, v25
	v_not_b32_e32 v5, v6
	v_ashrrev_i32_e32 v3, 31, v3
	v_xor_b32_e32 v2, s15, v2
	v_cmp_gt_i32_e64 s15, 0, v6
	v_and_b32_e32 v0, v0, v1
	;; [unrolled: 5-line block ×4, first 2 shown]
	v_ashrrev_i32_e32 v2, 31, v2
	v_xor_b32_e32 v1, s14, v1
	s_delay_alu instid0(VALU_DEP_3) | instskip(NEXT) | instid1(VALU_DEP_3)
	v_and_b32_e32 v0, v0, v5
	v_xor_b32_e32 v2, s15, v2
	s_delay_alu instid0(VALU_DEP_2) | instskip(SKIP_1) | instid1(VALU_DEP_2)
	v_and_b32_e32 v0, v0, v1
	v_and_b32_e32 v1, 0xff, v24
	;; [unrolled: 1-line block ×3, first 2 shown]
	s_delay_alu instid0(VALU_DEP_2) | instskip(NEXT) | instid1(VALU_DEP_2)
	v_lshl_add_u32 v1, v1, 1, v19
	v_mbcnt_lo_u32_b32 v25, v0, 0
	v_cmp_ne_u32_e64 s15, 0, v0
	s_delay_alu instid0(VALU_DEP_3) | instskip(NEXT) | instid1(VALU_DEP_3)
	v_lshl_add_u32 v26, v1, 2, 8
	v_cmp_eq_u32_e64 s14, 0, v25
	s_delay_alu instid0(VALU_DEP_1) | instskip(NEXT) | instid1(SALU_CYCLE_1)
	s_and_b32 s15, s14, s15
	s_and_saveexec_b32 s14, s15
	s_cbranch_execz .LBB244_4
; %bb.3:                                ;   in Loop: Header=BB244_2 Depth=1
	v_bcnt_u32_b32 v0, v0, 0
	ds_store_b32 v26, v0
.LBB244_4:                              ;   in Loop: Header=BB244_2 Depth=1
	s_or_b32 exec_lo, exec_lo, s14
	v_bfe_u32 v0, v24, 8, 1
	v_lshrrev_b32_e32 v27, 8, v24
	; wave barrier
	s_delay_alu instid0(VALU_DEP_2) | instskip(NEXT) | instid1(VALU_DEP_1)
	v_add_co_u32 v0, s14, v0, -1
	v_cndmask_b32_e64 v1, 0, 1, s14
	s_delay_alu instid0(VALU_DEP_3)
	v_lshlrev_b32_e32 v2, 30, v27
	v_lshlrev_b32_e32 v3, 29, v27
	;; [unrolled: 1-line block ×4, first 2 shown]
	v_cmp_ne_u32_e64 s14, 0, v1
	v_not_b32_e32 v1, v2
	v_cmp_gt_i32_e64 s15, 0, v2
	v_not_b32_e32 v2, v3
	v_lshlrev_b32_e32 v6, 26, v27
	v_xor_b32_e32 v0, s14, v0
	v_ashrrev_i32_e32 v1, 31, v1
	v_cmp_gt_i32_e64 s14, 0, v3
	v_not_b32_e32 v3, v4
	v_ashrrev_i32_e32 v2, 31, v2
	v_and_b32_e32 v0, exec_lo, v0
	v_xor_b32_e32 v1, s15, v1
	v_cmp_gt_i32_e64 s15, 0, v4
	v_not_b32_e32 v4, v5
	v_ashrrev_i32_e32 v3, 31, v3
	v_xor_b32_e32 v2, s14, v2
	v_and_b32_e32 v0, v0, v1
	v_cmp_gt_i32_e64 s14, 0, v5
	v_not_b32_e32 v1, v6
	v_ashrrev_i32_e32 v4, 31, v4
	v_xor_b32_e32 v3, s15, v3
	v_and_b32_e32 v0, v0, v2
	v_lshlrev_b32_e32 v2, 25, v27
	v_cmp_gt_i32_e64 s15, 0, v6
	v_ashrrev_i32_e32 v1, 31, v1
	v_xor_b32_e32 v4, s14, v4
	v_and_b32_e32 v0, v0, v3
	v_not_b32_e32 v5, v2
	v_lshlrev_b32_e32 v6, 24, v27
	v_lshrrev_b32_e32 v3, 7, v24
	v_xor_b32_e32 v1, s15, v1
	v_and_b32_e32 v0, v0, v4
	v_cmp_gt_i32_e64 s14, 0, v2
	v_ashrrev_i32_e32 v2, 31, v5
	v_not_b32_e32 v4, v6
	v_and_b32_e32 v3, 0x1fe, v3
	v_and_b32_e32 v0, v0, v1
	s_delay_alu instid0(VALU_DEP_4) | instskip(SKIP_3) | instid1(VALU_DEP_4)
	v_xor_b32_e32 v1, s14, v2
	v_cmp_gt_i32_e64 s14, 0, v6
	v_ashrrev_i32_e32 v2, 31, v4
	v_add_lshl_u32 v3, v3, v19, 2
	v_and_b32_e32 v0, v0, v1
	s_delay_alu instid0(VALU_DEP_3) | instskip(SKIP_3) | instid1(VALU_DEP_1)
	v_xor_b32_e32 v1, s14, v2
	ds_load_b32 v28, v3 offset:8
	v_add_nc_u32_e32 v30, 8, v3
	; wave barrier
	v_and_b32_e32 v0, v0, v1
	v_mbcnt_lo_u32_b32 v29, v0, 0
	v_cmp_ne_u32_e64 s15, 0, v0
	s_delay_alu instid0(VALU_DEP_2) | instskip(NEXT) | instid1(VALU_DEP_1)
	v_cmp_eq_u32_e64 s14, 0, v29
	s_and_b32 s15, s15, s14
	s_delay_alu instid0(SALU_CYCLE_1)
	s_and_saveexec_b32 s14, s15
	s_cbranch_execz .LBB244_6
; %bb.5:                                ;   in Loop: Header=BB244_2 Depth=1
	s_waitcnt lgkmcnt(0)
	v_bcnt_u32_b32 v0, v0, v28
	ds_store_b32 v30, v0
.LBB244_6:                              ;   in Loop: Header=BB244_2 Depth=1
	s_or_b32 exec_lo, exec_lo, s14
	v_bfe_u32 v0, v24, 16, 1
	v_lshrrev_b32_e32 v31, 16, v24
	; wave barrier
	s_delay_alu instid0(VALU_DEP_2) | instskip(NEXT) | instid1(VALU_DEP_1)
	v_add_co_u32 v0, s14, v0, -1
	v_cndmask_b32_e64 v1, 0, 1, s14
	s_delay_alu instid0(VALU_DEP_3)
	v_lshlrev_b32_e32 v2, 30, v31
	v_lshlrev_b32_e32 v3, 29, v31
	;; [unrolled: 1-line block ×4, first 2 shown]
	v_cmp_ne_u32_e64 s14, 0, v1
	v_not_b32_e32 v1, v2
	v_cmp_gt_i32_e64 s15, 0, v2
	v_not_b32_e32 v2, v3
	v_lshlrev_b32_e32 v6, 26, v31
	v_xor_b32_e32 v0, s14, v0
	v_ashrrev_i32_e32 v1, 31, v1
	v_cmp_gt_i32_e64 s14, 0, v3
	v_not_b32_e32 v3, v4
	v_ashrrev_i32_e32 v2, 31, v2
	v_and_b32_e32 v0, exec_lo, v0
	v_xor_b32_e32 v1, s15, v1
	v_cmp_gt_i32_e64 s15, 0, v4
	v_not_b32_e32 v4, v5
	v_ashrrev_i32_e32 v3, 31, v3
	v_xor_b32_e32 v2, s14, v2
	v_and_b32_e32 v0, v0, v1
	v_cmp_gt_i32_e64 s14, 0, v5
	v_not_b32_e32 v1, v6
	v_ashrrev_i32_e32 v4, 31, v4
	v_xor_b32_e32 v3, s15, v3
	v_and_b32_e32 v0, v0, v2
	v_lshlrev_b32_e32 v2, 25, v31
	v_cmp_gt_i32_e64 s15, 0, v6
	v_ashrrev_i32_e32 v1, 31, v1
	v_xor_b32_e32 v4, s14, v4
	v_and_b32_e32 v0, v0, v3
	v_not_b32_e32 v5, v2
	v_lshlrev_b32_e32 v6, 24, v31
	v_lshrrev_b32_e32 v3, 15, v24
	v_xor_b32_e32 v1, s15, v1
	v_and_b32_e32 v0, v0, v4
	v_cmp_gt_i32_e64 s14, 0, v2
	v_ashrrev_i32_e32 v2, 31, v5
	v_not_b32_e32 v4, v6
	v_and_b32_e32 v3, 0x1fe, v3
	v_and_b32_e32 v0, v0, v1
	s_delay_alu instid0(VALU_DEP_4) | instskip(SKIP_3) | instid1(VALU_DEP_4)
	v_xor_b32_e32 v1, s14, v2
	v_cmp_gt_i32_e64 s14, 0, v6
	v_ashrrev_i32_e32 v2, 31, v4
	v_add_lshl_u32 v3, v3, v19, 2
	v_and_b32_e32 v0, v0, v1
	s_delay_alu instid0(VALU_DEP_3) | instskip(SKIP_3) | instid1(VALU_DEP_1)
	v_xor_b32_e32 v1, s14, v2
	ds_load_b32 v32, v3 offset:8
	v_add_nc_u32_e32 v34, 8, v3
	; wave barrier
	v_and_b32_e32 v0, v0, v1
	v_mbcnt_lo_u32_b32 v33, v0, 0
	v_cmp_ne_u32_e64 s15, 0, v0
	s_delay_alu instid0(VALU_DEP_2) | instskip(NEXT) | instid1(VALU_DEP_1)
	v_cmp_eq_u32_e64 s14, 0, v33
	s_and_b32 s15, s15, s14
	s_delay_alu instid0(SALU_CYCLE_1)
	s_and_saveexec_b32 s14, s15
	s_cbranch_execz .LBB244_8
; %bb.7:                                ;   in Loop: Header=BB244_2 Depth=1
	s_waitcnt lgkmcnt(0)
	v_bcnt_u32_b32 v0, v0, v32
	ds_store_b32 v34, v0
.LBB244_8:                              ;   in Loop: Header=BB244_2 Depth=1
	s_or_b32 exec_lo, exec_lo, s14
	v_bfe_u32 v0, v24, 24, 1
	v_lshrrev_b32_e32 v35, 24, v24
	; wave barrier
	s_delay_alu instid0(VALU_DEP_2) | instskip(NEXT) | instid1(VALU_DEP_1)
	v_add_co_u32 v0, s14, v0, -1
	v_cndmask_b32_e64 v1, 0, 1, s14
	s_delay_alu instid0(VALU_DEP_3)
	v_lshlrev_b32_e32 v2, 30, v35
	v_lshlrev_b32_e32 v3, 29, v35
	;; [unrolled: 1-line block ×4, first 2 shown]
	v_cmp_ne_u32_e64 s14, 0, v1
	v_not_b32_e32 v1, v2
	v_cmp_gt_i32_e64 s15, 0, v2
	v_not_b32_e32 v2, v3
	v_lshlrev_b32_e32 v6, 26, v35
	v_xor_b32_e32 v0, s14, v0
	v_ashrrev_i32_e32 v1, 31, v1
	v_cmp_gt_i32_e64 s14, 0, v3
	v_not_b32_e32 v3, v4
	v_ashrrev_i32_e32 v2, 31, v2
	v_and_b32_e32 v0, exec_lo, v0
	v_xor_b32_e32 v1, s15, v1
	v_cmp_gt_i32_e64 s15, 0, v4
	v_not_b32_e32 v4, v5
	v_ashrrev_i32_e32 v3, 31, v3
	v_xor_b32_e32 v2, s14, v2
	v_and_b32_e32 v0, v0, v1
	v_lshlrev_b32_e32 v1, 25, v35
	v_cmp_gt_i32_e64 s14, 0, v5
	v_ashrrev_i32_e32 v4, 31, v4
	v_xor_b32_e32 v3, s15, v3
	v_and_b32_e32 v0, v0, v2
	v_not_b32_e32 v5, v6
	v_not_b32_e32 v7, v1
	v_xor_b32_e32 v4, s14, v4
	v_cmp_gt_i32_e64 s14, 0, v6
	v_and_b32_e32 v0, v0, v3
	v_ashrrev_i32_e32 v3, 31, v5
	v_and_b32_e32 v2, 0xff000000, v24
	v_cmp_gt_i32_e64 s15, 0, v1
	v_ashrrev_i32_e32 v1, 31, v7
	v_and_b32_e32 v0, v0, v4
	v_not_b32_e32 v4, v24
	v_xor_b32_e32 v3, s14, v3
	v_lshlrev_b32_e32 v5, 1, v35
	v_xor_b32_e32 v1, s15, v1
	v_cmp_gt_i32_e64 s14, 0, v2
	v_ashrrev_i32_e32 v2, 31, v4
	v_and_b32_e32 v0, v0, v3
	v_add_lshl_u32 v3, v5, v19, 2
	s_delay_alu instid0(VALU_DEP_3) | instskip(NEXT) | instid1(VALU_DEP_3)
	v_xor_b32_e32 v2, s14, v2
	v_and_b32_e32 v0, v0, v1
	ds_load_b32 v36, v3 offset:8
	v_add_nc_u32_e32 v38, 8, v3
	; wave barrier
	v_and_b32_e32 v0, v0, v2
	s_delay_alu instid0(VALU_DEP_1) | instskip(SKIP_1) | instid1(VALU_DEP_2)
	v_mbcnt_lo_u32_b32 v37, v0, 0
	v_cmp_ne_u32_e64 s15, 0, v0
	v_cmp_eq_u32_e64 s14, 0, v37
	s_delay_alu instid0(VALU_DEP_1) | instskip(NEXT) | instid1(SALU_CYCLE_1)
	s_and_b32 s15, s15, s14
	s_and_saveexec_b32 s14, s15
	s_cbranch_execz .LBB244_10
; %bb.9:                                ;   in Loop: Header=BB244_2 Depth=1
	s_waitcnt lgkmcnt(0)
	v_bcnt_u32_b32 v0, v0, v36
	ds_store_b32 v38, v0
.LBB244_10:                             ;   in Loop: Header=BB244_2 Depth=1
	s_or_b32 exec_lo, exec_lo, s14
	; wave barrier
	s_waitcnt lgkmcnt(0)
	s_barrier
	buffer_gl0_inv
	ds_load_2addr_b64 v[4:7], v14 offset0:1 offset1:2
	ds_load_2addr_b64 v[0:3], v18 offset0:2 offset1:3
	s_waitcnt lgkmcnt(1)
	v_add_nc_u32_e32 v39, v5, v4
	s_delay_alu instid0(VALU_DEP_1) | instskip(SKIP_1) | instid1(VALU_DEP_1)
	v_add3_u32 v39, v39, v6, v7
	s_waitcnt lgkmcnt(0)
	v_add3_u32 v39, v39, v0, v1
	s_delay_alu instid0(VALU_DEP_1) | instskip(NEXT) | instid1(VALU_DEP_1)
	v_add3_u32 v3, v39, v2, v3
	v_mov_b32_dpp v39, v3 row_shr:1 row_mask:0xf bank_mask:0xf
	s_delay_alu instid0(VALU_DEP_1) | instskip(NEXT) | instid1(VALU_DEP_1)
	v_cndmask_b32_e64 v39, v39, 0, s3
	v_add_nc_u32_e32 v3, v39, v3
	s_delay_alu instid0(VALU_DEP_1) | instskip(NEXT) | instid1(VALU_DEP_1)
	v_mov_b32_dpp v39, v3 row_shr:2 row_mask:0xf bank_mask:0xf
	v_cndmask_b32_e64 v39, 0, v39, s4
	s_delay_alu instid0(VALU_DEP_1) | instskip(NEXT) | instid1(VALU_DEP_1)
	v_add_nc_u32_e32 v3, v3, v39
	v_mov_b32_dpp v39, v3 row_shr:4 row_mask:0xf bank_mask:0xf
	s_delay_alu instid0(VALU_DEP_1) | instskip(NEXT) | instid1(VALU_DEP_1)
	v_cndmask_b32_e64 v39, 0, v39, s5
	v_add_nc_u32_e32 v3, v3, v39
	s_delay_alu instid0(VALU_DEP_1) | instskip(NEXT) | instid1(VALU_DEP_1)
	v_mov_b32_dpp v39, v3 row_shr:8 row_mask:0xf bank_mask:0xf
	v_cndmask_b32_e64 v39, 0, v39, s6
	s_delay_alu instid0(VALU_DEP_1) | instskip(SKIP_3) | instid1(VALU_DEP_1)
	v_add_nc_u32_e32 v3, v3, v39
	ds_swizzle_b32 v39, v3 offset:swizzle(BROADCAST,32,15)
	s_waitcnt lgkmcnt(0)
	v_cndmask_b32_e64 v39, v39, 0, s7
	v_add_nc_u32_e32 v3, v3, v39
	s_and_saveexec_b32 s14, s8
	s_cbranch_execz .LBB244_12
; %bb.11:                               ;   in Loop: Header=BB244_2 Depth=1
	ds_store_b32 v21, v3
.LBB244_12:                             ;   in Loop: Header=BB244_2 Depth=1
	s_or_b32 exec_lo, exec_lo, s14
	s_waitcnt lgkmcnt(0)
	s_barrier
	buffer_gl0_inv
	s_and_saveexec_b32 s14, s9
	s_cbranch_execz .LBB244_14
; %bb.13:                               ;   in Loop: Header=BB244_2 Depth=1
	ds_load_b32 v39, v23
	s_waitcnt lgkmcnt(0)
	v_mov_b32_dpp v40, v39 row_shr:1 row_mask:0xf bank_mask:0xf
	s_delay_alu instid0(VALU_DEP_1) | instskip(NEXT) | instid1(VALU_DEP_1)
	v_cndmask_b32_e64 v40, v40, 0, s13
	v_add_nc_u32_e32 v39, v40, v39
	ds_store_b32 v23, v39
.LBB244_14:                             ;   in Loop: Header=BB244_2 Depth=1
	s_or_b32 exec_lo, exec_lo, s14
	v_mov_b32_e32 v39, 0
	s_waitcnt lgkmcnt(0)
	s_barrier
	buffer_gl0_inv
	s_and_saveexec_b32 s14, s10
	s_cbranch_execz .LBB244_1
; %bb.15:                               ;   in Loop: Header=BB244_2 Depth=1
	ds_load_b32 v39, v22
	s_branch .LBB244_1
.LBB244_16:
	s_add_u32 s0, s18, s20
	s_addc_u32 s1, s19, 0
	s_clause 0x3
	global_store_b8 v8, v3, s[0:1]
	global_store_b8 v8, v0, s[0:1] offset:64
	global_store_b8 v8, v4, s[0:1] offset:128
	;; [unrolled: 1-line block ×3, first 2 shown]
	s_nop 0
	s_sendmsg sendmsg(MSG_DEALLOC_VGPRS)
	s_endpgm
	.section	.rodata,"a",@progbits
	.p2align	6, 0x0
	.amdhsa_kernel _Z16sort_keys_kernelI22helper_blocked_stripedaLj64ELj4ELj10EEvPKT0_PS1_
		.amdhsa_group_segment_fixed_size 2064
		.amdhsa_private_segment_fixed_size 0
		.amdhsa_kernarg_size 272
		.amdhsa_user_sgpr_count 15
		.amdhsa_user_sgpr_dispatch_ptr 0
		.amdhsa_user_sgpr_queue_ptr 0
		.amdhsa_user_sgpr_kernarg_segment_ptr 1
		.amdhsa_user_sgpr_dispatch_id 0
		.amdhsa_user_sgpr_private_segment_size 0
		.amdhsa_wavefront_size32 1
		.amdhsa_uses_dynamic_stack 0
		.amdhsa_enable_private_segment 0
		.amdhsa_system_sgpr_workgroup_id_x 1
		.amdhsa_system_sgpr_workgroup_id_y 0
		.amdhsa_system_sgpr_workgroup_id_z 0
		.amdhsa_system_sgpr_workgroup_info 0
		.amdhsa_system_vgpr_workitem_id 2
		.amdhsa_next_free_vgpr 41
		.amdhsa_next_free_sgpr 21
		.amdhsa_reserve_vcc 1
		.amdhsa_float_round_mode_32 0
		.amdhsa_float_round_mode_16_64 0
		.amdhsa_float_denorm_mode_32 3
		.amdhsa_float_denorm_mode_16_64 3
		.amdhsa_dx10_clamp 1
		.amdhsa_ieee_mode 1
		.amdhsa_fp16_overflow 0
		.amdhsa_workgroup_processor_mode 1
		.amdhsa_memory_ordered 1
		.amdhsa_forward_progress 0
		.amdhsa_shared_vgpr_count 0
		.amdhsa_exception_fp_ieee_invalid_op 0
		.amdhsa_exception_fp_denorm_src 0
		.amdhsa_exception_fp_ieee_div_zero 0
		.amdhsa_exception_fp_ieee_overflow 0
		.amdhsa_exception_fp_ieee_underflow 0
		.amdhsa_exception_fp_ieee_inexact 0
		.amdhsa_exception_int_div_zero 0
	.end_amdhsa_kernel
	.section	.text._Z16sort_keys_kernelI22helper_blocked_stripedaLj64ELj4ELj10EEvPKT0_PS1_,"axG",@progbits,_Z16sort_keys_kernelI22helper_blocked_stripedaLj64ELj4ELj10EEvPKT0_PS1_,comdat
.Lfunc_end244:
	.size	_Z16sort_keys_kernelI22helper_blocked_stripedaLj64ELj4ELj10EEvPKT0_PS1_, .Lfunc_end244-_Z16sort_keys_kernelI22helper_blocked_stripedaLj64ELj4ELj10EEvPKT0_PS1_
                                        ; -- End function
	.section	.AMDGPU.csdata,"",@progbits
; Kernel info:
; codeLenInByte = 3632
; NumSgprs: 23
; NumVgprs: 41
; ScratchSize: 0
; MemoryBound: 0
; FloatMode: 240
; IeeeMode: 1
; LDSByteSize: 2064 bytes/workgroup (compile time only)
; SGPRBlocks: 2
; VGPRBlocks: 5
; NumSGPRsForWavesPerEU: 23
; NumVGPRsForWavesPerEU: 41
; Occupancy: 16
; WaveLimiterHint : 0
; COMPUTE_PGM_RSRC2:SCRATCH_EN: 0
; COMPUTE_PGM_RSRC2:USER_SGPR: 15
; COMPUTE_PGM_RSRC2:TRAP_HANDLER: 0
; COMPUTE_PGM_RSRC2:TGID_X_EN: 1
; COMPUTE_PGM_RSRC2:TGID_Y_EN: 0
; COMPUTE_PGM_RSRC2:TGID_Z_EN: 0
; COMPUTE_PGM_RSRC2:TIDIG_COMP_CNT: 2
	.section	.text._Z17sort_pairs_kernelI22helper_blocked_stripedaLj64ELj4ELj10EEvPKT0_PS1_,"axG",@progbits,_Z17sort_pairs_kernelI22helper_blocked_stripedaLj64ELj4ELj10EEvPKT0_PS1_,comdat
	.protected	_Z17sort_pairs_kernelI22helper_blocked_stripedaLj64ELj4ELj10EEvPKT0_PS1_ ; -- Begin function _Z17sort_pairs_kernelI22helper_blocked_stripedaLj64ELj4ELj10EEvPKT0_PS1_
	.globl	_Z17sort_pairs_kernelI22helper_blocked_stripedaLj64ELj4ELj10EEvPKT0_PS1_
	.p2align	8
	.type	_Z17sort_pairs_kernelI22helper_blocked_stripedaLj64ELj4ELj10EEvPKT0_PS1_,@function
_Z17sort_pairs_kernelI22helper_blocked_stripedaLj64ELj4ELj10EEvPKT0_PS1_: ; @_Z17sort_pairs_kernelI22helper_blocked_stripedaLj64ELj4ELj10EEvPKT0_PS1_
; %bb.0:
	s_clause 0x1
	s_load_b128 s[16:19], s[0:1], 0x0
	s_load_b32 s13, s[0:1], 0x1c
	v_and_b32_e32 v8, 0x3ff, v0
	s_lshl_b32 s20, s15, 8
	v_mbcnt_lo_u32_b32 v2, -1, 0
	v_bfe_u32 v4, v0, 10, 10
	v_bfe_u32 v0, v0, 20, 10
	v_lshlrev_b32_e32 v1, 2, v8
	s_delay_alu instid0(VALU_DEP_4)
	v_and_b32_e32 v3, 3, v2
	v_add_nc_u32_e32 v7, -1, v2
	v_and_b32_e32 v6, 16, v2
	v_and_b32_e32 v13, 28, v2
	;; [unrolled: 1-line block ×3, first 2 shown]
	v_cmp_eq_u32_e32 vcc_lo, 0, v2
	v_cmp_gt_i32_e64 s11, 0, v7
	v_and_b32_e32 v18, 1, v2
	v_cmp_eq_u32_e64 s8, 0, v6
	v_cmp_eq_u32_e64 s4, 0, v5
	v_cmp_lt_u32_e64 s5, 1, v5
	s_waitcnt lgkmcnt(0)
	s_add_u32 s0, s16, s20
	s_addc_u32 s1, s17, 0
	v_cndmask_b32_e64 v6, v7, v2, s11
	global_load_b32 v1, v1, s[0:1]
	s_mov_b32 s0, 0
	s_lshr_b32 s14, s13, 16
	s_mov_b32 s1, s0
	s_mov_b32 s2, s0
	v_mov_b32_e32 v10, s1
	s_mov_b32 s3, s0
	s_delay_alu instid0(SALU_CYCLE_1)
	v_dual_mov_b32 v9, s0 :: v_dual_mov_b32 v12, s3
	v_mov_b32_e32 v11, s2
	v_cmp_eq_u32_e64 s0, 3, v3
	v_cmp_eq_u32_e64 s1, 2, v3
	;; [unrolled: 1-line block ×4, first 2 shown]
	v_mad_u32_u24 v0, v0, s14, v4
	v_lshrrev_b32_e32 v20, 3, v8
	s_and_b32 s13, s13, 0xffff
	v_lshlrev_b32_e32 v17, 5, v8
	v_cmp_lt_u32_e64 s6, 3, v5
	v_cmp_lt_u32_e64 s7, 7, v5
	v_or_b32_e32 v5, 31, v8
	v_mul_u32_u24_e32 v23, 3, v8
	v_or_b32_e32 v14, 32, v13
	v_or_b32_e32 v15, 64, v13
	;; [unrolled: 1-line block ×3, first 2 shown]
	v_cmp_gt_u32_e64 s9, 2, v8
	v_cmp_lt_u32_e64 s10, 31, v8
	v_cmp_eq_u32_e64 s11, 0, v8
	v_cmp_eq_u32_e64 s12, 0, v18
	v_or_b32_e32 v18, 8, v17
	v_add_nc_u32_e32 v23, v8, v23
	s_mov_b32 s16, 10
	s_waitcnt vmcnt(0)
	v_lshrrev_b32_e32 v3, 16, v1
	v_lshrrev_b32_e32 v2, 8, v1
	;; [unrolled: 1-line block ×3, first 2 shown]
	v_add_nc_u16 v19, v1, 1
	s_delay_alu instid0(VALU_DEP_4) | instskip(NEXT) | instid1(VALU_DEP_4)
	v_add_nc_u16 v3, v3, 1
	v_lshlrev_b16 v2, 8, v2
	s_delay_alu instid0(VALU_DEP_4) | instskip(NEXT) | instid1(VALU_DEP_4)
	v_lshlrev_b16 v7, 8, v7
	v_and_b32_e32 v19, 0xff, v19
	s_delay_alu instid0(VALU_DEP_4) | instskip(NEXT) | instid1(VALU_DEP_2)
	v_and_b32_e32 v3, 0xff, v3
	v_or_b32_e32 v2, v2, v19
	v_and_b32_e32 v19, 4, v20
	s_delay_alu instid0(VALU_DEP_3) | instskip(SKIP_1) | instid1(VALU_DEP_4)
	v_or_b32_e32 v3, v7, v3
	v_lshlrev_b32_e32 v20, 2, v6
	v_add_nc_u16 v4, v2, 0x100
	s_delay_alu instid0(VALU_DEP_4) | instskip(NEXT) | instid1(VALU_DEP_4)
	v_add_nc_u32_e32 v21, -4, v19
	v_add_nc_u16 v7, v3, 0x100
	v_mad_u64_u32 v[2:3], null, v0, s13, v[8:9]
	s_delay_alu instid0(VALU_DEP_4) | instskip(SKIP_1) | instid1(VALU_DEP_4)
	v_and_b32_e32 v0, 0xffff, v4
	v_cmp_eq_u32_e64 s13, v5, v8
	v_lshlrev_b32_e32 v3, 16, v7
	s_delay_alu instid0(VALU_DEP_4) | instskip(NEXT) | instid1(VALU_DEP_2)
	v_lshrrev_b32_e32 v22, 5, v2
	v_or_b32_e32 v0, v0, v3
	s_branch .LBB245_2
.LBB245_1:                              ;   in Loop: Header=BB245_2 Depth=1
	s_or_b32 exec_lo, exec_lo, s14
	v_perm_b32 v35, v35, v30, 0x3020104
	s_waitcnt lgkmcnt(0)
	v_add_nc_u32_e32 v3, v55, v3
	v_and_b32_e32 v25, 0xff, v25
	s_add_i32 s16, s16, -1
	s_delay_alu instid0(SALU_CYCLE_1) | instskip(SKIP_3) | instid1(VALU_DEP_1)
	s_cmp_eq_u32 s16, 0
	v_cndmask_b32_e64 v30, v30, v35, s2
	ds_bpermute_b32 v3, v20, v3
	v_perm_b32 v34, v34, v30, 0x3020104
	v_cndmask_b32_e64 v30, v30, v34, s1
	s_delay_alu instid0(VALU_DEP_1) | instskip(NEXT) | instid1(VALU_DEP_1)
	v_perm_b32 v33, v33, v30, 0x3020104
	v_cndmask_b32_e64 v30, v30, v33, s0
	s_waitcnt lgkmcnt(0)
	v_cndmask_b32_e32 v3, v3, v55, vcc_lo
	s_delay_alu instid0(VALU_DEP_2) | instskip(NEXT) | instid1(VALU_DEP_2)
	v_perm_b32 v31, v30, v31, 0x7060004
	v_cndmask_b32_e64 v3, v3, 0, s11
	s_delay_alu instid0(VALU_DEP_2) | instskip(NEXT) | instid1(VALU_DEP_2)
	v_cndmask_b32_e64 v30, v30, v31, s3
	v_add_nc_u32_e32 v4, v3, v4
	s_delay_alu instid0(VALU_DEP_2) | instskip(NEXT) | instid1(VALU_DEP_2)
	v_perm_b32 v31, v30, v32, 0x7060004
	v_add_nc_u32_e32 v5, v4, v5
	s_delay_alu instid0(VALU_DEP_2) | instskip(NEXT) | instid1(VALU_DEP_2)
	v_cndmask_b32_e64 v30, v30, v31, s2
	v_add_nc_u32_e32 v6, v5, v6
	s_delay_alu instid0(VALU_DEP_2) | instskip(NEXT) | instid1(VALU_DEP_1)
	v_perm_b32 v28, v30, v28, 0x7060004
	v_cndmask_b32_e64 v28, v30, v28, s1
	v_lshlrev_b16 v30, 8, v37
	s_delay_alu instid0(VALU_DEP_2) | instskip(NEXT) | instid1(VALU_DEP_1)
	v_perm_b32 v27, v28, v27, 0x7060004
	v_cndmask_b32_e64 v27, v28, v27, s0
	s_delay_alu instid0(VALU_DEP_1) | instskip(NEXT) | instid1(VALU_DEP_1)
	v_lshrrev_b32_e32 v28, 16, v27
	v_and_b32_e32 v28, 0xffffff00, v28
	s_delay_alu instid0(VALU_DEP_1) | instskip(SKIP_1) | instid1(VALU_DEP_2)
	v_or_b32_e32 v25, v25, v28
	v_and_b32_e32 v28, 0xff, v43
	v_lshlrev_b32_e32 v25, 16, v25
	s_delay_alu instid0(VALU_DEP_1) | instskip(NEXT) | instid1(VALU_DEP_1)
	v_and_or_b32 v25, 0xffff, v27, v25
	v_cndmask_b32_e64 v25, v27, v25, s3
	s_delay_alu instid0(VALU_DEP_1) | instskip(NEXT) | instid1(VALU_DEP_1)
	v_lshrrev_b32_e32 v27, 16, v25
	v_and_b32_e32 v27, 0xffffff00, v27
	s_delay_alu instid0(VALU_DEP_1) | instskip(SKIP_1) | instid1(VALU_DEP_2)
	v_or_b32_e32 v27, v28, v27
	v_and_b32_e32 v28, 0xff, v42
	v_lshlrev_b32_e32 v27, 16, v27
	s_delay_alu instid0(VALU_DEP_1) | instskip(NEXT) | instid1(VALU_DEP_1)
	v_and_or_b32 v27, 0xffff, v25, v27
	;; [unrolled: 10-line block ×3, first 2 shown]
	v_cndmask_b32_e64 v25, v25, v27, s1
	s_delay_alu instid0(VALU_DEP_1) | instskip(NEXT) | instid1(VALU_DEP_1)
	v_lshrrev_b32_e32 v27, 16, v25
	v_and_b32_e32 v27, 0xffffff00, v27
	s_delay_alu instid0(VALU_DEP_1) | instskip(SKIP_1) | instid1(VALU_DEP_2)
	v_or_b32_e32 v27, v28, v27
	v_lshlrev_b16 v28, 8, v40
	v_lshlrev_b32_e32 v27, 16, v27
	s_delay_alu instid0(VALU_DEP_1) | instskip(NEXT) | instid1(VALU_DEP_1)
	v_and_or_b32 v27, 0xffff, v25, v27
	v_cndmask_b32_e64 v25, v25, v27, s0
	s_delay_alu instid0(VALU_DEP_1) | instskip(NEXT) | instid1(VALU_DEP_1)
	v_lshrrev_b32_e32 v27, 16, v25
	v_and_b32_e32 v27, 0xff, v27
	s_delay_alu instid0(VALU_DEP_1) | instskip(SKIP_1) | instid1(VALU_DEP_2)
	v_or_b32_e32 v27, v27, v28
	v_lshlrev_b16 v28, 8, v39
	v_lshlrev_b32_e32 v27, 16, v27
	s_delay_alu instid0(VALU_DEP_1) | instskip(NEXT) | instid1(VALU_DEP_1)
	v_and_or_b32 v27, 0xffff, v25, v27
	v_cndmask_b32_e64 v25, v25, v27, s3
	s_delay_alu instid0(VALU_DEP_1) | instskip(NEXT) | instid1(VALU_DEP_1)
	v_lshrrev_b32_e32 v27, 16, v25
	v_and_b32_e32 v27, 0xff, v27
	s_delay_alu instid0(VALU_DEP_1) | instskip(NEXT) | instid1(VALU_DEP_1)
	v_or_b32_e32 v27, v27, v28
	v_lshlrev_b32_e32 v27, 16, v27
	s_delay_alu instid0(VALU_DEP_1) | instskip(NEXT) | instid1(VALU_DEP_1)
	v_and_or_b32 v27, 0xffff, v25, v27
	v_cndmask_b32_e64 v25, v25, v27, s2
	v_add_nc_u32_e32 v27, v6, v7
	s_delay_alu instid0(VALU_DEP_2) | instskip(NEXT) | instid1(VALU_DEP_2)
	v_lshrrev_b32_e32 v7, 16, v25
	v_add_nc_u32_e32 v28, v27, v0
	s_delay_alu instid0(VALU_DEP_2) | instskip(NEXT) | instid1(VALU_DEP_2)
	v_and_b32_e32 v7, 0xff, v7
	v_add_nc_u32_e32 v0, v28, v1
	s_delay_alu instid0(VALU_DEP_2) | instskip(NEXT) | instid1(VALU_DEP_2)
	v_or_b32_e32 v7, v7, v30
	v_add_nc_u32_e32 v1, v0, v2
	ds_store_2addr_b64 v17, v[3:4], v[5:6] offset0:1 offset1:2
	ds_store_2addr_b64 v18, v[27:28], v[0:1] offset0:2 offset1:3
	v_lshlrev_b32_e32 v2, 16, v7
	s_waitcnt lgkmcnt(0)
	s_barrier
	buffer_gl0_inv
	v_lshlrev_b16 v6, 8, v26
	v_and_or_b32 v0, 0xffff, v25, v2
	ds_load_b32 v1, v36
	ds_load_b32 v2, v46
	;; [unrolled: 1-line block ×4, first 2 shown]
	s_waitcnt lgkmcnt(0)
	s_barrier
	v_cndmask_b32_e64 v0, v25, v0, s1
	buffer_gl0_inv
	v_lshrrev_b32_e32 v5, 16, v0
	s_delay_alu instid0(VALU_DEP_1) | instskip(SKIP_1) | instid1(VALU_DEP_2)
	v_and_b32_e32 v5, 0xff, v5
	v_add_nc_u32_e32 v1, v1, v29
	v_or_b32_e32 v5, v5, v6
	v_add3_u32 v2, v45, v44, v2
	v_add3_u32 v4, v53, v52, v4
	;; [unrolled: 1-line block ×3, first 2 shown]
	ds_store_b8 v1, v24
	ds_store_b8 v2, v38
	;; [unrolled: 1-line block ×3, first 2 shown]
	v_lshlrev_b32_e32 v5, 16, v5
	ds_store_b8 v4, v51
	s_waitcnt lgkmcnt(0)
	s_barrier
	buffer_gl0_inv
	v_and_or_b32 v5, 0xffff, v0, v5
	ds_load_u8 v7, v8
	ds_load_u8 v6, v8 offset:64
	ds_load_u8 v25, v8 offset:128
	;; [unrolled: 1-line block ×3, first 2 shown]
	s_waitcnt lgkmcnt(0)
	s_barrier
	buffer_gl0_inv
	v_cndmask_b32_e64 v0, v0, v5, s0
	s_delay_alu instid0(VALU_DEP_1)
	v_lshrrev_b32_e32 v5, 8, v0
	v_lshrrev_b32_e32 v24, 24, v0
	ds_store_b8 v1, v0
	ds_store_b8 v2, v5
	ds_store_b8_d16_hi v3, v0
	ds_store_b8 v4, v24
	s_waitcnt lgkmcnt(0)
	s_barrier
	buffer_gl0_inv
	ds_load_u8 v2, v8 offset:64
	ds_load_u8 v3, v8 offset:192
	ds_load_u8 v5, v8
	ds_load_u8 v4, v8 offset:128
	v_xor_b32_e32 v6, 0xffffff80, v6
	v_xor_b32_e32 v24, 0xffffff80, v7
	;; [unrolled: 1-line block ×4, first 2 shown]
	s_delay_alu instid0(VALU_DEP_4) | instskip(NEXT) | instid1(VALU_DEP_4)
	v_lshlrev_b16 v0, 8, v6
	v_and_b32_e32 v1, 0xff, v24
	s_delay_alu instid0(VALU_DEP_4) | instskip(NEXT) | instid1(VALU_DEP_4)
	v_lshlrev_b16 v26, 8, v7
	v_and_b32_e32 v27, 0xff, v25
	s_delay_alu instid0(VALU_DEP_3) | instskip(NEXT) | instid1(VALU_DEP_2)
	v_or_b32_e32 v0, v1, v0
	v_or_b32_e32 v1, v27, v26
	s_waitcnt lgkmcnt(3)
	v_lshlrev_b16 v28, 8, v2
	s_waitcnt lgkmcnt(2)
	v_lshlrev_b16 v29, 8, v3
	v_and_b32_e32 v0, 0xffff, v0
	v_lshlrev_b32_e32 v1, 16, v1
	s_waitcnt lgkmcnt(1)
	v_or_b32_e32 v26, v5, v28
	s_waitcnt lgkmcnt(0)
	v_or_b32_e32 v27, v4, v29
	v_or_b32_e32 v1, v0, v1
	s_delay_alu instid0(VALU_DEP_3) | instskip(NEXT) | instid1(VALU_DEP_3)
	v_and_b32_e32 v26, 0xffff, v26
	v_lshlrev_b32_e32 v27, 16, v27
	s_delay_alu instid0(VALU_DEP_1)
	v_or_b32_e32 v0, v26, v27
	s_cbranch_scc1 .LBB245_16
.LBB245_2:                              ; =>This Inner Loop Header: Depth=1
	v_lshrrev_b32_e32 v2, 8, v1
	v_xor_b32_e32 v3, 0x80, v1
	v_lshrrev_b32_e32 v4, 16, v1
	v_lshrrev_b32_e32 v1, 24, v1
	s_delay_alu instid0(VALU_DEP_4) | instskip(NEXT) | instid1(VALU_DEP_4)
	v_xor_b32_e32 v2, 0x80, v2
	v_and_b32_e32 v3, 0xff, v3
	s_delay_alu instid0(VALU_DEP_4) | instskip(NEXT) | instid1(VALU_DEP_4)
	v_xor_b32_e32 v4, 0x80, v4
	v_xor_b32_e32 v1, 0x80, v1
	s_barrier
	v_and_b32_e32 v2, 0xff, v2
	ds_bpermute_b32 v5, v13, v3
	v_and_b32_e32 v4, 0xff, v4
	v_and_b32_e32 v1, 0xffff, v1
	s_waitcnt lgkmcnt(0)
	buffer_gl0_inv
	ds_bpermute_b32 v6, v13, v2
	ds_store_2addr_b64 v17, v[9:10], v[11:12] offset0:1 offset1:2
	ds_store_2addr_b64 v18, v[9:10], v[11:12] offset0:2 offset1:3
	ds_bpermute_b32 v7, v13, v4
	ds_bpermute_b32 v24, v13, v1
	s_waitcnt lgkmcnt(0)
	s_barrier
	buffer_gl0_inv
	; wave barrier
	v_perm_b32 v6, v6, v5, 0x3020104
	s_delay_alu instid0(VALU_DEP_1) | instskip(SKIP_2) | instid1(VALU_DEP_1)
	v_cndmask_b32_e64 v5, v5, v6, s2
	ds_bpermute_b32 v6, v14, v3
	v_perm_b32 v7, v7, v5, 0x3020104
	v_cndmask_b32_e64 v5, v5, v7, s1
	s_delay_alu instid0(VALU_DEP_1) | instskip(SKIP_4) | instid1(VALU_DEP_2)
	v_perm_b32 v7, v24, v5, 0x3020104
	ds_bpermute_b32 v24, v14, v2
	v_cndmask_b32_e64 v5, v5, v7, s0
	s_waitcnt lgkmcnt(1)
	v_lshlrev_b16 v6, 8, v6
	v_and_b32_e32 v7, 0xff, v5
	s_delay_alu instid0(VALU_DEP_1) | instskip(NEXT) | instid1(VALU_DEP_1)
	v_or_b32_e32 v6, v7, v6
	v_and_b32_e32 v6, 0xffff, v6
	s_delay_alu instid0(VALU_DEP_1) | instskip(NEXT) | instid1(VALU_DEP_1)
	v_and_or_b32 v6, 0xffff0000, v5, v6
	v_cndmask_b32_e64 v5, v5, v6, s3
	s_waitcnt lgkmcnt(0)
	v_lshlrev_b16 v6, 8, v24
	ds_bpermute_b32 v24, v14, v4
	v_and_b32_e32 v7, 0xff, v5
	s_delay_alu instid0(VALU_DEP_1) | instskip(NEXT) | instid1(VALU_DEP_1)
	v_or_b32_e32 v6, v7, v6
	v_and_b32_e32 v6, 0xffff, v6
	s_delay_alu instid0(VALU_DEP_1) | instskip(NEXT) | instid1(VALU_DEP_1)
	v_and_or_b32 v6, 0xffff0000, v5, v6
	v_cndmask_b32_e64 v5, v5, v6, s2
	s_waitcnt lgkmcnt(0)
	v_lshlrev_b16 v6, 8, v24
	ds_bpermute_b32 v24, v14, v1
	v_and_b32_e32 v7, 0xff, v5
	s_delay_alu instid0(VALU_DEP_1) | instskip(NEXT) | instid1(VALU_DEP_1)
	v_or_b32_e32 v6, v7, v6
	v_and_b32_e32 v6, 0xffff, v6
	s_delay_alu instid0(VALU_DEP_1) | instskip(NEXT) | instid1(VALU_DEP_1)
	v_and_or_b32 v6, 0xffff0000, v5, v6
	v_cndmask_b32_e64 v5, v5, v6, s1
	s_waitcnt lgkmcnt(0)
	v_lshlrev_b16 v6, 8, v24
	s_delay_alu instid0(VALU_DEP_2) | instskip(NEXT) | instid1(VALU_DEP_1)
	v_and_b32_e32 v7, 0xff, v5
	v_or_b32_e32 v6, v7, v6
	ds_bpermute_b32 v7, v15, v3
	ds_bpermute_b32 v3, v16, v3
	v_and_b32_e32 v6, 0xffff, v6
	s_delay_alu instid0(VALU_DEP_1) | instskip(NEXT) | instid1(VALU_DEP_1)
	v_and_or_b32 v6, 0xffff0000, v5, v6
	v_cndmask_b32_e64 v5, v5, v6, s0
	s_delay_alu instid0(VALU_DEP_1)
	v_lshrrev_b32_e32 v6, 16, v5
	s_waitcnt lgkmcnt(1)
	v_and_b32_e32 v7, 0xff, v7
	s_waitcnt lgkmcnt(0)
	v_lshlrev_b16 v3, 8, v3
	v_and_b32_e32 v6, 0xffffff00, v6
	s_delay_alu instid0(VALU_DEP_1) | instskip(SKIP_3) | instid1(VALU_DEP_1)
	v_or_b32_e32 v6, v7, v6
	ds_bpermute_b32 v7, v15, v2
	ds_bpermute_b32 v2, v16, v2
	v_lshlrev_b32_e32 v6, 16, v6
	v_and_or_b32 v6, 0xffff, v5, v6
	s_delay_alu instid0(VALU_DEP_1) | instskip(NEXT) | instid1(VALU_DEP_1)
	v_cndmask_b32_e64 v5, v5, v6, s3
	v_lshrrev_b32_e32 v6, 16, v5
	s_waitcnt lgkmcnt(1)
	v_and_b32_e32 v7, 0xff, v7
	s_waitcnt lgkmcnt(0)
	v_lshlrev_b16 v2, 8, v2
	v_and_b32_e32 v6, 0xffffff00, v6
	s_delay_alu instid0(VALU_DEP_1) | instskip(SKIP_3) | instid1(VALU_DEP_1)
	v_or_b32_e32 v6, v7, v6
	ds_bpermute_b32 v7, v15, v4
	ds_bpermute_b32 v4, v16, v4
	v_lshlrev_b32_e32 v6, 16, v6
	v_and_or_b32 v6, 0xffff, v5, v6
	s_delay_alu instid0(VALU_DEP_1) | instskip(NEXT) | instid1(VALU_DEP_1)
	v_cndmask_b32_e64 v5, v5, v6, s2
	;; [unrolled: 14-line block ×3, first 2 shown]
	v_lshrrev_b32_e32 v6, 16, v5
	s_waitcnt lgkmcnt(1)
	v_and_b32_e32 v7, 0xff, v7
	s_waitcnt lgkmcnt(0)
	v_lshlrev_b16 v1, 8, v1
	v_and_b32_e32 v6, 0xffffff00, v6
	s_delay_alu instid0(VALU_DEP_1) | instskip(NEXT) | instid1(VALU_DEP_1)
	v_or_b32_e32 v6, v7, v6
	v_lshlrev_b32_e32 v6, 16, v6
	s_delay_alu instid0(VALU_DEP_1) | instskip(NEXT) | instid1(VALU_DEP_1)
	v_and_or_b32 v6, 0xffff, v5, v6
	v_cndmask_b32_e64 v5, v5, v6, s0
	s_delay_alu instid0(VALU_DEP_1) | instskip(NEXT) | instid1(VALU_DEP_1)
	v_lshrrev_b32_e32 v6, 16, v5
	v_and_b32_e32 v6, 0xff, v6
	s_delay_alu instid0(VALU_DEP_1) | instskip(NEXT) | instid1(VALU_DEP_1)
	v_or_b32_e32 v3, v6, v3
	v_lshlrev_b32_e32 v3, 16, v3
	s_delay_alu instid0(VALU_DEP_1) | instskip(NEXT) | instid1(VALU_DEP_1)
	v_and_or_b32 v3, 0xffff, v5, v3
	v_cndmask_b32_e64 v3, v5, v3, s3
	s_delay_alu instid0(VALU_DEP_1) | instskip(NEXT) | instid1(VALU_DEP_1)
	v_lshrrev_b32_e32 v5, 16, v3
	v_and_b32_e32 v5, 0xff, v5
	s_delay_alu instid0(VALU_DEP_1) | instskip(SKIP_1) | instid1(VALU_DEP_2)
	v_or_b32_e32 v2, v5, v2
	v_bfe_u32 v5, v0, 16, 8
	v_lshlrev_b32_e32 v2, 16, v2
	ds_bpermute_b32 v34, v13, v5
	ds_bpermute_b32 v28, v14, v5
	;; [unrolled: 1-line block ×3, first 2 shown]
	v_and_or_b32 v2, 0xffff, v3, v2
	s_delay_alu instid0(VALU_DEP_1) | instskip(NEXT) | instid1(VALU_DEP_1)
	v_cndmask_b32_e64 v2, v3, v2, s2
	v_lshrrev_b32_e32 v3, 16, v2
	s_delay_alu instid0(VALU_DEP_1) | instskip(NEXT) | instid1(VALU_DEP_1)
	v_and_b32_e32 v3, 0xff, v3
	v_or_b32_e32 v3, v3, v4
	v_bfe_u32 v4, v0, 8, 8
	s_delay_alu instid0(VALU_DEP_2)
	v_lshlrev_b32_e32 v3, 16, v3
	ds_bpermute_b32 v35, v13, v4
	ds_bpermute_b32 v32, v14, v4
	;; [unrolled: 1-line block ×4, first 2 shown]
	v_and_or_b32 v3, 0xffff, v2, v3
	s_delay_alu instid0(VALU_DEP_1) | instskip(NEXT) | instid1(VALU_DEP_1)
	v_cndmask_b32_e64 v2, v2, v3, s1
	v_lshrrev_b32_e32 v3, 16, v2
	s_delay_alu instid0(VALU_DEP_1) | instskip(NEXT) | instid1(VALU_DEP_1)
	v_and_b32_e32 v3, 0xff, v3
	v_or_b32_e32 v1, v3, v1
	v_and_b32_e32 v3, 0xff, v0
	v_lshrrev_b32_e32 v0, 24, v0
	s_delay_alu instid0(VALU_DEP_3)
	v_lshlrev_b32_e32 v1, 16, v1
	ds_bpermute_b32 v30, v13, v3
	ds_bpermute_b32 v31, v14, v3
	;; [unrolled: 1-line block ×4, first 2 shown]
	v_and_or_b32 v1, 0xffff, v2, v1
	ds_bpermute_b32 v33, v13, v0
	ds_bpermute_b32 v27, v14, v0
	;; [unrolled: 1-line block ×3, first 2 shown]
	v_cndmask_b32_e64 v24, v2, v1, s0
	s_delay_alu instid0(VALU_DEP_1)
	v_and_b32_e32 v1, 1, v24
	v_lshlrev_b32_e32 v2, 30, v24
	v_lshlrev_b32_e32 v6, 29, v24
	;; [unrolled: 1-line block ×4, first 2 shown]
	v_add_co_u32 v1, s14, v1, -1
	s_delay_alu instid0(VALU_DEP_1)
	v_cndmask_b32_e64 v26, 0, 1, s14
	v_not_b32_e32 v38, v2
	v_cmp_gt_i32_e64 s15, 0, v2
	v_not_b32_e32 v2, v6
	v_lshlrev_b32_e32 v36, 26, v24
	v_cmp_ne_u32_e64 s14, 0, v26
	v_ashrrev_i32_e32 v38, 31, v38
	v_lshlrev_b32_e32 v37, 25, v24
	v_ashrrev_i32_e32 v2, 31, v2
	v_lshlrev_b32_e32 v26, 24, v24
	v_xor_b32_e32 v1, s14, v1
	v_cmp_gt_i32_e64 s14, 0, v6
	v_not_b32_e32 v6, v7
	v_xor_b32_e32 v38, s15, v38
	v_cmp_gt_i32_e64 s15, 0, v7
	v_and_b32_e32 v1, exec_lo, v1
	v_not_b32_e32 v7, v29
	v_ashrrev_i32_e32 v6, 31, v6
	v_xor_b32_e32 v2, s14, v2
	v_cmp_gt_i32_e64 s14, 0, v29
	v_and_b32_e32 v1, v1, v38
	v_not_b32_e32 v29, v36
	v_ashrrev_i32_e32 v7, 31, v7
	v_xor_b32_e32 v6, s15, v6
	v_cmp_gt_i32_e64 s15, 0, v36
	v_and_b32_e32 v1, v1, v2
	;; [unrolled: 5-line block ×4, first 2 shown]
	v_ashrrev_i32_e32 v6, 31, v6
	v_xor_b32_e32 v2, s14, v2
	ds_bpermute_b32 v37, v16, v5
	ds_bpermute_b32 v26, v16, v0
	v_and_b32_e32 v1, v1, v29
	v_xor_b32_e32 v3, s15, v6
	s_delay_alu instid0(VALU_DEP_2) | instskip(NEXT) | instid1(VALU_DEP_1)
	v_and_b32_e32 v1, v1, v2
	v_and_b32_e32 v0, v1, v3
	;; [unrolled: 1-line block ×3, first 2 shown]
	s_delay_alu instid0(VALU_DEP_2) | instskip(NEXT) | instid1(VALU_DEP_2)
	v_mbcnt_lo_u32_b32 v29, v0, 0
	v_lshl_add_u32 v1, v1, 1, v22
	v_cmp_ne_u32_e64 s15, 0, v0
	s_delay_alu instid0(VALU_DEP_3) | instskip(NEXT) | instid1(VALU_DEP_3)
	v_cmp_eq_u32_e64 s14, 0, v29
	v_lshl_add_u32 v36, v1, 2, 8
	s_delay_alu instid0(VALU_DEP_2) | instskip(NEXT) | instid1(SALU_CYCLE_1)
	s_and_b32 s15, s15, s14
	s_and_saveexec_b32 s14, s15
	s_cbranch_execz .LBB245_4
; %bb.3:                                ;   in Loop: Header=BB245_2 Depth=1
	v_bcnt_u32_b32 v0, v0, 0
	ds_store_b32 v36, v0
.LBB245_4:                              ;   in Loop: Header=BB245_2 Depth=1
	s_or_b32 exec_lo, exec_lo, s14
	v_bfe_u32 v0, v24, 8, 1
	v_lshrrev_b32_e32 v38, 8, v24
	; wave barrier
	s_delay_alu instid0(VALU_DEP_2) | instskip(NEXT) | instid1(VALU_DEP_1)
	v_add_co_u32 v0, s14, v0, -1
	v_cndmask_b32_e64 v1, 0, 1, s14
	s_delay_alu instid0(VALU_DEP_3)
	v_lshlrev_b32_e32 v2, 30, v38
	v_lshlrev_b32_e32 v3, 29, v38
	;; [unrolled: 1-line block ×4, first 2 shown]
	v_cmp_ne_u32_e64 s14, 0, v1
	v_not_b32_e32 v1, v2
	v_cmp_gt_i32_e64 s15, 0, v2
	v_not_b32_e32 v2, v3
	v_lshlrev_b32_e32 v6, 26, v38
	v_xor_b32_e32 v0, s14, v0
	v_ashrrev_i32_e32 v1, 31, v1
	v_cmp_gt_i32_e64 s14, 0, v3
	v_not_b32_e32 v3, v4
	v_ashrrev_i32_e32 v2, 31, v2
	v_and_b32_e32 v0, exec_lo, v0
	v_xor_b32_e32 v1, s15, v1
	v_cmp_gt_i32_e64 s15, 0, v4
	v_not_b32_e32 v4, v5
	v_ashrrev_i32_e32 v3, 31, v3
	v_xor_b32_e32 v2, s14, v2
	v_and_b32_e32 v0, v0, v1
	v_cmp_gt_i32_e64 s14, 0, v5
	v_not_b32_e32 v1, v6
	v_ashrrev_i32_e32 v4, 31, v4
	v_xor_b32_e32 v3, s15, v3
	v_and_b32_e32 v0, v0, v2
	v_lshlrev_b32_e32 v2, 25, v38
	v_cmp_gt_i32_e64 s15, 0, v6
	v_ashrrev_i32_e32 v1, 31, v1
	v_xor_b32_e32 v4, s14, v4
	v_and_b32_e32 v0, v0, v3
	v_not_b32_e32 v5, v2
	v_lshlrev_b32_e32 v6, 24, v38
	v_lshrrev_b32_e32 v3, 7, v24
	v_xor_b32_e32 v1, s15, v1
	v_and_b32_e32 v0, v0, v4
	v_cmp_gt_i32_e64 s14, 0, v2
	v_ashrrev_i32_e32 v2, 31, v5
	v_not_b32_e32 v4, v6
	v_and_b32_e32 v3, 0x1fe, v3
	v_and_b32_e32 v0, v0, v1
	s_delay_alu instid0(VALU_DEP_4) | instskip(SKIP_3) | instid1(VALU_DEP_4)
	v_xor_b32_e32 v1, s14, v2
	v_cmp_gt_i32_e64 s14, 0, v6
	v_ashrrev_i32_e32 v2, 31, v4
	v_add_lshl_u32 v3, v22, v3, 2
	v_and_b32_e32 v0, v0, v1
	s_delay_alu instid0(VALU_DEP_3) | instskip(SKIP_3) | instid1(VALU_DEP_1)
	v_xor_b32_e32 v1, s14, v2
	ds_load_b32 v44, v3 offset:8
	v_add_nc_u32_e32 v46, 8, v3
	; wave barrier
	v_and_b32_e32 v0, v0, v1
	v_mbcnt_lo_u32_b32 v45, v0, 0
	v_cmp_ne_u32_e64 s15, 0, v0
	s_delay_alu instid0(VALU_DEP_2) | instskip(NEXT) | instid1(VALU_DEP_1)
	v_cmp_eq_u32_e64 s14, 0, v45
	s_and_b32 s15, s15, s14
	s_delay_alu instid0(SALU_CYCLE_1)
	s_and_saveexec_b32 s14, s15
	s_cbranch_execz .LBB245_6
; %bb.5:                                ;   in Loop: Header=BB245_2 Depth=1
	s_waitcnt lgkmcnt(0)
	v_bcnt_u32_b32 v0, v0, v44
	ds_store_b32 v46, v0
.LBB245_6:                              ;   in Loop: Header=BB245_2 Depth=1
	s_or_b32 exec_lo, exec_lo, s14
	v_bfe_u32 v0, v24, 16, 1
	v_lshrrev_b32_e32 v47, 16, v24
	; wave barrier
	s_delay_alu instid0(VALU_DEP_2) | instskip(NEXT) | instid1(VALU_DEP_1)
	v_add_co_u32 v0, s14, v0, -1
	v_cndmask_b32_e64 v1, 0, 1, s14
	s_delay_alu instid0(VALU_DEP_3)
	v_lshlrev_b32_e32 v2, 30, v47
	v_lshlrev_b32_e32 v3, 29, v47
	;; [unrolled: 1-line block ×4, first 2 shown]
	v_cmp_ne_u32_e64 s14, 0, v1
	v_not_b32_e32 v1, v2
	v_cmp_gt_i32_e64 s15, 0, v2
	v_not_b32_e32 v2, v3
	v_lshlrev_b32_e32 v6, 26, v47
	v_xor_b32_e32 v0, s14, v0
	v_ashrrev_i32_e32 v1, 31, v1
	v_cmp_gt_i32_e64 s14, 0, v3
	v_not_b32_e32 v3, v4
	v_ashrrev_i32_e32 v2, 31, v2
	v_and_b32_e32 v0, exec_lo, v0
	v_xor_b32_e32 v1, s15, v1
	v_cmp_gt_i32_e64 s15, 0, v4
	v_not_b32_e32 v4, v5
	v_ashrrev_i32_e32 v3, 31, v3
	v_xor_b32_e32 v2, s14, v2
	v_and_b32_e32 v0, v0, v1
	v_cmp_gt_i32_e64 s14, 0, v5
	v_not_b32_e32 v1, v6
	v_ashrrev_i32_e32 v4, 31, v4
	v_xor_b32_e32 v3, s15, v3
	v_and_b32_e32 v0, v0, v2
	v_lshlrev_b32_e32 v2, 25, v47
	v_cmp_gt_i32_e64 s15, 0, v6
	v_ashrrev_i32_e32 v1, 31, v1
	v_xor_b32_e32 v4, s14, v4
	v_and_b32_e32 v0, v0, v3
	v_not_b32_e32 v5, v2
	v_lshlrev_b32_e32 v6, 24, v47
	v_lshrrev_b32_e32 v3, 15, v24
	v_xor_b32_e32 v1, s15, v1
	v_and_b32_e32 v0, v0, v4
	v_cmp_gt_i32_e64 s14, 0, v2
	v_ashrrev_i32_e32 v2, 31, v5
	v_not_b32_e32 v4, v6
	v_and_b32_e32 v3, 0x1fe, v3
	v_and_b32_e32 v0, v0, v1
	s_delay_alu instid0(VALU_DEP_4) | instskip(SKIP_3) | instid1(VALU_DEP_4)
	v_xor_b32_e32 v1, s14, v2
	v_cmp_gt_i32_e64 s14, 0, v6
	v_ashrrev_i32_e32 v2, 31, v4
	v_add_lshl_u32 v3, v22, v3, 2
	v_and_b32_e32 v0, v0, v1
	s_delay_alu instid0(VALU_DEP_3) | instskip(SKIP_3) | instid1(VALU_DEP_1)
	v_xor_b32_e32 v1, s14, v2
	ds_load_b32 v48, v3 offset:8
	v_add_nc_u32_e32 v50, 8, v3
	; wave barrier
	v_and_b32_e32 v0, v0, v1
	v_mbcnt_lo_u32_b32 v49, v0, 0
	v_cmp_ne_u32_e64 s15, 0, v0
	s_delay_alu instid0(VALU_DEP_2) | instskip(NEXT) | instid1(VALU_DEP_1)
	v_cmp_eq_u32_e64 s14, 0, v49
	s_and_b32 s15, s15, s14
	s_delay_alu instid0(SALU_CYCLE_1)
	s_and_saveexec_b32 s14, s15
	s_cbranch_execz .LBB245_8
; %bb.7:                                ;   in Loop: Header=BB245_2 Depth=1
	s_waitcnt lgkmcnt(0)
	v_bcnt_u32_b32 v0, v0, v48
	ds_store_b32 v50, v0
.LBB245_8:                              ;   in Loop: Header=BB245_2 Depth=1
	s_or_b32 exec_lo, exec_lo, s14
	v_bfe_u32 v0, v24, 24, 1
	v_lshrrev_b32_e32 v51, 24, v24
	; wave barrier
	s_delay_alu instid0(VALU_DEP_2) | instskip(NEXT) | instid1(VALU_DEP_1)
	v_add_co_u32 v0, s14, v0, -1
	v_cndmask_b32_e64 v1, 0, 1, s14
	s_delay_alu instid0(VALU_DEP_3)
	v_lshlrev_b32_e32 v2, 30, v51
	v_lshlrev_b32_e32 v3, 29, v51
	;; [unrolled: 1-line block ×4, first 2 shown]
	v_cmp_ne_u32_e64 s14, 0, v1
	v_not_b32_e32 v1, v2
	v_cmp_gt_i32_e64 s15, 0, v2
	v_not_b32_e32 v2, v3
	v_lshlrev_b32_e32 v6, 26, v51
	v_xor_b32_e32 v0, s14, v0
	v_ashrrev_i32_e32 v1, 31, v1
	v_cmp_gt_i32_e64 s14, 0, v3
	v_not_b32_e32 v3, v4
	v_ashrrev_i32_e32 v2, 31, v2
	v_and_b32_e32 v0, exec_lo, v0
	v_xor_b32_e32 v1, s15, v1
	v_cmp_gt_i32_e64 s15, 0, v4
	v_not_b32_e32 v4, v5
	v_ashrrev_i32_e32 v3, 31, v3
	v_xor_b32_e32 v2, s14, v2
	v_and_b32_e32 v0, v0, v1
	v_lshlrev_b32_e32 v1, 25, v51
	v_cmp_gt_i32_e64 s14, 0, v5
	v_ashrrev_i32_e32 v4, 31, v4
	v_xor_b32_e32 v3, s15, v3
	v_and_b32_e32 v0, v0, v2
	v_not_b32_e32 v5, v6
	v_not_b32_e32 v7, v1
	v_xor_b32_e32 v4, s14, v4
	v_cmp_gt_i32_e64 s14, 0, v6
	v_and_b32_e32 v0, v0, v3
	v_ashrrev_i32_e32 v3, 31, v5
	v_and_b32_e32 v2, 0xff000000, v24
	v_cmp_gt_i32_e64 s15, 0, v1
	v_ashrrev_i32_e32 v1, 31, v7
	v_and_b32_e32 v0, v0, v4
	v_not_b32_e32 v4, v24
	v_xor_b32_e32 v3, s14, v3
	v_lshlrev_b32_e32 v5, 1, v51
	v_xor_b32_e32 v1, s15, v1
	v_cmp_gt_i32_e64 s14, 0, v2
	v_ashrrev_i32_e32 v2, 31, v4
	v_and_b32_e32 v0, v0, v3
	v_add_lshl_u32 v3, v22, v5, 2
	s_delay_alu instid0(VALU_DEP_3) | instskip(NEXT) | instid1(VALU_DEP_3)
	v_xor_b32_e32 v2, s14, v2
	v_and_b32_e32 v0, v0, v1
	ds_load_b32 v52, v3 offset:8
	v_add_nc_u32_e32 v54, 8, v3
	; wave barrier
	v_and_b32_e32 v0, v0, v2
	s_delay_alu instid0(VALU_DEP_1) | instskip(SKIP_1) | instid1(VALU_DEP_2)
	v_mbcnt_lo_u32_b32 v53, v0, 0
	v_cmp_ne_u32_e64 s15, 0, v0
	v_cmp_eq_u32_e64 s14, 0, v53
	s_delay_alu instid0(VALU_DEP_1) | instskip(NEXT) | instid1(SALU_CYCLE_1)
	s_and_b32 s15, s15, s14
	s_and_saveexec_b32 s14, s15
	s_cbranch_execz .LBB245_10
; %bb.9:                                ;   in Loop: Header=BB245_2 Depth=1
	s_waitcnt lgkmcnt(0)
	v_bcnt_u32_b32 v0, v0, v52
	ds_store_b32 v54, v0
.LBB245_10:                             ;   in Loop: Header=BB245_2 Depth=1
	s_or_b32 exec_lo, exec_lo, s14
	; wave barrier
	s_waitcnt lgkmcnt(0)
	s_barrier
	buffer_gl0_inv
	ds_load_2addr_b64 v[4:7], v17 offset0:1 offset1:2
	ds_load_2addr_b64 v[0:3], v18 offset0:2 offset1:3
	s_waitcnt lgkmcnt(1)
	v_add_nc_u32_e32 v55, v5, v4
	s_delay_alu instid0(VALU_DEP_1) | instskip(SKIP_1) | instid1(VALU_DEP_1)
	v_add3_u32 v55, v55, v6, v7
	s_waitcnt lgkmcnt(0)
	v_add3_u32 v55, v55, v0, v1
	s_delay_alu instid0(VALU_DEP_1) | instskip(NEXT) | instid1(VALU_DEP_1)
	v_add3_u32 v3, v55, v2, v3
	v_mov_b32_dpp v55, v3 row_shr:1 row_mask:0xf bank_mask:0xf
	s_delay_alu instid0(VALU_DEP_1) | instskip(NEXT) | instid1(VALU_DEP_1)
	v_cndmask_b32_e64 v55, v55, 0, s4
	v_add_nc_u32_e32 v3, v55, v3
	s_delay_alu instid0(VALU_DEP_1) | instskip(NEXT) | instid1(VALU_DEP_1)
	v_mov_b32_dpp v55, v3 row_shr:2 row_mask:0xf bank_mask:0xf
	v_cndmask_b32_e64 v55, 0, v55, s5
	s_delay_alu instid0(VALU_DEP_1) | instskip(NEXT) | instid1(VALU_DEP_1)
	v_add_nc_u32_e32 v3, v3, v55
	v_mov_b32_dpp v55, v3 row_shr:4 row_mask:0xf bank_mask:0xf
	s_delay_alu instid0(VALU_DEP_1) | instskip(NEXT) | instid1(VALU_DEP_1)
	v_cndmask_b32_e64 v55, 0, v55, s6
	v_add_nc_u32_e32 v3, v3, v55
	s_delay_alu instid0(VALU_DEP_1) | instskip(NEXT) | instid1(VALU_DEP_1)
	v_mov_b32_dpp v55, v3 row_shr:8 row_mask:0xf bank_mask:0xf
	v_cndmask_b32_e64 v55, 0, v55, s7
	s_delay_alu instid0(VALU_DEP_1) | instskip(SKIP_3) | instid1(VALU_DEP_1)
	v_add_nc_u32_e32 v3, v3, v55
	ds_swizzle_b32 v55, v3 offset:swizzle(BROADCAST,32,15)
	s_waitcnt lgkmcnt(0)
	v_cndmask_b32_e64 v55, v55, 0, s8
	v_add_nc_u32_e32 v3, v3, v55
	s_and_saveexec_b32 s14, s13
	s_cbranch_execz .LBB245_12
; %bb.11:                               ;   in Loop: Header=BB245_2 Depth=1
	ds_store_b32 v19, v3
.LBB245_12:                             ;   in Loop: Header=BB245_2 Depth=1
	s_or_b32 exec_lo, exec_lo, s14
	s_waitcnt lgkmcnt(0)
	s_barrier
	buffer_gl0_inv
	s_and_saveexec_b32 s14, s9
	s_cbranch_execz .LBB245_14
; %bb.13:                               ;   in Loop: Header=BB245_2 Depth=1
	ds_load_b32 v55, v23
	s_waitcnt lgkmcnt(0)
	v_mov_b32_dpp v56, v55 row_shr:1 row_mask:0xf bank_mask:0xf
	s_delay_alu instid0(VALU_DEP_1) | instskip(NEXT) | instid1(VALU_DEP_1)
	v_cndmask_b32_e64 v56, v56, 0, s12
	v_add_nc_u32_e32 v55, v56, v55
	ds_store_b32 v23, v55
.LBB245_14:                             ;   in Loop: Header=BB245_2 Depth=1
	s_or_b32 exec_lo, exec_lo, s14
	v_mov_b32_e32 v55, 0
	s_waitcnt lgkmcnt(0)
	s_barrier
	buffer_gl0_inv
	s_and_saveexec_b32 s14, s10
	s_cbranch_execz .LBB245_1
; %bb.15:                               ;   in Loop: Header=BB245_2 Depth=1
	ds_load_b32 v55, v21
	s_branch .LBB245_1
.LBB245_16:
	v_add_nc_u16 v0, v24, v5
	v_add_nc_u16 v1, v6, v2
	;; [unrolled: 1-line block ×3, first 2 shown]
	s_add_u32 s0, s18, s20
	v_add_nc_u16 v3, v7, v3
	s_addc_u32 s1, s19, 0
	s_clause 0x3
	global_store_b8 v8, v0, s[0:1]
	global_store_b8 v8, v1, s[0:1] offset:64
	global_store_b8 v8, v2, s[0:1] offset:128
	;; [unrolled: 1-line block ×3, first 2 shown]
	s_nop 0
	s_sendmsg sendmsg(MSG_DEALLOC_VGPRS)
	s_endpgm
	.section	.rodata,"a",@progbits
	.p2align	6, 0x0
	.amdhsa_kernel _Z17sort_pairs_kernelI22helper_blocked_stripedaLj64ELj4ELj10EEvPKT0_PS1_
		.amdhsa_group_segment_fixed_size 2064
		.amdhsa_private_segment_fixed_size 0
		.amdhsa_kernarg_size 272
		.amdhsa_user_sgpr_count 15
		.amdhsa_user_sgpr_dispatch_ptr 0
		.amdhsa_user_sgpr_queue_ptr 0
		.amdhsa_user_sgpr_kernarg_segment_ptr 1
		.amdhsa_user_sgpr_dispatch_id 0
		.amdhsa_user_sgpr_private_segment_size 0
		.amdhsa_wavefront_size32 1
		.amdhsa_uses_dynamic_stack 0
		.amdhsa_enable_private_segment 0
		.amdhsa_system_sgpr_workgroup_id_x 1
		.amdhsa_system_sgpr_workgroup_id_y 0
		.amdhsa_system_sgpr_workgroup_id_z 0
		.amdhsa_system_sgpr_workgroup_info 0
		.amdhsa_system_vgpr_workitem_id 2
		.amdhsa_next_free_vgpr 57
		.amdhsa_next_free_sgpr 21
		.amdhsa_reserve_vcc 1
		.amdhsa_float_round_mode_32 0
		.amdhsa_float_round_mode_16_64 0
		.amdhsa_float_denorm_mode_32 3
		.amdhsa_float_denorm_mode_16_64 3
		.amdhsa_dx10_clamp 1
		.amdhsa_ieee_mode 1
		.amdhsa_fp16_overflow 0
		.amdhsa_workgroup_processor_mode 1
		.amdhsa_memory_ordered 1
		.amdhsa_forward_progress 0
		.amdhsa_shared_vgpr_count 0
		.amdhsa_exception_fp_ieee_invalid_op 0
		.amdhsa_exception_fp_denorm_src 0
		.amdhsa_exception_fp_ieee_div_zero 0
		.amdhsa_exception_fp_ieee_overflow 0
		.amdhsa_exception_fp_ieee_underflow 0
		.amdhsa_exception_fp_ieee_inexact 0
		.amdhsa_exception_int_div_zero 0
	.end_amdhsa_kernel
	.section	.text._Z17sort_pairs_kernelI22helper_blocked_stripedaLj64ELj4ELj10EEvPKT0_PS1_,"axG",@progbits,_Z17sort_pairs_kernelI22helper_blocked_stripedaLj64ELj4ELj10EEvPKT0_PS1_,comdat
.Lfunc_end245:
	.size	_Z17sort_pairs_kernelI22helper_blocked_stripedaLj64ELj4ELj10EEvPKT0_PS1_, .Lfunc_end245-_Z17sort_pairs_kernelI22helper_blocked_stripedaLj64ELj4ELj10EEvPKT0_PS1_
                                        ; -- End function
	.section	.AMDGPU.csdata,"",@progbits
; Kernel info:
; codeLenInByte = 4728
; NumSgprs: 23
; NumVgprs: 57
; ScratchSize: 0
; MemoryBound: 0
; FloatMode: 240
; IeeeMode: 1
; LDSByteSize: 2064 bytes/workgroup (compile time only)
; SGPRBlocks: 2
; VGPRBlocks: 7
; NumSGPRsForWavesPerEU: 23
; NumVGPRsForWavesPerEU: 57
; Occupancy: 16
; WaveLimiterHint : 0
; COMPUTE_PGM_RSRC2:SCRATCH_EN: 0
; COMPUTE_PGM_RSRC2:USER_SGPR: 15
; COMPUTE_PGM_RSRC2:TRAP_HANDLER: 0
; COMPUTE_PGM_RSRC2:TGID_X_EN: 1
; COMPUTE_PGM_RSRC2:TGID_Y_EN: 0
; COMPUTE_PGM_RSRC2:TGID_Z_EN: 0
; COMPUTE_PGM_RSRC2:TIDIG_COMP_CNT: 2
	.section	.text._Z16sort_keys_kernelI22helper_blocked_stripedaLj64ELj8ELj10EEvPKT0_PS1_,"axG",@progbits,_Z16sort_keys_kernelI22helper_blocked_stripedaLj64ELj8ELj10EEvPKT0_PS1_,comdat
	.protected	_Z16sort_keys_kernelI22helper_blocked_stripedaLj64ELj8ELj10EEvPKT0_PS1_ ; -- Begin function _Z16sort_keys_kernelI22helper_blocked_stripedaLj64ELj8ELj10EEvPKT0_PS1_
	.globl	_Z16sort_keys_kernelI22helper_blocked_stripedaLj64ELj8ELj10EEvPKT0_PS1_
	.p2align	8
	.type	_Z16sort_keys_kernelI22helper_blocked_stripedaLj64ELj8ELj10EEvPKT0_PS1_,@function
_Z16sort_keys_kernelI22helper_blocked_stripedaLj64ELj8ELj10EEvPKT0_PS1_: ; @_Z16sort_keys_kernelI22helper_blocked_stripedaLj64ELj8ELj10EEvPKT0_PS1_
; %bb.0:
	s_clause 0x1
	s_load_b128 s[16:19], s[0:1], 0x0
	s_load_b32 s2, s[0:1], 0x1c
	s_mov_b32 s10, 0
	s_lshl_b32 s12, s15, 9
	s_mov_b32 s11, s10
	v_and_b32_e32 v8, 0x3ff, v0
	v_bfe_u32 v3, v0, 10, 10
	v_bfe_u32 v0, v0, 20, 10
	v_mbcnt_lo_u32_b32 v6, -1, 0
	s_mov_b32 s14, s10
	v_lshlrev_b32_e32 v5, 3, v8
	s_mov_b32 s15, s10
	v_and_b32_e32 v7, 32, v8
	v_dual_mov_b32 v11, s14 :: v_dual_mov_b32 v12, s15
	v_cmp_eq_u32_e64 s7, 0, v6
	s_mov_b32 s13, 10
	s_delay_alu instid0(VALU_DEP_3) | instskip(SKIP_3) | instid1(VALU_DEP_1)
	v_or_b32_e32 v9, v6, v7
	s_waitcnt lgkmcnt(0)
	s_add_u32 s0, s16, s12
	s_addc_u32 s1, s17, 0
	v_lshlrev_b32_e32 v14, 3, v9
	global_load_b64 v[1:2], v5, s[0:1]
	s_lshr_b32 s0, s2, 16
	s_delay_alu instid0(SALU_CYCLE_1)
	v_mad_u32_u24 v0, v0, s0, v3
	s_and_b32 s0, s2, 0xffff
	s_delay_alu instid0(VALU_DEP_1) | instid1(SALU_CYCLE_1)
	v_mad_u64_u32 v[3:4], null, v0, s0, v[8:9]
	v_add_nc_u32_e32 v4, -1, v6
	v_dual_mov_b32 v9, s10 :: v_dual_and_b32 v0, 15, v6
	v_dual_mov_b32 v10, s11 :: v_dual_lshlrev_b32 v13, 5, v8
	s_delay_alu instid0(VALU_DEP_3)
	v_cmp_gt_i32_e64 s4, 0, v4
	v_lshrrev_b32_e32 v17, 5, v3
	v_and_b32_e32 v3, 16, v6
	v_cmp_eq_u32_e32 vcc_lo, 0, v0
	v_cmp_lt_u32_e64 s0, 1, v0
	v_cmp_lt_u32_e64 s1, 3, v0
	;; [unrolled: 1-line block ×3, first 2 shown]
	v_cmp_eq_u32_e64 s3, 0, v3
	v_cndmask_b32_e64 v0, v4, v6, s4
	v_lshrrev_b32_e32 v3, 3, v8
	v_and_or_b32 v15, 0x100, v5, v6
	v_or_b32_e32 v5, 31, v7
	v_or_b32_e32 v16, 8, v13
	v_lshlrev_b32_e32 v18, 2, v0
	v_and_b32_e32 v0, 1, v6
	v_and_b32_e32 v19, 4, v3
	v_mul_u32_u24_e32 v3, 3, v8
	v_cmp_eq_u32_e64 s4, v5, v8
	v_cmp_gt_u32_e64 s5, 2, v8
	v_cmp_lt_u32_e64 s6, 31, v8
	v_cmp_eq_u32_e64 s8, 0, v8
	v_cmp_eq_u32_e64 s9, 0, v0
	v_add_nc_u32_e32 v20, -4, v19
	v_add_nc_u32_e32 v21, v8, v3
	s_branch .LBB246_2
.LBB246_1:                              ;   in Loop: Header=BB246_2 Depth=1
	s_or_b32 exec_lo, exec_lo, s10
	s_waitcnt lgkmcnt(0)
	v_add_nc_u32_e32 v3, v53, v3
	s_add_i32 s13, s13, -1
	s_delay_alu instid0(SALU_CYCLE_1) | instskip(SKIP_3) | instid1(VALU_DEP_1)
	s_cmp_eq_u32 s13, 0
	ds_bpermute_b32 v3, v18, v3
	s_waitcnt lgkmcnt(0)
	v_cndmask_b32_e64 v3, v3, v53, s7
	v_cndmask_b32_e64 v3, v3, 0, s8
	s_delay_alu instid0(VALU_DEP_1) | instskip(NEXT) | instid1(VALU_DEP_1)
	v_add_nc_u32_e32 v4, v3, v4
	v_add_nc_u32_e32 v5, v4, v5
	s_delay_alu instid0(VALU_DEP_1) | instskip(NEXT) | instid1(VALU_DEP_1)
	v_add_nc_u32_e32 v6, v5, v6
	v_add_nc_u32_e32 v53, v6, v7
	;; [unrolled: 3-line block ×3, first 2 shown]
	s_delay_alu instid0(VALU_DEP_1)
	v_add_nc_u32_e32 v1, v0, v2
	ds_store_2addr_b64 v13, v[3:4], v[5:6] offset0:1 offset1:2
	ds_store_2addr_b64 v16, v[53:54], v[0:1] offset0:2 offset1:3
	s_waitcnt lgkmcnt(0)
	s_barrier
	buffer_gl0_inv
	ds_load_b32 v0, v31
	ds_load_b32 v1, v34
	;; [unrolled: 1-line block ×8, first 2 shown]
	s_waitcnt lgkmcnt(0)
	s_barrier
	buffer_gl0_inv
	v_add_nc_u32_e32 v0, v0, v30
	v_add3_u32 v1, v33, v32, v1
	v_add3_u32 v2, v36, v35, v2
	;; [unrolled: 1-line block ×7, first 2 shown]
	ds_store_b8 v0, v22
	ds_store_b8 v1, v23
	;; [unrolled: 1-line block ×8, first 2 shown]
	s_waitcnt lgkmcnt(0)
	s_barrier
	buffer_gl0_inv
	ds_load_u8 v0, v8
	ds_load_u8 v1, v8 offset:64
	ds_load_u8 v2, v8 offset:128
	;; [unrolled: 1-line block ×7, first 2 shown]
	s_waitcnt lgkmcnt(7)
	v_xor_b32_e32 v0, 0xffffff80, v0
	s_waitcnt lgkmcnt(6)
	v_xor_b32_e32 v3, 0xffffff80, v1
	;; [unrolled: 2-line block ×8, first 2 shown]
	v_lshlrev_b16 v1, 8, v3
	v_and_b32_e32 v2, 0xff, v0
	v_lshlrev_b16 v24, 8, v5
	v_and_b32_e32 v25, 0xff, v4
	;; [unrolled: 2-line block ×4, first 2 shown]
	v_or_b32_e32 v1, v2, v1
	v_or_b32_e32 v2, v25, v24
	;; [unrolled: 1-line block ×3, first 2 shown]
	s_delay_alu instid0(VALU_DEP_4) | instskip(NEXT) | instid1(VALU_DEP_4)
	v_or_b32_e32 v25, v29, v28
	v_and_b32_e32 v1, 0xffff, v1
	s_delay_alu instid0(VALU_DEP_4) | instskip(NEXT) | instid1(VALU_DEP_4)
	v_lshlrev_b32_e32 v2, 16, v2
	v_and_b32_e32 v24, 0xffff, v24
	s_delay_alu instid0(VALU_DEP_4) | instskip(NEXT) | instid1(VALU_DEP_3)
	v_lshlrev_b32_e32 v25, 16, v25
	v_or_b32_e32 v1, v1, v2
	s_delay_alu instid0(VALU_DEP_2)
	v_or_b32_e32 v2, v24, v25
	s_cbranch_scc1 .LBB246_24
.LBB246_2:                              ; =>This Inner Loop Header: Depth=1
	s_waitcnt vmcnt(0)
	s_delay_alu instid0(VALU_DEP_1)
	v_lshrrev_b32_e32 v0, 16, v2
	v_lshrrev_b32_e32 v3, 16, v1
	v_xor_b32_e32 v4, 0x80, v2
	v_and_b32_e32 v5, 0xffffff00, v1
	v_xor_b32_e32 v1, 0x80, v1
	v_xor_b32_e32 v6, 0x80, v0
	;; [unrolled: 1-line block ×3, first 2 shown]
	v_and_b32_e32 v2, 0xffffff00, v2
	v_and_b32_e32 v4, 0xff, v4
	;; [unrolled: 1-line block ×7, first 2 shown]
	v_or_b32_e32 v2, v4, v2
	v_or_b32_e32 v0, v6, v0
	v_or_b32_e32 v1, v1, v5
	s_delay_alu instid0(VALU_DEP_4) | instskip(NEXT) | instid1(VALU_DEP_4)
	v_or_b32_e32 v3, v7, v3
	v_add_nc_u16 v2, v2, 0x8000
	s_delay_alu instid0(VALU_DEP_4) | instskip(NEXT) | instid1(VALU_DEP_4)
	v_add_nc_u16 v0, v0, 0x8000
	v_add_nc_u16 v1, v1, 0x8000
	s_delay_alu instid0(VALU_DEP_4) | instskip(NEXT) | instid1(VALU_DEP_4)
	v_add_nc_u16 v3, v3, 0x8000
	v_and_b32_e32 v2, 0xffff, v2
	s_delay_alu instid0(VALU_DEP_4) | instskip(NEXT) | instid1(VALU_DEP_4)
	v_lshlrev_b32_e32 v0, 16, v0
	v_and_b32_e32 v4, 0xffff, v1
	s_delay_alu instid0(VALU_DEP_4) | instskip(NEXT) | instid1(VALU_DEP_3)
	v_lshlrev_b32_e32 v3, 16, v3
	v_or_b32_e32 v1, v2, v0
	s_delay_alu instid0(VALU_DEP_2)
	v_or_b32_e32 v0, v4, v3
	ds_store_b64 v14, v[0:1]
	; wave barrier
	ds_load_u8 v22, v15
	ds_load_u8 v23, v15 offset:32
	ds_load_u8 v24, v15 offset:64
	;; [unrolled: 1-line block ×7, first 2 shown]
	; wave barrier
	; wave barrier
	s_waitcnt lgkmcnt(0)
	s_barrier
	buffer_gl0_inv
	ds_store_2addr_b64 v13, v[9:10], v[11:12] offset0:1 offset1:2
	ds_store_2addr_b64 v16, v[9:10], v[11:12] offset0:2 offset1:3
	s_waitcnt lgkmcnt(0)
	s_barrier
	buffer_gl0_inv
	v_and_b32_e32 v0, 1, v22
	v_lshlrev_b32_e32 v1, 30, v22
	v_lshlrev_b32_e32 v2, 29, v22
	;; [unrolled: 1-line block ×4, first 2 shown]
	v_add_co_u32 v0, s10, v0, -1
	s_delay_alu instid0(VALU_DEP_1)
	v_cndmask_b32_e64 v4, 0, 1, s10
	v_not_b32_e32 v30, v1
	v_cmp_gt_i32_e64 s11, 0, v1
	v_not_b32_e32 v1, v2
	v_lshlrev_b32_e32 v6, 26, v22
	v_cmp_ne_u32_e64 s10, 0, v4
	v_ashrrev_i32_e32 v30, 31, v30
	v_lshlrev_b32_e32 v7, 25, v22
	v_ashrrev_i32_e32 v1, 31, v1
	v_lshlrev_b32_e32 v4, 24, v22
	v_xor_b32_e32 v0, s10, v0
	v_cmp_gt_i32_e64 s10, 0, v2
	v_not_b32_e32 v2, v3
	v_xor_b32_e32 v30, s11, v30
	v_cmp_gt_i32_e64 s11, 0, v3
	v_and_b32_e32 v0, exec_lo, v0
	v_not_b32_e32 v3, v5
	v_ashrrev_i32_e32 v2, 31, v2
	v_xor_b32_e32 v1, s10, v1
	v_cmp_gt_i32_e64 s10, 0, v5
	v_and_b32_e32 v0, v0, v30
	v_not_b32_e32 v5, v6
	v_ashrrev_i32_e32 v3, 31, v3
	v_xor_b32_e32 v2, s11, v2
	v_cmp_gt_i32_e64 s11, 0, v6
	v_and_b32_e32 v0, v0, v1
	;; [unrolled: 5-line block ×4, first 2 shown]
	v_ashrrev_i32_e32 v2, 31, v2
	v_xor_b32_e32 v1, s10, v1
	; wave barrier
	s_delay_alu instid0(VALU_DEP_3) | instskip(NEXT) | instid1(VALU_DEP_3)
	v_and_b32_e32 v0, v0, v5
	v_xor_b32_e32 v2, s11, v2
	s_delay_alu instid0(VALU_DEP_2) | instskip(SKIP_1) | instid1(VALU_DEP_2)
	v_and_b32_e32 v0, v0, v1
	v_and_b32_e32 v1, 0xff, v22
	;; [unrolled: 1-line block ×3, first 2 shown]
	s_delay_alu instid0(VALU_DEP_2) | instskip(NEXT) | instid1(VALU_DEP_2)
	v_lshl_add_u32 v1, v1, 1, v17
	v_mbcnt_lo_u32_b32 v30, v0, 0
	v_cmp_ne_u32_e64 s11, 0, v0
	s_delay_alu instid0(VALU_DEP_3) | instskip(NEXT) | instid1(VALU_DEP_3)
	v_lshl_add_u32 v31, v1, 2, 8
	v_cmp_eq_u32_e64 s10, 0, v30
	s_delay_alu instid0(VALU_DEP_1) | instskip(NEXT) | instid1(SALU_CYCLE_1)
	s_and_b32 s11, s11, s10
	s_and_saveexec_b32 s10, s11
	s_cbranch_execz .LBB246_4
; %bb.3:                                ;   in Loop: Header=BB246_2 Depth=1
	v_bcnt_u32_b32 v0, v0, 0
	ds_store_b32 v31, v0
.LBB246_4:                              ;   in Loop: Header=BB246_2 Depth=1
	s_or_b32 exec_lo, exec_lo, s10
	v_and_b32_e32 v0, 1, v23
	v_lshlrev_b32_e32 v2, 30, v23
	v_lshlrev_b32_e32 v4, 29, v23
	;; [unrolled: 1-line block ×4, first 2 shown]
	v_add_co_u32 v0, s10, v0, -1
	s_delay_alu instid0(VALU_DEP_1)
	v_cndmask_b32_e64 v3, 0, 1, s10
	v_not_b32_e32 v7, v2
	v_cmp_gt_i32_e64 s11, 0, v2
	v_not_b32_e32 v2, v4
	v_and_b32_e32 v1, 0xff, v23
	v_cmp_ne_u32_e64 s10, 0, v3
	v_ashrrev_i32_e32 v7, 31, v7
	v_lshlrev_b32_e32 v3, 26, v23
	v_ashrrev_i32_e32 v2, 31, v2
	v_lshlrev_b32_e32 v1, 1, v1
	v_xor_b32_e32 v0, s10, v0
	v_cmp_gt_i32_e64 s10, 0, v4
	v_not_b32_e32 v4, v5
	v_xor_b32_e32 v7, s11, v7
	v_cmp_gt_i32_e64 s11, 0, v5
	v_and_b32_e32 v0, exec_lo, v0
	v_not_b32_e32 v5, v6
	v_ashrrev_i32_e32 v4, 31, v4
	v_xor_b32_e32 v2, s10, v2
	v_cmp_gt_i32_e64 s10, 0, v6
	v_and_b32_e32 v0, v0, v7
	v_lshlrev_b32_e32 v7, 25, v23
	v_ashrrev_i32_e32 v5, 31, v5
	v_xor_b32_e32 v4, s11, v4
	v_not_b32_e32 v6, v3
	v_and_b32_e32 v0, v0, v2
	v_lshlrev_b32_e32 v2, 24, v23
	v_not_b32_e32 v32, v7
	v_xor_b32_e32 v5, s10, v5
	v_cmp_gt_i32_e64 s10, 0, v3
	v_and_b32_e32 v0, v0, v4
	v_ashrrev_i32_e32 v3, 31, v6
	v_cmp_gt_i32_e64 s11, 0, v7
	v_ashrrev_i32_e32 v4, 31, v32
	v_add_lshl_u32 v1, v17, v1, 2
	v_and_b32_e32 v0, v0, v5
	v_not_b32_e32 v5, v2
	v_xor_b32_e32 v3, s10, v3
	v_xor_b32_e32 v4, s11, v4
	v_cmp_gt_i32_e64 s10, 0, v2
	s_delay_alu instid0(VALU_DEP_4) | instskip(NEXT) | instid1(VALU_DEP_4)
	v_ashrrev_i32_e32 v2, 31, v5
	v_and_b32_e32 v0, v0, v3
	; wave barrier
	ds_load_b32 v32, v1 offset:8
	v_add_nc_u32_e32 v34, 8, v1
	v_xor_b32_e32 v2, s10, v2
	v_and_b32_e32 v0, v0, v4
	; wave barrier
	s_delay_alu instid0(VALU_DEP_1) | instskip(NEXT) | instid1(VALU_DEP_1)
	v_and_b32_e32 v0, v0, v2
	v_mbcnt_lo_u32_b32 v33, v0, 0
	v_cmp_ne_u32_e64 s11, 0, v0
	s_delay_alu instid0(VALU_DEP_2) | instskip(NEXT) | instid1(VALU_DEP_1)
	v_cmp_eq_u32_e64 s10, 0, v33
	s_and_b32 s11, s11, s10
	s_delay_alu instid0(SALU_CYCLE_1)
	s_and_saveexec_b32 s10, s11
	s_cbranch_execz .LBB246_6
; %bb.5:                                ;   in Loop: Header=BB246_2 Depth=1
	s_waitcnt lgkmcnt(0)
	v_bcnt_u32_b32 v0, v0, v32
	ds_store_b32 v34, v0
.LBB246_6:                              ;   in Loop: Header=BB246_2 Depth=1
	s_or_b32 exec_lo, exec_lo, s10
	v_and_b32_e32 v0, 1, v24
	v_lshlrev_b32_e32 v2, 30, v24
	v_lshlrev_b32_e32 v4, 29, v24
	;; [unrolled: 1-line block ×4, first 2 shown]
	v_add_co_u32 v0, s10, v0, -1
	s_delay_alu instid0(VALU_DEP_1)
	v_cndmask_b32_e64 v3, 0, 1, s10
	v_not_b32_e32 v7, v2
	v_cmp_gt_i32_e64 s11, 0, v2
	v_not_b32_e32 v2, v4
	v_and_b32_e32 v1, 0xff, v24
	v_cmp_ne_u32_e64 s10, 0, v3
	v_ashrrev_i32_e32 v7, 31, v7
	v_lshlrev_b32_e32 v3, 26, v24
	v_ashrrev_i32_e32 v2, 31, v2
	v_lshlrev_b32_e32 v1, 1, v1
	v_xor_b32_e32 v0, s10, v0
	v_cmp_gt_i32_e64 s10, 0, v4
	v_not_b32_e32 v4, v5
	v_xor_b32_e32 v7, s11, v7
	v_cmp_gt_i32_e64 s11, 0, v5
	v_and_b32_e32 v0, exec_lo, v0
	v_not_b32_e32 v5, v6
	v_ashrrev_i32_e32 v4, 31, v4
	v_xor_b32_e32 v2, s10, v2
	v_cmp_gt_i32_e64 s10, 0, v6
	v_and_b32_e32 v0, v0, v7
	v_lshlrev_b32_e32 v7, 25, v24
	v_ashrrev_i32_e32 v5, 31, v5
	v_xor_b32_e32 v4, s11, v4
	v_not_b32_e32 v6, v3
	v_and_b32_e32 v0, v0, v2
	v_lshlrev_b32_e32 v2, 24, v24
	v_not_b32_e32 v35, v7
	v_xor_b32_e32 v5, s10, v5
	v_cmp_gt_i32_e64 s10, 0, v3
	v_and_b32_e32 v0, v0, v4
	v_ashrrev_i32_e32 v3, 31, v6
	v_cmp_gt_i32_e64 s11, 0, v7
	v_ashrrev_i32_e32 v4, 31, v35
	v_add_lshl_u32 v1, v17, v1, 2
	v_and_b32_e32 v0, v0, v5
	v_not_b32_e32 v5, v2
	v_xor_b32_e32 v3, s10, v3
	v_xor_b32_e32 v4, s11, v4
	v_cmp_gt_i32_e64 s10, 0, v2
	s_delay_alu instid0(VALU_DEP_4) | instskip(NEXT) | instid1(VALU_DEP_4)
	v_ashrrev_i32_e32 v2, 31, v5
	v_and_b32_e32 v0, v0, v3
	; wave barrier
	ds_load_b32 v35, v1 offset:8
	v_add_nc_u32_e32 v37, 8, v1
	v_xor_b32_e32 v2, s10, v2
	v_and_b32_e32 v0, v0, v4
	; wave barrier
	s_delay_alu instid0(VALU_DEP_1) | instskip(NEXT) | instid1(VALU_DEP_1)
	v_and_b32_e32 v0, v0, v2
	v_mbcnt_lo_u32_b32 v36, v0, 0
	v_cmp_ne_u32_e64 s11, 0, v0
	s_delay_alu instid0(VALU_DEP_2) | instskip(NEXT) | instid1(VALU_DEP_1)
	v_cmp_eq_u32_e64 s10, 0, v36
	s_and_b32 s11, s11, s10
	s_delay_alu instid0(SALU_CYCLE_1)
	s_and_saveexec_b32 s10, s11
	s_cbranch_execz .LBB246_8
; %bb.7:                                ;   in Loop: Header=BB246_2 Depth=1
	s_waitcnt lgkmcnt(0)
	v_bcnt_u32_b32 v0, v0, v35
	ds_store_b32 v37, v0
.LBB246_8:                              ;   in Loop: Header=BB246_2 Depth=1
	s_or_b32 exec_lo, exec_lo, s10
	v_and_b32_e32 v0, 1, v25
	v_lshlrev_b32_e32 v2, 30, v25
	v_lshlrev_b32_e32 v4, 29, v25
	;; [unrolled: 1-line block ×4, first 2 shown]
	v_add_co_u32 v0, s10, v0, -1
	s_delay_alu instid0(VALU_DEP_1)
	v_cndmask_b32_e64 v3, 0, 1, s10
	v_not_b32_e32 v7, v2
	v_cmp_gt_i32_e64 s11, 0, v2
	v_not_b32_e32 v2, v4
	v_and_b32_e32 v1, 0xff, v25
	v_cmp_ne_u32_e64 s10, 0, v3
	v_ashrrev_i32_e32 v7, 31, v7
	v_lshlrev_b32_e32 v3, 26, v25
	v_ashrrev_i32_e32 v2, 31, v2
	v_lshlrev_b32_e32 v1, 1, v1
	v_xor_b32_e32 v0, s10, v0
	v_cmp_gt_i32_e64 s10, 0, v4
	v_not_b32_e32 v4, v5
	v_xor_b32_e32 v7, s11, v7
	v_cmp_gt_i32_e64 s11, 0, v5
	v_and_b32_e32 v0, exec_lo, v0
	v_not_b32_e32 v5, v6
	v_ashrrev_i32_e32 v4, 31, v4
	v_xor_b32_e32 v2, s10, v2
	v_cmp_gt_i32_e64 s10, 0, v6
	v_and_b32_e32 v0, v0, v7
	v_lshlrev_b32_e32 v7, 25, v25
	v_ashrrev_i32_e32 v5, 31, v5
	v_xor_b32_e32 v4, s11, v4
	v_not_b32_e32 v6, v3
	v_and_b32_e32 v0, v0, v2
	v_lshlrev_b32_e32 v2, 24, v25
	v_not_b32_e32 v38, v7
	v_xor_b32_e32 v5, s10, v5
	v_cmp_gt_i32_e64 s10, 0, v3
	v_and_b32_e32 v0, v0, v4
	v_ashrrev_i32_e32 v3, 31, v6
	v_cmp_gt_i32_e64 s11, 0, v7
	v_ashrrev_i32_e32 v4, 31, v38
	v_add_lshl_u32 v1, v17, v1, 2
	v_and_b32_e32 v0, v0, v5
	v_not_b32_e32 v5, v2
	v_xor_b32_e32 v3, s10, v3
	v_xor_b32_e32 v4, s11, v4
	v_cmp_gt_i32_e64 s10, 0, v2
	s_delay_alu instid0(VALU_DEP_4) | instskip(NEXT) | instid1(VALU_DEP_4)
	v_ashrrev_i32_e32 v2, 31, v5
	v_and_b32_e32 v0, v0, v3
	; wave barrier
	ds_load_b32 v38, v1 offset:8
	v_add_nc_u32_e32 v40, 8, v1
	v_xor_b32_e32 v2, s10, v2
	v_and_b32_e32 v0, v0, v4
	; wave barrier
	s_delay_alu instid0(VALU_DEP_1) | instskip(NEXT) | instid1(VALU_DEP_1)
	v_and_b32_e32 v0, v0, v2
	v_mbcnt_lo_u32_b32 v39, v0, 0
	v_cmp_ne_u32_e64 s11, 0, v0
	s_delay_alu instid0(VALU_DEP_2) | instskip(NEXT) | instid1(VALU_DEP_1)
	v_cmp_eq_u32_e64 s10, 0, v39
	s_and_b32 s11, s11, s10
	s_delay_alu instid0(SALU_CYCLE_1)
	s_and_saveexec_b32 s10, s11
	s_cbranch_execz .LBB246_10
; %bb.9:                                ;   in Loop: Header=BB246_2 Depth=1
	s_waitcnt lgkmcnt(0)
	v_bcnt_u32_b32 v0, v0, v38
	ds_store_b32 v40, v0
.LBB246_10:                             ;   in Loop: Header=BB246_2 Depth=1
	s_or_b32 exec_lo, exec_lo, s10
	v_and_b32_e32 v0, 1, v26
	v_lshlrev_b32_e32 v2, 30, v26
	v_lshlrev_b32_e32 v4, 29, v26
	;; [unrolled: 1-line block ×4, first 2 shown]
	v_add_co_u32 v0, s10, v0, -1
	s_delay_alu instid0(VALU_DEP_1)
	v_cndmask_b32_e64 v3, 0, 1, s10
	v_not_b32_e32 v7, v2
	v_cmp_gt_i32_e64 s11, 0, v2
	v_not_b32_e32 v2, v4
	v_and_b32_e32 v1, 0xff, v26
	v_cmp_ne_u32_e64 s10, 0, v3
	v_ashrrev_i32_e32 v7, 31, v7
	v_lshlrev_b32_e32 v3, 26, v26
	v_ashrrev_i32_e32 v2, 31, v2
	v_lshlrev_b32_e32 v1, 1, v1
	v_xor_b32_e32 v0, s10, v0
	v_cmp_gt_i32_e64 s10, 0, v4
	v_not_b32_e32 v4, v5
	v_xor_b32_e32 v7, s11, v7
	v_cmp_gt_i32_e64 s11, 0, v5
	v_and_b32_e32 v0, exec_lo, v0
	v_not_b32_e32 v5, v6
	v_ashrrev_i32_e32 v4, 31, v4
	v_xor_b32_e32 v2, s10, v2
	v_cmp_gt_i32_e64 s10, 0, v6
	v_and_b32_e32 v0, v0, v7
	v_lshlrev_b32_e32 v7, 25, v26
	v_ashrrev_i32_e32 v5, 31, v5
	v_xor_b32_e32 v4, s11, v4
	v_not_b32_e32 v6, v3
	v_and_b32_e32 v0, v0, v2
	v_lshlrev_b32_e32 v2, 24, v26
	v_not_b32_e32 v41, v7
	v_xor_b32_e32 v5, s10, v5
	v_cmp_gt_i32_e64 s10, 0, v3
	v_and_b32_e32 v0, v0, v4
	v_ashrrev_i32_e32 v3, 31, v6
	v_cmp_gt_i32_e64 s11, 0, v7
	v_ashrrev_i32_e32 v4, 31, v41
	v_add_lshl_u32 v1, v17, v1, 2
	v_and_b32_e32 v0, v0, v5
	v_not_b32_e32 v5, v2
	v_xor_b32_e32 v3, s10, v3
	v_xor_b32_e32 v4, s11, v4
	v_cmp_gt_i32_e64 s10, 0, v2
	s_delay_alu instid0(VALU_DEP_4) | instskip(NEXT) | instid1(VALU_DEP_4)
	v_ashrrev_i32_e32 v2, 31, v5
	v_and_b32_e32 v0, v0, v3
	; wave barrier
	ds_load_b32 v41, v1 offset:8
	v_add_nc_u32_e32 v43, 8, v1
	v_xor_b32_e32 v2, s10, v2
	v_and_b32_e32 v0, v0, v4
	; wave barrier
	s_delay_alu instid0(VALU_DEP_1) | instskip(NEXT) | instid1(VALU_DEP_1)
	v_and_b32_e32 v0, v0, v2
	v_mbcnt_lo_u32_b32 v42, v0, 0
	v_cmp_ne_u32_e64 s11, 0, v0
	s_delay_alu instid0(VALU_DEP_2) | instskip(NEXT) | instid1(VALU_DEP_1)
	v_cmp_eq_u32_e64 s10, 0, v42
	s_and_b32 s11, s11, s10
	s_delay_alu instid0(SALU_CYCLE_1)
	s_and_saveexec_b32 s10, s11
	s_cbranch_execz .LBB246_12
; %bb.11:                               ;   in Loop: Header=BB246_2 Depth=1
	s_waitcnt lgkmcnt(0)
	v_bcnt_u32_b32 v0, v0, v41
	ds_store_b32 v43, v0
.LBB246_12:                             ;   in Loop: Header=BB246_2 Depth=1
	s_or_b32 exec_lo, exec_lo, s10
	v_and_b32_e32 v0, 1, v27
	v_lshlrev_b32_e32 v2, 30, v27
	v_lshlrev_b32_e32 v4, 29, v27
	;; [unrolled: 1-line block ×4, first 2 shown]
	v_add_co_u32 v0, s10, v0, -1
	s_delay_alu instid0(VALU_DEP_1)
	v_cndmask_b32_e64 v3, 0, 1, s10
	v_not_b32_e32 v7, v2
	v_cmp_gt_i32_e64 s11, 0, v2
	v_not_b32_e32 v2, v4
	v_and_b32_e32 v1, 0xff, v27
	v_cmp_ne_u32_e64 s10, 0, v3
	v_ashrrev_i32_e32 v7, 31, v7
	v_lshlrev_b32_e32 v3, 26, v27
	v_ashrrev_i32_e32 v2, 31, v2
	v_lshlrev_b32_e32 v1, 1, v1
	v_xor_b32_e32 v0, s10, v0
	v_cmp_gt_i32_e64 s10, 0, v4
	v_not_b32_e32 v4, v5
	v_xor_b32_e32 v7, s11, v7
	v_cmp_gt_i32_e64 s11, 0, v5
	v_and_b32_e32 v0, exec_lo, v0
	v_not_b32_e32 v5, v6
	v_ashrrev_i32_e32 v4, 31, v4
	v_xor_b32_e32 v2, s10, v2
	v_cmp_gt_i32_e64 s10, 0, v6
	v_and_b32_e32 v0, v0, v7
	v_lshlrev_b32_e32 v7, 25, v27
	v_ashrrev_i32_e32 v5, 31, v5
	v_xor_b32_e32 v4, s11, v4
	v_not_b32_e32 v6, v3
	v_and_b32_e32 v0, v0, v2
	v_lshlrev_b32_e32 v2, 24, v27
	v_not_b32_e32 v44, v7
	v_xor_b32_e32 v5, s10, v5
	v_cmp_gt_i32_e64 s10, 0, v3
	v_and_b32_e32 v0, v0, v4
	v_ashrrev_i32_e32 v3, 31, v6
	v_cmp_gt_i32_e64 s11, 0, v7
	v_ashrrev_i32_e32 v4, 31, v44
	v_add_lshl_u32 v1, v17, v1, 2
	v_and_b32_e32 v0, v0, v5
	v_not_b32_e32 v5, v2
	v_xor_b32_e32 v3, s10, v3
	v_xor_b32_e32 v4, s11, v4
	v_cmp_gt_i32_e64 s10, 0, v2
	s_delay_alu instid0(VALU_DEP_4) | instskip(NEXT) | instid1(VALU_DEP_4)
	v_ashrrev_i32_e32 v2, 31, v5
	v_and_b32_e32 v0, v0, v3
	; wave barrier
	ds_load_b32 v44, v1 offset:8
	v_add_nc_u32_e32 v46, 8, v1
	v_xor_b32_e32 v2, s10, v2
	v_and_b32_e32 v0, v0, v4
	; wave barrier
	s_delay_alu instid0(VALU_DEP_1) | instskip(NEXT) | instid1(VALU_DEP_1)
	v_and_b32_e32 v0, v0, v2
	v_mbcnt_lo_u32_b32 v45, v0, 0
	v_cmp_ne_u32_e64 s11, 0, v0
	s_delay_alu instid0(VALU_DEP_2) | instskip(NEXT) | instid1(VALU_DEP_1)
	v_cmp_eq_u32_e64 s10, 0, v45
	s_and_b32 s11, s11, s10
	s_delay_alu instid0(SALU_CYCLE_1)
	s_and_saveexec_b32 s10, s11
	s_cbranch_execz .LBB246_14
; %bb.13:                               ;   in Loop: Header=BB246_2 Depth=1
	s_waitcnt lgkmcnt(0)
	v_bcnt_u32_b32 v0, v0, v44
	ds_store_b32 v46, v0
.LBB246_14:                             ;   in Loop: Header=BB246_2 Depth=1
	s_or_b32 exec_lo, exec_lo, s10
	v_and_b32_e32 v0, 1, v28
	v_lshlrev_b32_e32 v2, 30, v28
	v_lshlrev_b32_e32 v4, 29, v28
	;; [unrolled: 1-line block ×4, first 2 shown]
	v_add_co_u32 v0, s10, v0, -1
	s_delay_alu instid0(VALU_DEP_1)
	v_cndmask_b32_e64 v3, 0, 1, s10
	v_not_b32_e32 v7, v2
	v_cmp_gt_i32_e64 s11, 0, v2
	v_not_b32_e32 v2, v4
	v_and_b32_e32 v1, 0xff, v28
	v_cmp_ne_u32_e64 s10, 0, v3
	v_ashrrev_i32_e32 v7, 31, v7
	v_lshlrev_b32_e32 v3, 26, v28
	v_ashrrev_i32_e32 v2, 31, v2
	v_lshlrev_b32_e32 v1, 1, v1
	v_xor_b32_e32 v0, s10, v0
	v_cmp_gt_i32_e64 s10, 0, v4
	v_not_b32_e32 v4, v5
	v_xor_b32_e32 v7, s11, v7
	v_cmp_gt_i32_e64 s11, 0, v5
	v_and_b32_e32 v0, exec_lo, v0
	v_not_b32_e32 v5, v6
	v_ashrrev_i32_e32 v4, 31, v4
	v_xor_b32_e32 v2, s10, v2
	v_cmp_gt_i32_e64 s10, 0, v6
	v_and_b32_e32 v0, v0, v7
	v_lshlrev_b32_e32 v7, 25, v28
	v_ashrrev_i32_e32 v5, 31, v5
	v_xor_b32_e32 v4, s11, v4
	v_not_b32_e32 v6, v3
	v_and_b32_e32 v0, v0, v2
	v_lshlrev_b32_e32 v2, 24, v28
	v_not_b32_e32 v47, v7
	v_xor_b32_e32 v5, s10, v5
	v_cmp_gt_i32_e64 s10, 0, v3
	v_and_b32_e32 v0, v0, v4
	v_ashrrev_i32_e32 v3, 31, v6
	v_cmp_gt_i32_e64 s11, 0, v7
	v_ashrrev_i32_e32 v4, 31, v47
	v_add_lshl_u32 v1, v17, v1, 2
	v_and_b32_e32 v0, v0, v5
	v_not_b32_e32 v5, v2
	v_xor_b32_e32 v3, s10, v3
	v_xor_b32_e32 v4, s11, v4
	v_cmp_gt_i32_e64 s10, 0, v2
	s_delay_alu instid0(VALU_DEP_4) | instskip(NEXT) | instid1(VALU_DEP_4)
	v_ashrrev_i32_e32 v2, 31, v5
	v_and_b32_e32 v0, v0, v3
	; wave barrier
	ds_load_b32 v47, v1 offset:8
	v_add_nc_u32_e32 v49, 8, v1
	v_xor_b32_e32 v2, s10, v2
	v_and_b32_e32 v0, v0, v4
	; wave barrier
	s_delay_alu instid0(VALU_DEP_1) | instskip(NEXT) | instid1(VALU_DEP_1)
	v_and_b32_e32 v0, v0, v2
	v_mbcnt_lo_u32_b32 v48, v0, 0
	v_cmp_ne_u32_e64 s11, 0, v0
	s_delay_alu instid0(VALU_DEP_2) | instskip(NEXT) | instid1(VALU_DEP_1)
	v_cmp_eq_u32_e64 s10, 0, v48
	s_and_b32 s11, s11, s10
	s_delay_alu instid0(SALU_CYCLE_1)
	s_and_saveexec_b32 s10, s11
	s_cbranch_execz .LBB246_16
; %bb.15:                               ;   in Loop: Header=BB246_2 Depth=1
	s_waitcnt lgkmcnt(0)
	v_bcnt_u32_b32 v0, v0, v47
	ds_store_b32 v49, v0
.LBB246_16:                             ;   in Loop: Header=BB246_2 Depth=1
	s_or_b32 exec_lo, exec_lo, s10
	v_and_b32_e32 v0, 1, v29
	v_lshlrev_b32_e32 v2, 30, v29
	v_lshlrev_b32_e32 v4, 29, v29
	;; [unrolled: 1-line block ×4, first 2 shown]
	v_add_co_u32 v0, s10, v0, -1
	s_delay_alu instid0(VALU_DEP_1)
	v_cndmask_b32_e64 v3, 0, 1, s10
	v_not_b32_e32 v7, v2
	v_cmp_gt_i32_e64 s11, 0, v2
	v_not_b32_e32 v2, v4
	v_and_b32_e32 v1, 0xff, v29
	v_cmp_ne_u32_e64 s10, 0, v3
	v_ashrrev_i32_e32 v7, 31, v7
	v_lshlrev_b32_e32 v3, 26, v29
	v_ashrrev_i32_e32 v2, 31, v2
	v_lshlrev_b32_e32 v1, 1, v1
	v_xor_b32_e32 v0, s10, v0
	v_cmp_gt_i32_e64 s10, 0, v4
	v_not_b32_e32 v4, v5
	v_xor_b32_e32 v7, s11, v7
	v_cmp_gt_i32_e64 s11, 0, v5
	v_and_b32_e32 v0, exec_lo, v0
	v_not_b32_e32 v5, v6
	v_ashrrev_i32_e32 v4, 31, v4
	v_xor_b32_e32 v2, s10, v2
	v_cmp_gt_i32_e64 s10, 0, v6
	v_and_b32_e32 v0, v0, v7
	v_lshlrev_b32_e32 v7, 25, v29
	v_ashrrev_i32_e32 v5, 31, v5
	v_xor_b32_e32 v4, s11, v4
	v_not_b32_e32 v6, v3
	v_and_b32_e32 v0, v0, v2
	v_lshlrev_b32_e32 v2, 24, v29
	v_not_b32_e32 v50, v7
	v_xor_b32_e32 v5, s10, v5
	v_cmp_gt_i32_e64 s10, 0, v3
	v_and_b32_e32 v0, v0, v4
	v_ashrrev_i32_e32 v3, 31, v6
	v_cmp_gt_i32_e64 s11, 0, v7
	v_ashrrev_i32_e32 v4, 31, v50
	v_add_lshl_u32 v1, v17, v1, 2
	v_and_b32_e32 v0, v0, v5
	v_not_b32_e32 v5, v2
	v_xor_b32_e32 v3, s10, v3
	v_xor_b32_e32 v4, s11, v4
	v_cmp_gt_i32_e64 s10, 0, v2
	s_delay_alu instid0(VALU_DEP_4) | instskip(NEXT) | instid1(VALU_DEP_4)
	v_ashrrev_i32_e32 v2, 31, v5
	v_and_b32_e32 v0, v0, v3
	; wave barrier
	ds_load_b32 v50, v1 offset:8
	v_add_nc_u32_e32 v52, 8, v1
	v_xor_b32_e32 v2, s10, v2
	v_and_b32_e32 v0, v0, v4
	; wave barrier
	s_delay_alu instid0(VALU_DEP_1) | instskip(NEXT) | instid1(VALU_DEP_1)
	v_and_b32_e32 v0, v0, v2
	v_mbcnt_lo_u32_b32 v51, v0, 0
	v_cmp_ne_u32_e64 s11, 0, v0
	s_delay_alu instid0(VALU_DEP_2) | instskip(NEXT) | instid1(VALU_DEP_1)
	v_cmp_eq_u32_e64 s10, 0, v51
	s_and_b32 s11, s11, s10
	s_delay_alu instid0(SALU_CYCLE_1)
	s_and_saveexec_b32 s10, s11
	s_cbranch_execz .LBB246_18
; %bb.17:                               ;   in Loop: Header=BB246_2 Depth=1
	s_waitcnt lgkmcnt(0)
	v_bcnt_u32_b32 v0, v0, v50
	ds_store_b32 v52, v0
.LBB246_18:                             ;   in Loop: Header=BB246_2 Depth=1
	s_or_b32 exec_lo, exec_lo, s10
	; wave barrier
	s_waitcnt lgkmcnt(0)
	s_barrier
	buffer_gl0_inv
	ds_load_2addr_b64 v[4:7], v13 offset0:1 offset1:2
	ds_load_2addr_b64 v[0:3], v16 offset0:2 offset1:3
	s_waitcnt lgkmcnt(1)
	v_add_nc_u32_e32 v53, v5, v4
	s_delay_alu instid0(VALU_DEP_1) | instskip(SKIP_1) | instid1(VALU_DEP_1)
	v_add3_u32 v53, v53, v6, v7
	s_waitcnt lgkmcnt(0)
	v_add3_u32 v53, v53, v0, v1
	s_delay_alu instid0(VALU_DEP_1) | instskip(NEXT) | instid1(VALU_DEP_1)
	v_add3_u32 v3, v53, v2, v3
	v_mov_b32_dpp v53, v3 row_shr:1 row_mask:0xf bank_mask:0xf
	s_delay_alu instid0(VALU_DEP_1) | instskip(NEXT) | instid1(VALU_DEP_1)
	v_cndmask_b32_e64 v53, v53, 0, vcc_lo
	v_add_nc_u32_e32 v3, v53, v3
	s_delay_alu instid0(VALU_DEP_1) | instskip(NEXT) | instid1(VALU_DEP_1)
	v_mov_b32_dpp v53, v3 row_shr:2 row_mask:0xf bank_mask:0xf
	v_cndmask_b32_e64 v53, 0, v53, s0
	s_delay_alu instid0(VALU_DEP_1) | instskip(NEXT) | instid1(VALU_DEP_1)
	v_add_nc_u32_e32 v3, v3, v53
	v_mov_b32_dpp v53, v3 row_shr:4 row_mask:0xf bank_mask:0xf
	s_delay_alu instid0(VALU_DEP_1) | instskip(NEXT) | instid1(VALU_DEP_1)
	v_cndmask_b32_e64 v53, 0, v53, s1
	v_add_nc_u32_e32 v3, v3, v53
	s_delay_alu instid0(VALU_DEP_1) | instskip(NEXT) | instid1(VALU_DEP_1)
	v_mov_b32_dpp v53, v3 row_shr:8 row_mask:0xf bank_mask:0xf
	v_cndmask_b32_e64 v53, 0, v53, s2
	s_delay_alu instid0(VALU_DEP_1) | instskip(SKIP_3) | instid1(VALU_DEP_1)
	v_add_nc_u32_e32 v3, v3, v53
	ds_swizzle_b32 v53, v3 offset:swizzle(BROADCAST,32,15)
	s_waitcnt lgkmcnt(0)
	v_cndmask_b32_e64 v53, v53, 0, s3
	v_add_nc_u32_e32 v3, v3, v53
	s_and_saveexec_b32 s10, s4
	s_cbranch_execz .LBB246_20
; %bb.19:                               ;   in Loop: Header=BB246_2 Depth=1
	ds_store_b32 v19, v3
.LBB246_20:                             ;   in Loop: Header=BB246_2 Depth=1
	s_or_b32 exec_lo, exec_lo, s10
	s_waitcnt lgkmcnt(0)
	s_barrier
	buffer_gl0_inv
	s_and_saveexec_b32 s10, s5
	s_cbranch_execz .LBB246_22
; %bb.21:                               ;   in Loop: Header=BB246_2 Depth=1
	ds_load_b32 v53, v21
	s_waitcnt lgkmcnt(0)
	v_mov_b32_dpp v54, v53 row_shr:1 row_mask:0xf bank_mask:0xf
	s_delay_alu instid0(VALU_DEP_1) | instskip(NEXT) | instid1(VALU_DEP_1)
	v_cndmask_b32_e64 v54, v54, 0, s9
	v_add_nc_u32_e32 v53, v54, v53
	ds_store_b32 v21, v53
.LBB246_22:                             ;   in Loop: Header=BB246_2 Depth=1
	s_or_b32 exec_lo, exec_lo, s10
	v_mov_b32_e32 v53, 0
	s_waitcnt lgkmcnt(0)
	s_barrier
	buffer_gl0_inv
	s_and_saveexec_b32 s10, s6
	s_cbranch_execz .LBB246_1
; %bb.23:                               ;   in Loop: Header=BB246_2 Depth=1
	ds_load_b32 v53, v20
	s_branch .LBB246_1
.LBB246_24:
	s_add_u32 s0, s18, s12
	s_addc_u32 s1, s19, 0
	s_clause 0x7
	global_store_b8 v8, v0, s[0:1]
	global_store_b8 v8, v3, s[0:1] offset:64
	global_store_b8 v8, v4, s[0:1] offset:128
	;; [unrolled: 1-line block ×7, first 2 shown]
	s_nop 0
	s_sendmsg sendmsg(MSG_DEALLOC_VGPRS)
	s_endpgm
	.section	.rodata,"a",@progbits
	.p2align	6, 0x0
	.amdhsa_kernel _Z16sort_keys_kernelI22helper_blocked_stripedaLj64ELj8ELj10EEvPKT0_PS1_
		.amdhsa_group_segment_fixed_size 2064
		.amdhsa_private_segment_fixed_size 0
		.amdhsa_kernarg_size 272
		.amdhsa_user_sgpr_count 15
		.amdhsa_user_sgpr_dispatch_ptr 0
		.amdhsa_user_sgpr_queue_ptr 0
		.amdhsa_user_sgpr_kernarg_segment_ptr 1
		.amdhsa_user_sgpr_dispatch_id 0
		.amdhsa_user_sgpr_private_segment_size 0
		.amdhsa_wavefront_size32 1
		.amdhsa_uses_dynamic_stack 0
		.amdhsa_enable_private_segment 0
		.amdhsa_system_sgpr_workgroup_id_x 1
		.amdhsa_system_sgpr_workgroup_id_y 0
		.amdhsa_system_sgpr_workgroup_id_z 0
		.amdhsa_system_sgpr_workgroup_info 0
		.amdhsa_system_vgpr_workitem_id 2
		.amdhsa_next_free_vgpr 55
		.amdhsa_next_free_sgpr 20
		.amdhsa_reserve_vcc 1
		.amdhsa_float_round_mode_32 0
		.amdhsa_float_round_mode_16_64 0
		.amdhsa_float_denorm_mode_32 3
		.amdhsa_float_denorm_mode_16_64 3
		.amdhsa_dx10_clamp 1
		.amdhsa_ieee_mode 1
		.amdhsa_fp16_overflow 0
		.amdhsa_workgroup_processor_mode 1
		.amdhsa_memory_ordered 1
		.amdhsa_forward_progress 0
		.amdhsa_shared_vgpr_count 0
		.amdhsa_exception_fp_ieee_invalid_op 0
		.amdhsa_exception_fp_denorm_src 0
		.amdhsa_exception_fp_ieee_div_zero 0
		.amdhsa_exception_fp_ieee_overflow 0
		.amdhsa_exception_fp_ieee_underflow 0
		.amdhsa_exception_fp_ieee_inexact 0
		.amdhsa_exception_int_div_zero 0
	.end_amdhsa_kernel
	.section	.text._Z16sort_keys_kernelI22helper_blocked_stripedaLj64ELj8ELj10EEvPKT0_PS1_,"axG",@progbits,_Z16sort_keys_kernelI22helper_blocked_stripedaLj64ELj8ELj10EEvPKT0_PS1_,comdat
.Lfunc_end246:
	.size	_Z16sort_keys_kernelI22helper_blocked_stripedaLj64ELj8ELj10EEvPKT0_PS1_, .Lfunc_end246-_Z16sort_keys_kernelI22helper_blocked_stripedaLj64ELj8ELj10EEvPKT0_PS1_
                                        ; -- End function
	.section	.AMDGPU.csdata,"",@progbits
; Kernel info:
; codeLenInByte = 4504
; NumSgprs: 22
; NumVgprs: 55
; ScratchSize: 0
; MemoryBound: 0
; FloatMode: 240
; IeeeMode: 1
; LDSByteSize: 2064 bytes/workgroup (compile time only)
; SGPRBlocks: 2
; VGPRBlocks: 6
; NumSGPRsForWavesPerEU: 22
; NumVGPRsForWavesPerEU: 55
; Occupancy: 16
; WaveLimiterHint : 0
; COMPUTE_PGM_RSRC2:SCRATCH_EN: 0
; COMPUTE_PGM_RSRC2:USER_SGPR: 15
; COMPUTE_PGM_RSRC2:TRAP_HANDLER: 0
; COMPUTE_PGM_RSRC2:TGID_X_EN: 1
; COMPUTE_PGM_RSRC2:TGID_Y_EN: 0
; COMPUTE_PGM_RSRC2:TGID_Z_EN: 0
; COMPUTE_PGM_RSRC2:TIDIG_COMP_CNT: 2
	.section	.text._Z17sort_pairs_kernelI22helper_blocked_stripedaLj64ELj8ELj10EEvPKT0_PS1_,"axG",@progbits,_Z17sort_pairs_kernelI22helper_blocked_stripedaLj64ELj8ELj10EEvPKT0_PS1_,comdat
	.protected	_Z17sort_pairs_kernelI22helper_blocked_stripedaLj64ELj8ELj10EEvPKT0_PS1_ ; -- Begin function _Z17sort_pairs_kernelI22helper_blocked_stripedaLj64ELj8ELj10EEvPKT0_PS1_
	.globl	_Z17sort_pairs_kernelI22helper_blocked_stripedaLj64ELj8ELj10EEvPKT0_PS1_
	.p2align	8
	.type	_Z17sort_pairs_kernelI22helper_blocked_stripedaLj64ELj8ELj10EEvPKT0_PS1_,@function
_Z17sort_pairs_kernelI22helper_blocked_stripedaLj64ELj8ELj10EEvPKT0_PS1_: ; @_Z17sort_pairs_kernelI22helper_blocked_stripedaLj64ELj8ELj10EEvPKT0_PS1_
; %bb.0:
	s_clause 0x1
	s_load_b128 s[16:19], s[0:1], 0x0
	s_load_b32 s9, s[0:1], 0x1c
	v_and_b32_e32 v8, 0x3ff, v0
	s_lshl_b32 s12, s15, 9
	v_mbcnt_lo_u32_b32 v4, -1, 0
	v_bfe_u32 v5, v0, 10, 10
	v_bfe_u32 v0, v0, 20, 10
	v_lshlrev_b32_e32 v1, 3, v8
	s_mov_b32 s13, 10
	v_add_nc_u32_e32 v14, -1, v4
	v_and_b32_e32 v6, 15, v4
	v_and_b32_e32 v7, 16, v4
	v_cmp_eq_u32_e32 vcc_lo, 0, v4
	v_and_b32_e32 v15, 1, v4
	v_cmp_gt_i32_e64 s7, 0, v14
	s_delay_alu instid0(VALU_DEP_4) | instskip(NEXT) | instid1(VALU_DEP_3)
	v_cmp_eq_u32_e64 s4, 0, v7
	v_cmp_eq_u32_e64 s8, 0, v15
	s_waitcnt lgkmcnt(0)
	s_add_u32 s0, s16, s12
	s_addc_u32 s1, s17, 0
	s_lshr_b32 s10, s9, 16
	global_load_b64 v[2:3], v1, s[0:1]
	s_mov_b32 s0, 0
	v_mad_u32_u24 v5, v0, s10, v5
	s_mov_b32 s1, s0
	s_mov_b32 s2, s0
	v_mov_b32_e32 v10, s1
	s_mov_b32 s3, s0
	s_delay_alu instid0(SALU_CYCLE_1)
	v_dual_mov_b32 v9, s0 :: v_dual_mov_b32 v12, s3
	v_dual_mov_b32 v11, s2 :: v_dual_and_b32 v16, 32, v8
	v_cmp_eq_u32_e64 s0, 0, v6
	v_cmp_lt_u32_e64 s1, 1, v6
	v_cmp_lt_u32_e64 s2, 3, v6
	;; [unrolled: 1-line block ×3, first 2 shown]
	v_cndmask_b32_e64 v6, v14, v4, s7
	v_lshrrev_b32_e32 v7, 3, v8
	v_or_b32_e32 v18, v4, v16
	v_and_or_b32 v14, 0x100, v1, v4
	v_or_b32_e32 v4, 31, v16
	v_lshlrev_b32_e32 v16, 2, v6
	v_and_b32_e32 v17, 4, v7
	s_and_b32 s9, s9, 0xffff
	v_lshlrev_b32_e32 v13, 5, v8
	v_mul_u32_u24_e32 v21, 3, v8
	v_cmp_gt_u32_e64 s5, 2, v8
	v_cmp_lt_u32_e64 s6, 31, v8
	v_cmp_eq_u32_e64 s7, 0, v8
	v_or_b32_e32 v15, 8, v13
	v_lshlrev_b32_e32 v18, 3, v18
	v_add_nc_u32_e32 v21, v8, v21
	s_waitcnt vmcnt(0)
	v_lshrrev_b32_e32 v6, 16, v2
	v_lshrrev_b32_e32 v20, 16, v3
	;; [unrolled: 1-line block ×6, first 2 shown]
	v_add_nc_u16 v23, v2, 1
	v_add_nc_u16 v24, v3, 1
	;; [unrolled: 1-line block ×4, first 2 shown]
	v_lshlrev_b16 v1, 8, v1
	v_lshlrev_b16 v7, 8, v7
	;; [unrolled: 1-line block ×4, first 2 shown]
	v_and_b32_e32 v23, 0xff, v23
	v_and_b32_e32 v24, 0xff, v24
	;; [unrolled: 1-line block ×4, first 2 shown]
	s_delay_alu instid0(VALU_DEP_4) | instskip(NEXT) | instid1(VALU_DEP_4)
	v_or_b32_e32 v23, v1, v23
	v_or_b32_e32 v19, v19, v24
	s_delay_alu instid0(VALU_DEP_4) | instskip(NEXT) | instid1(VALU_DEP_4)
	v_or_b32_e32 v6, v7, v6
	v_or_b32_e32 v7, v22, v20
	v_mad_u64_u32 v[0:1], null, v5, s9, v[8:9]
	v_add_nc_u16 v1, v23, 0x100
	v_add_nc_u16 v5, v19, 0x100
	;; [unrolled: 1-line block ×4, first 2 shown]
	v_cmp_eq_u32_e64 s9, v4, v8
	v_and_b32_e32 v1, 0xffff, v1
	v_and_b32_e32 v5, 0xffff, v5
	v_lshlrev_b32_e32 v6, 16, v6
	v_lshlrev_b32_e32 v7, 16, v7
	v_add_nc_u32_e32 v19, -4, v17
	v_lshrrev_b32_e32 v20, 5, v0
	s_delay_alu instid0(VALU_DEP_4) | instskip(NEXT) | instid1(VALU_DEP_4)
	v_or_b32_e32 v0, v1, v6
	v_or_b32_e32 v1, v5, v7
	s_branch .LBB247_2
.LBB247_1:                              ;   in Loop: Header=BB247_2 Depth=1
	s_or_b32 exec_lo, exec_lo, s10
	s_waitcnt lgkmcnt(0)
	v_add_nc_u32_e32 v3, v61, v3
	s_add_i32 s13, s13, -1
	s_delay_alu instid0(SALU_CYCLE_1) | instskip(SKIP_3) | instid1(VALU_DEP_1)
	s_cmp_eq_u32 s13, 0
	ds_bpermute_b32 v3, v16, v3
	s_waitcnt lgkmcnt(0)
	v_cndmask_b32_e32 v3, v3, v61, vcc_lo
	v_cndmask_b32_e64 v3, v3, 0, s7
	s_delay_alu instid0(VALU_DEP_1) | instskip(NEXT) | instid1(VALU_DEP_1)
	v_add_nc_u32_e32 v4, v3, v4
	v_add_nc_u32_e32 v5, v4, v5
	s_delay_alu instid0(VALU_DEP_1) | instskip(NEXT) | instid1(VALU_DEP_1)
	v_add_nc_u32_e32 v6, v5, v6
	v_add_nc_u32_e32 v61, v6, v7
	;; [unrolled: 3-line block ×3, first 2 shown]
	s_delay_alu instid0(VALU_DEP_1)
	v_add_nc_u32_e32 v1, v0, v2
	ds_store_2addr_b64 v13, v[3:4], v[5:6] offset0:1 offset1:2
	ds_store_2addr_b64 v15, v[61:62], v[0:1] offset0:2 offset1:3
	s_waitcnt lgkmcnt(0)
	s_barrier
	buffer_gl0_inv
	ds_load_b32 v0, v39
	ds_load_b32 v1, v42
	;; [unrolled: 1-line block ×8, first 2 shown]
	s_waitcnt lgkmcnt(0)
	s_barrier
	buffer_gl0_inv
	v_add_nc_u32_e32 v0, v0, v38
	v_add3_u32 v1, v41, v40, v1
	v_add3_u32 v2, v44, v43, v2
	;; [unrolled: 1-line block ×7, first 2 shown]
	ds_store_b8 v0, v22
	ds_store_b8 v1, v23
	;; [unrolled: 1-line block ×8, first 2 shown]
	s_waitcnt lgkmcnt(0)
	s_barrier
	buffer_gl0_inv
	ds_load_u8 v26, v8
	ds_load_u8 v28, v8 offset:64
	ds_load_u8 v29, v8 offset:128
	;; [unrolled: 1-line block ×7, first 2 shown]
	s_waitcnt lgkmcnt(0)
	s_barrier
	buffer_gl0_inv
	ds_store_b8 v0, v30
	ds_store_b8 v1, v31
	;; [unrolled: 1-line block ×8, first 2 shown]
	s_waitcnt lgkmcnt(0)
	s_barrier
	buffer_gl0_inv
	ds_load_u8 v5, v8 offset:64
	ds_load_u8 v6, v8 offset:192
	;; [unrolled: 1-line block ×4, first 2 shown]
	ds_load_u8 v25, v8
	ds_load_u8 v24, v8 offset:128
	ds_load_u8 v23, v8 offset:256
	;; [unrolled: 1-line block ×3, first 2 shown]
	v_xor_b32_e32 v27, 0xffffff80, v26
	v_xor_b32_e32 v28, 0xffffff80, v28
	;; [unrolled: 1-line block ×8, first 2 shown]
	s_waitcnt lgkmcnt(7)
	v_lshlrev_b16 v0, 8, v5
	s_waitcnt lgkmcnt(6)
	v_lshlrev_b16 v1, 8, v6
	;; [unrolled: 2-line block ×4, first 2 shown]
	v_lshlrev_b16 v34, 8, v28
	v_and_b32_e32 v35, 0xff, v27
	v_lshlrev_b16 v36, 8, v30
	v_and_b32_e32 v37, 0xff, v29
	;; [unrolled: 2-line block ×4, first 2 shown]
	s_waitcnt lgkmcnt(3)
	v_or_b32_e32 v0, v25, v0
	s_waitcnt lgkmcnt(2)
	v_or_b32_e32 v1, v24, v1
	;; [unrolled: 2-line block ×4, first 2 shown]
	v_or_b32_e32 v34, v35, v34
	v_or_b32_e32 v35, v37, v36
	;; [unrolled: 1-line block ×4, first 2 shown]
	v_and_b32_e32 v0, 0xffff, v0
	v_lshlrev_b32_e32 v1, 16, v1
	v_and_b32_e32 v2, 0xffff, v2
	v_lshlrev_b32_e32 v3, 16, v3
	;; [unrolled: 2-line block ×4, first 2 shown]
	v_or_b32_e32 v0, v0, v1
	v_or_b32_e32 v1, v2, v3
	;; [unrolled: 1-line block ×3, first 2 shown]
	s_delay_alu instid0(VALU_DEP_4)
	v_or_b32_e32 v3, v36, v37
	s_cbranch_scc1 .LBB247_24
.LBB247_2:                              ; =>This Inner Loop Header: Depth=1
	s_delay_alu instid0(VALU_DEP_1) | instskip(NEXT) | instid1(VALU_DEP_3)
	v_lshrrev_b32_e32 v4, 16, v3
	v_lshrrev_b32_e32 v5, 16, v2
	v_xor_b32_e32 v6, 0x80, v3
	v_and_b32_e32 v7, 0xffffff00, v2
	v_xor_b32_e32 v2, 0x80, v2
	v_xor_b32_e32 v22, 0x80, v4
	;; [unrolled: 1-line block ×3, first 2 shown]
	v_and_b32_e32 v3, 0xffffff00, v3
	v_and_b32_e32 v6, 0xff, v6
	;; [unrolled: 1-line block ×7, first 2 shown]
	v_or_b32_e32 v3, v6, v3
	v_or_b32_e32 v4, v22, v4
	;; [unrolled: 1-line block ×3, first 2 shown]
	s_delay_alu instid0(VALU_DEP_4) | instskip(NEXT) | instid1(VALU_DEP_4)
	v_or_b32_e32 v5, v23, v5
	v_add_nc_u16 v3, v3, 0x8000
	s_delay_alu instid0(VALU_DEP_4) | instskip(NEXT) | instid1(VALU_DEP_4)
	v_add_nc_u16 v4, v4, 0x8000
	v_add_nc_u16 v2, v2, 0x8000
	s_delay_alu instid0(VALU_DEP_4) | instskip(NEXT) | instid1(VALU_DEP_4)
	v_add_nc_u16 v5, v5, 0x8000
	v_and_b32_e32 v3, 0xffff, v3
	s_delay_alu instid0(VALU_DEP_4) | instskip(NEXT) | instid1(VALU_DEP_4)
	v_lshlrev_b32_e32 v4, 16, v4
	v_and_b32_e32 v2, 0xffff, v2
	s_delay_alu instid0(VALU_DEP_4) | instskip(NEXT) | instid1(VALU_DEP_3)
	v_lshlrev_b32_e32 v5, 16, v5
	v_or_b32_e32 v3, v3, v4
	s_delay_alu instid0(VALU_DEP_2)
	v_or_b32_e32 v2, v2, v5
	ds_store_b64 v18, v[2:3]
	; wave barrier
	ds_load_u8 v22, v14
	ds_load_u8 v23, v14 offset:32
	ds_load_u8 v24, v14 offset:64
	;; [unrolled: 1-line block ×7, first 2 shown]
	; wave barrier
	ds_store_b64 v18, v[0:1]
	; wave barrier
	s_waitcnt lgkmcnt(8)
	v_and_b32_e32 v2, 1, v22
	v_lshlrev_b32_e32 v3, 30, v22
	v_lshlrev_b32_e32 v4, 29, v22
	;; [unrolled: 1-line block ×4, first 2 shown]
	v_add_co_u32 v2, s10, v2, -1
	s_delay_alu instid0(VALU_DEP_1)
	v_cndmask_b32_e64 v6, 0, 1, s10
	v_not_b32_e32 v32, v3
	v_cmp_gt_i32_e64 s11, 0, v3
	v_not_b32_e32 v3, v4
	v_lshlrev_b32_e32 v30, 26, v22
	v_cmp_ne_u32_e64 s10, 0, v6
	v_ashrrev_i32_e32 v32, 31, v32
	v_lshlrev_b32_e32 v31, 25, v22
	v_ashrrev_i32_e32 v3, 31, v3
	v_lshlrev_b32_e32 v6, 24, v22
	v_xor_b32_e32 v2, s10, v2
	v_cmp_gt_i32_e64 s10, 0, v4
	v_not_b32_e32 v4, v5
	v_xor_b32_e32 v32, s11, v32
	v_cmp_gt_i32_e64 s11, 0, v5
	v_and_b32_e32 v2, exec_lo, v2
	v_not_b32_e32 v5, v7
	v_ashrrev_i32_e32 v4, 31, v4
	v_xor_b32_e32 v3, s10, v3
	v_cmp_gt_i32_e64 s10, 0, v7
	v_and_b32_e32 v2, v2, v32
	v_not_b32_e32 v7, v30
	v_ashrrev_i32_e32 v5, 31, v5
	v_xor_b32_e32 v4, s11, v4
	v_cmp_gt_i32_e64 s11, 0, v30
	v_and_b32_e32 v2, v2, v3
	;; [unrolled: 5-line block ×4, first 2 shown]
	v_ashrrev_i32_e32 v4, 31, v4
	v_xor_b32_e32 v3, s10, v3
	ds_load_u8 v30, v14
	ds_load_u8 v31, v14 offset:32
	ds_load_u8 v32, v14 offset:64
	;; [unrolled: 1-line block ×7, first 2 shown]
	s_waitcnt lgkmcnt(0)
	v_and_b32_e32 v2, v2, v7
	v_xor_b32_e32 v0, s11, v4
	s_barrier
	buffer_gl0_inv
	ds_store_2addr_b64 v13, v[9:10], v[11:12] offset0:1 offset1:2
	ds_store_2addr_b64 v15, v[9:10], v[11:12] offset0:2 offset1:3
	v_and_b32_e32 v1, v2, v3
	s_waitcnt lgkmcnt(0)
	s_barrier
	buffer_gl0_inv
	v_and_b32_e32 v0, v1, v0
	v_and_b32_e32 v1, 0xff, v22
	; wave barrier
	s_delay_alu instid0(VALU_DEP_2) | instskip(NEXT) | instid1(VALU_DEP_2)
	v_mbcnt_lo_u32_b32 v38, v0, 0
	v_lshl_add_u32 v1, v1, 1, v20
	v_cmp_ne_u32_e64 s11, 0, v0
	s_delay_alu instid0(VALU_DEP_3) | instskip(NEXT) | instid1(VALU_DEP_3)
	v_cmp_eq_u32_e64 s10, 0, v38
	v_lshl_add_u32 v39, v1, 2, 8
	s_delay_alu instid0(VALU_DEP_2) | instskip(NEXT) | instid1(SALU_CYCLE_1)
	s_and_b32 s11, s11, s10
	s_and_saveexec_b32 s10, s11
	s_cbranch_execz .LBB247_4
; %bb.3:                                ;   in Loop: Header=BB247_2 Depth=1
	v_bcnt_u32_b32 v0, v0, 0
	ds_store_b32 v39, v0
.LBB247_4:                              ;   in Loop: Header=BB247_2 Depth=1
	s_or_b32 exec_lo, exec_lo, s10
	v_and_b32_e32 v0, 1, v23
	v_lshlrev_b32_e32 v2, 30, v23
	v_lshlrev_b32_e32 v4, 29, v23
	;; [unrolled: 1-line block ×4, first 2 shown]
	v_add_co_u32 v0, s10, v0, -1
	s_delay_alu instid0(VALU_DEP_1)
	v_cndmask_b32_e64 v3, 0, 1, s10
	v_not_b32_e32 v7, v2
	v_cmp_gt_i32_e64 s11, 0, v2
	v_not_b32_e32 v2, v4
	v_and_b32_e32 v1, 0xff, v23
	v_cmp_ne_u32_e64 s10, 0, v3
	v_ashrrev_i32_e32 v7, 31, v7
	v_lshlrev_b32_e32 v3, 26, v23
	v_ashrrev_i32_e32 v2, 31, v2
	v_lshlrev_b32_e32 v1, 1, v1
	v_xor_b32_e32 v0, s10, v0
	v_cmp_gt_i32_e64 s10, 0, v4
	v_not_b32_e32 v4, v5
	v_xor_b32_e32 v7, s11, v7
	v_cmp_gt_i32_e64 s11, 0, v5
	v_and_b32_e32 v0, exec_lo, v0
	v_not_b32_e32 v5, v6
	v_ashrrev_i32_e32 v4, 31, v4
	v_xor_b32_e32 v2, s10, v2
	v_cmp_gt_i32_e64 s10, 0, v6
	v_and_b32_e32 v0, v0, v7
	v_lshlrev_b32_e32 v7, 25, v23
	v_ashrrev_i32_e32 v5, 31, v5
	v_xor_b32_e32 v4, s11, v4
	v_not_b32_e32 v6, v3
	v_and_b32_e32 v0, v0, v2
	v_lshlrev_b32_e32 v2, 24, v23
	v_not_b32_e32 v40, v7
	v_xor_b32_e32 v5, s10, v5
	v_cmp_gt_i32_e64 s10, 0, v3
	v_and_b32_e32 v0, v0, v4
	v_ashrrev_i32_e32 v3, 31, v6
	v_cmp_gt_i32_e64 s11, 0, v7
	v_ashrrev_i32_e32 v4, 31, v40
	v_add_lshl_u32 v1, v20, v1, 2
	v_and_b32_e32 v0, v0, v5
	v_not_b32_e32 v5, v2
	v_xor_b32_e32 v3, s10, v3
	v_xor_b32_e32 v4, s11, v4
	v_cmp_gt_i32_e64 s10, 0, v2
	s_delay_alu instid0(VALU_DEP_4) | instskip(NEXT) | instid1(VALU_DEP_4)
	v_ashrrev_i32_e32 v2, 31, v5
	v_and_b32_e32 v0, v0, v3
	; wave barrier
	ds_load_b32 v40, v1 offset:8
	v_add_nc_u32_e32 v42, 8, v1
	v_xor_b32_e32 v2, s10, v2
	v_and_b32_e32 v0, v0, v4
	; wave barrier
	s_delay_alu instid0(VALU_DEP_1) | instskip(NEXT) | instid1(VALU_DEP_1)
	v_and_b32_e32 v0, v0, v2
	v_mbcnt_lo_u32_b32 v41, v0, 0
	v_cmp_ne_u32_e64 s11, 0, v0
	s_delay_alu instid0(VALU_DEP_2) | instskip(NEXT) | instid1(VALU_DEP_1)
	v_cmp_eq_u32_e64 s10, 0, v41
	s_and_b32 s11, s11, s10
	s_delay_alu instid0(SALU_CYCLE_1)
	s_and_saveexec_b32 s10, s11
	s_cbranch_execz .LBB247_6
; %bb.5:                                ;   in Loop: Header=BB247_2 Depth=1
	s_waitcnt lgkmcnt(0)
	v_bcnt_u32_b32 v0, v0, v40
	ds_store_b32 v42, v0
.LBB247_6:                              ;   in Loop: Header=BB247_2 Depth=1
	s_or_b32 exec_lo, exec_lo, s10
	v_and_b32_e32 v0, 1, v24
	v_lshlrev_b32_e32 v2, 30, v24
	v_lshlrev_b32_e32 v4, 29, v24
	;; [unrolled: 1-line block ×4, first 2 shown]
	v_add_co_u32 v0, s10, v0, -1
	s_delay_alu instid0(VALU_DEP_1)
	v_cndmask_b32_e64 v3, 0, 1, s10
	v_not_b32_e32 v7, v2
	v_cmp_gt_i32_e64 s11, 0, v2
	v_not_b32_e32 v2, v4
	v_and_b32_e32 v1, 0xff, v24
	v_cmp_ne_u32_e64 s10, 0, v3
	v_ashrrev_i32_e32 v7, 31, v7
	v_lshlrev_b32_e32 v3, 26, v24
	v_ashrrev_i32_e32 v2, 31, v2
	v_lshlrev_b32_e32 v1, 1, v1
	v_xor_b32_e32 v0, s10, v0
	v_cmp_gt_i32_e64 s10, 0, v4
	v_not_b32_e32 v4, v5
	v_xor_b32_e32 v7, s11, v7
	v_cmp_gt_i32_e64 s11, 0, v5
	v_and_b32_e32 v0, exec_lo, v0
	v_not_b32_e32 v5, v6
	v_ashrrev_i32_e32 v4, 31, v4
	v_xor_b32_e32 v2, s10, v2
	v_cmp_gt_i32_e64 s10, 0, v6
	v_and_b32_e32 v0, v0, v7
	v_lshlrev_b32_e32 v7, 25, v24
	v_ashrrev_i32_e32 v5, 31, v5
	v_xor_b32_e32 v4, s11, v4
	v_not_b32_e32 v6, v3
	v_and_b32_e32 v0, v0, v2
	v_lshlrev_b32_e32 v2, 24, v24
	v_not_b32_e32 v43, v7
	v_xor_b32_e32 v5, s10, v5
	v_cmp_gt_i32_e64 s10, 0, v3
	v_and_b32_e32 v0, v0, v4
	v_ashrrev_i32_e32 v3, 31, v6
	v_cmp_gt_i32_e64 s11, 0, v7
	v_ashrrev_i32_e32 v4, 31, v43
	v_add_lshl_u32 v1, v20, v1, 2
	v_and_b32_e32 v0, v0, v5
	v_not_b32_e32 v5, v2
	v_xor_b32_e32 v3, s10, v3
	v_xor_b32_e32 v4, s11, v4
	v_cmp_gt_i32_e64 s10, 0, v2
	s_delay_alu instid0(VALU_DEP_4) | instskip(NEXT) | instid1(VALU_DEP_4)
	v_ashrrev_i32_e32 v2, 31, v5
	v_and_b32_e32 v0, v0, v3
	; wave barrier
	ds_load_b32 v43, v1 offset:8
	v_add_nc_u32_e32 v45, 8, v1
	v_xor_b32_e32 v2, s10, v2
	v_and_b32_e32 v0, v0, v4
	; wave barrier
	s_delay_alu instid0(VALU_DEP_1) | instskip(NEXT) | instid1(VALU_DEP_1)
	v_and_b32_e32 v0, v0, v2
	v_mbcnt_lo_u32_b32 v44, v0, 0
	v_cmp_ne_u32_e64 s11, 0, v0
	s_delay_alu instid0(VALU_DEP_2) | instskip(NEXT) | instid1(VALU_DEP_1)
	v_cmp_eq_u32_e64 s10, 0, v44
	s_and_b32 s11, s11, s10
	s_delay_alu instid0(SALU_CYCLE_1)
	s_and_saveexec_b32 s10, s11
	s_cbranch_execz .LBB247_8
; %bb.7:                                ;   in Loop: Header=BB247_2 Depth=1
	s_waitcnt lgkmcnt(0)
	v_bcnt_u32_b32 v0, v0, v43
	ds_store_b32 v45, v0
.LBB247_8:                              ;   in Loop: Header=BB247_2 Depth=1
	s_or_b32 exec_lo, exec_lo, s10
	v_and_b32_e32 v0, 1, v25
	v_lshlrev_b32_e32 v2, 30, v25
	v_lshlrev_b32_e32 v4, 29, v25
	;; [unrolled: 1-line block ×4, first 2 shown]
	v_add_co_u32 v0, s10, v0, -1
	s_delay_alu instid0(VALU_DEP_1)
	v_cndmask_b32_e64 v3, 0, 1, s10
	v_not_b32_e32 v7, v2
	v_cmp_gt_i32_e64 s11, 0, v2
	v_not_b32_e32 v2, v4
	v_and_b32_e32 v1, 0xff, v25
	v_cmp_ne_u32_e64 s10, 0, v3
	v_ashrrev_i32_e32 v7, 31, v7
	v_lshlrev_b32_e32 v3, 26, v25
	v_ashrrev_i32_e32 v2, 31, v2
	v_lshlrev_b32_e32 v1, 1, v1
	v_xor_b32_e32 v0, s10, v0
	v_cmp_gt_i32_e64 s10, 0, v4
	v_not_b32_e32 v4, v5
	v_xor_b32_e32 v7, s11, v7
	v_cmp_gt_i32_e64 s11, 0, v5
	v_and_b32_e32 v0, exec_lo, v0
	v_not_b32_e32 v5, v6
	v_ashrrev_i32_e32 v4, 31, v4
	v_xor_b32_e32 v2, s10, v2
	v_cmp_gt_i32_e64 s10, 0, v6
	v_and_b32_e32 v0, v0, v7
	v_lshlrev_b32_e32 v7, 25, v25
	v_ashrrev_i32_e32 v5, 31, v5
	v_xor_b32_e32 v4, s11, v4
	v_not_b32_e32 v6, v3
	v_and_b32_e32 v0, v0, v2
	v_lshlrev_b32_e32 v2, 24, v25
	v_not_b32_e32 v46, v7
	v_xor_b32_e32 v5, s10, v5
	v_cmp_gt_i32_e64 s10, 0, v3
	v_and_b32_e32 v0, v0, v4
	v_ashrrev_i32_e32 v3, 31, v6
	v_cmp_gt_i32_e64 s11, 0, v7
	v_ashrrev_i32_e32 v4, 31, v46
	v_add_lshl_u32 v1, v20, v1, 2
	v_and_b32_e32 v0, v0, v5
	v_not_b32_e32 v5, v2
	v_xor_b32_e32 v3, s10, v3
	v_xor_b32_e32 v4, s11, v4
	v_cmp_gt_i32_e64 s10, 0, v2
	s_delay_alu instid0(VALU_DEP_4) | instskip(NEXT) | instid1(VALU_DEP_4)
	v_ashrrev_i32_e32 v2, 31, v5
	v_and_b32_e32 v0, v0, v3
	; wave barrier
	ds_load_b32 v46, v1 offset:8
	v_add_nc_u32_e32 v48, 8, v1
	v_xor_b32_e32 v2, s10, v2
	v_and_b32_e32 v0, v0, v4
	; wave barrier
	s_delay_alu instid0(VALU_DEP_1) | instskip(NEXT) | instid1(VALU_DEP_1)
	v_and_b32_e32 v0, v0, v2
	v_mbcnt_lo_u32_b32 v47, v0, 0
	v_cmp_ne_u32_e64 s11, 0, v0
	s_delay_alu instid0(VALU_DEP_2) | instskip(NEXT) | instid1(VALU_DEP_1)
	v_cmp_eq_u32_e64 s10, 0, v47
	s_and_b32 s11, s11, s10
	s_delay_alu instid0(SALU_CYCLE_1)
	s_and_saveexec_b32 s10, s11
	s_cbranch_execz .LBB247_10
; %bb.9:                                ;   in Loop: Header=BB247_2 Depth=1
	s_waitcnt lgkmcnt(0)
	v_bcnt_u32_b32 v0, v0, v46
	ds_store_b32 v48, v0
.LBB247_10:                             ;   in Loop: Header=BB247_2 Depth=1
	s_or_b32 exec_lo, exec_lo, s10
	v_and_b32_e32 v0, 1, v26
	v_lshlrev_b32_e32 v2, 30, v26
	v_lshlrev_b32_e32 v4, 29, v26
	;; [unrolled: 1-line block ×4, first 2 shown]
	v_add_co_u32 v0, s10, v0, -1
	s_delay_alu instid0(VALU_DEP_1)
	v_cndmask_b32_e64 v3, 0, 1, s10
	v_not_b32_e32 v7, v2
	v_cmp_gt_i32_e64 s11, 0, v2
	v_not_b32_e32 v2, v4
	v_and_b32_e32 v1, 0xff, v26
	v_cmp_ne_u32_e64 s10, 0, v3
	v_ashrrev_i32_e32 v7, 31, v7
	v_lshlrev_b32_e32 v3, 26, v26
	v_ashrrev_i32_e32 v2, 31, v2
	v_lshlrev_b32_e32 v1, 1, v1
	v_xor_b32_e32 v0, s10, v0
	v_cmp_gt_i32_e64 s10, 0, v4
	v_not_b32_e32 v4, v5
	v_xor_b32_e32 v7, s11, v7
	v_cmp_gt_i32_e64 s11, 0, v5
	v_and_b32_e32 v0, exec_lo, v0
	v_not_b32_e32 v5, v6
	v_ashrrev_i32_e32 v4, 31, v4
	v_xor_b32_e32 v2, s10, v2
	v_cmp_gt_i32_e64 s10, 0, v6
	v_and_b32_e32 v0, v0, v7
	v_lshlrev_b32_e32 v7, 25, v26
	v_ashrrev_i32_e32 v5, 31, v5
	v_xor_b32_e32 v4, s11, v4
	v_not_b32_e32 v6, v3
	v_and_b32_e32 v0, v0, v2
	v_lshlrev_b32_e32 v2, 24, v26
	v_not_b32_e32 v49, v7
	v_xor_b32_e32 v5, s10, v5
	v_cmp_gt_i32_e64 s10, 0, v3
	v_and_b32_e32 v0, v0, v4
	v_ashrrev_i32_e32 v3, 31, v6
	v_cmp_gt_i32_e64 s11, 0, v7
	v_ashrrev_i32_e32 v4, 31, v49
	v_add_lshl_u32 v1, v20, v1, 2
	v_and_b32_e32 v0, v0, v5
	v_not_b32_e32 v5, v2
	v_xor_b32_e32 v3, s10, v3
	v_xor_b32_e32 v4, s11, v4
	v_cmp_gt_i32_e64 s10, 0, v2
	s_delay_alu instid0(VALU_DEP_4) | instskip(NEXT) | instid1(VALU_DEP_4)
	v_ashrrev_i32_e32 v2, 31, v5
	v_and_b32_e32 v0, v0, v3
	; wave barrier
	ds_load_b32 v49, v1 offset:8
	v_add_nc_u32_e32 v51, 8, v1
	v_xor_b32_e32 v2, s10, v2
	v_and_b32_e32 v0, v0, v4
	; wave barrier
	s_delay_alu instid0(VALU_DEP_1) | instskip(NEXT) | instid1(VALU_DEP_1)
	v_and_b32_e32 v0, v0, v2
	v_mbcnt_lo_u32_b32 v50, v0, 0
	v_cmp_ne_u32_e64 s11, 0, v0
	s_delay_alu instid0(VALU_DEP_2) | instskip(NEXT) | instid1(VALU_DEP_1)
	v_cmp_eq_u32_e64 s10, 0, v50
	s_and_b32 s11, s11, s10
	s_delay_alu instid0(SALU_CYCLE_1)
	s_and_saveexec_b32 s10, s11
	s_cbranch_execz .LBB247_12
; %bb.11:                               ;   in Loop: Header=BB247_2 Depth=1
	s_waitcnt lgkmcnt(0)
	v_bcnt_u32_b32 v0, v0, v49
	ds_store_b32 v51, v0
.LBB247_12:                             ;   in Loop: Header=BB247_2 Depth=1
	s_or_b32 exec_lo, exec_lo, s10
	v_and_b32_e32 v0, 1, v27
	v_lshlrev_b32_e32 v2, 30, v27
	v_lshlrev_b32_e32 v4, 29, v27
	;; [unrolled: 1-line block ×4, first 2 shown]
	v_add_co_u32 v0, s10, v0, -1
	s_delay_alu instid0(VALU_DEP_1)
	v_cndmask_b32_e64 v3, 0, 1, s10
	v_not_b32_e32 v7, v2
	v_cmp_gt_i32_e64 s11, 0, v2
	v_not_b32_e32 v2, v4
	v_and_b32_e32 v1, 0xff, v27
	v_cmp_ne_u32_e64 s10, 0, v3
	v_ashrrev_i32_e32 v7, 31, v7
	v_lshlrev_b32_e32 v3, 26, v27
	v_ashrrev_i32_e32 v2, 31, v2
	v_lshlrev_b32_e32 v1, 1, v1
	v_xor_b32_e32 v0, s10, v0
	v_cmp_gt_i32_e64 s10, 0, v4
	v_not_b32_e32 v4, v5
	v_xor_b32_e32 v7, s11, v7
	v_cmp_gt_i32_e64 s11, 0, v5
	v_and_b32_e32 v0, exec_lo, v0
	v_not_b32_e32 v5, v6
	v_ashrrev_i32_e32 v4, 31, v4
	v_xor_b32_e32 v2, s10, v2
	v_cmp_gt_i32_e64 s10, 0, v6
	v_and_b32_e32 v0, v0, v7
	v_lshlrev_b32_e32 v7, 25, v27
	v_ashrrev_i32_e32 v5, 31, v5
	v_xor_b32_e32 v4, s11, v4
	v_not_b32_e32 v6, v3
	v_and_b32_e32 v0, v0, v2
	v_lshlrev_b32_e32 v2, 24, v27
	v_not_b32_e32 v52, v7
	v_xor_b32_e32 v5, s10, v5
	v_cmp_gt_i32_e64 s10, 0, v3
	v_and_b32_e32 v0, v0, v4
	v_ashrrev_i32_e32 v3, 31, v6
	v_cmp_gt_i32_e64 s11, 0, v7
	v_ashrrev_i32_e32 v4, 31, v52
	v_add_lshl_u32 v1, v20, v1, 2
	v_and_b32_e32 v0, v0, v5
	v_not_b32_e32 v5, v2
	v_xor_b32_e32 v3, s10, v3
	v_xor_b32_e32 v4, s11, v4
	v_cmp_gt_i32_e64 s10, 0, v2
	s_delay_alu instid0(VALU_DEP_4) | instskip(NEXT) | instid1(VALU_DEP_4)
	v_ashrrev_i32_e32 v2, 31, v5
	v_and_b32_e32 v0, v0, v3
	; wave barrier
	ds_load_b32 v52, v1 offset:8
	v_add_nc_u32_e32 v54, 8, v1
	v_xor_b32_e32 v2, s10, v2
	v_and_b32_e32 v0, v0, v4
	; wave barrier
	s_delay_alu instid0(VALU_DEP_1) | instskip(NEXT) | instid1(VALU_DEP_1)
	v_and_b32_e32 v0, v0, v2
	v_mbcnt_lo_u32_b32 v53, v0, 0
	v_cmp_ne_u32_e64 s11, 0, v0
	s_delay_alu instid0(VALU_DEP_2) | instskip(NEXT) | instid1(VALU_DEP_1)
	v_cmp_eq_u32_e64 s10, 0, v53
	s_and_b32 s11, s11, s10
	s_delay_alu instid0(SALU_CYCLE_1)
	s_and_saveexec_b32 s10, s11
	s_cbranch_execz .LBB247_14
; %bb.13:                               ;   in Loop: Header=BB247_2 Depth=1
	s_waitcnt lgkmcnt(0)
	v_bcnt_u32_b32 v0, v0, v52
	ds_store_b32 v54, v0
.LBB247_14:                             ;   in Loop: Header=BB247_2 Depth=1
	s_or_b32 exec_lo, exec_lo, s10
	v_and_b32_e32 v0, 1, v28
	v_lshlrev_b32_e32 v2, 30, v28
	v_lshlrev_b32_e32 v4, 29, v28
	;; [unrolled: 1-line block ×4, first 2 shown]
	v_add_co_u32 v0, s10, v0, -1
	s_delay_alu instid0(VALU_DEP_1)
	v_cndmask_b32_e64 v3, 0, 1, s10
	v_not_b32_e32 v7, v2
	v_cmp_gt_i32_e64 s11, 0, v2
	v_not_b32_e32 v2, v4
	v_and_b32_e32 v1, 0xff, v28
	v_cmp_ne_u32_e64 s10, 0, v3
	v_ashrrev_i32_e32 v7, 31, v7
	v_lshlrev_b32_e32 v3, 26, v28
	v_ashrrev_i32_e32 v2, 31, v2
	v_lshlrev_b32_e32 v1, 1, v1
	v_xor_b32_e32 v0, s10, v0
	v_cmp_gt_i32_e64 s10, 0, v4
	v_not_b32_e32 v4, v5
	v_xor_b32_e32 v7, s11, v7
	v_cmp_gt_i32_e64 s11, 0, v5
	v_and_b32_e32 v0, exec_lo, v0
	v_not_b32_e32 v5, v6
	v_ashrrev_i32_e32 v4, 31, v4
	v_xor_b32_e32 v2, s10, v2
	v_cmp_gt_i32_e64 s10, 0, v6
	v_and_b32_e32 v0, v0, v7
	v_lshlrev_b32_e32 v7, 25, v28
	v_ashrrev_i32_e32 v5, 31, v5
	v_xor_b32_e32 v4, s11, v4
	v_not_b32_e32 v6, v3
	v_and_b32_e32 v0, v0, v2
	v_lshlrev_b32_e32 v2, 24, v28
	v_not_b32_e32 v55, v7
	v_xor_b32_e32 v5, s10, v5
	v_cmp_gt_i32_e64 s10, 0, v3
	v_and_b32_e32 v0, v0, v4
	v_ashrrev_i32_e32 v3, 31, v6
	v_cmp_gt_i32_e64 s11, 0, v7
	v_ashrrev_i32_e32 v4, 31, v55
	v_add_lshl_u32 v1, v20, v1, 2
	v_and_b32_e32 v0, v0, v5
	v_not_b32_e32 v5, v2
	v_xor_b32_e32 v3, s10, v3
	v_xor_b32_e32 v4, s11, v4
	v_cmp_gt_i32_e64 s10, 0, v2
	s_delay_alu instid0(VALU_DEP_4) | instskip(NEXT) | instid1(VALU_DEP_4)
	v_ashrrev_i32_e32 v2, 31, v5
	v_and_b32_e32 v0, v0, v3
	; wave barrier
	ds_load_b32 v55, v1 offset:8
	v_add_nc_u32_e32 v57, 8, v1
	v_xor_b32_e32 v2, s10, v2
	v_and_b32_e32 v0, v0, v4
	; wave barrier
	s_delay_alu instid0(VALU_DEP_1) | instskip(NEXT) | instid1(VALU_DEP_1)
	v_and_b32_e32 v0, v0, v2
	v_mbcnt_lo_u32_b32 v56, v0, 0
	v_cmp_ne_u32_e64 s11, 0, v0
	s_delay_alu instid0(VALU_DEP_2) | instskip(NEXT) | instid1(VALU_DEP_1)
	v_cmp_eq_u32_e64 s10, 0, v56
	s_and_b32 s11, s11, s10
	s_delay_alu instid0(SALU_CYCLE_1)
	s_and_saveexec_b32 s10, s11
	s_cbranch_execz .LBB247_16
; %bb.15:                               ;   in Loop: Header=BB247_2 Depth=1
	s_waitcnt lgkmcnt(0)
	v_bcnt_u32_b32 v0, v0, v55
	ds_store_b32 v57, v0
.LBB247_16:                             ;   in Loop: Header=BB247_2 Depth=1
	s_or_b32 exec_lo, exec_lo, s10
	v_and_b32_e32 v0, 1, v29
	v_lshlrev_b32_e32 v2, 30, v29
	v_lshlrev_b32_e32 v4, 29, v29
	;; [unrolled: 1-line block ×4, first 2 shown]
	v_add_co_u32 v0, s10, v0, -1
	s_delay_alu instid0(VALU_DEP_1)
	v_cndmask_b32_e64 v3, 0, 1, s10
	v_not_b32_e32 v7, v2
	v_cmp_gt_i32_e64 s11, 0, v2
	v_not_b32_e32 v2, v4
	v_and_b32_e32 v1, 0xff, v29
	v_cmp_ne_u32_e64 s10, 0, v3
	v_ashrrev_i32_e32 v7, 31, v7
	v_lshlrev_b32_e32 v3, 26, v29
	v_ashrrev_i32_e32 v2, 31, v2
	v_lshlrev_b32_e32 v1, 1, v1
	v_xor_b32_e32 v0, s10, v0
	v_cmp_gt_i32_e64 s10, 0, v4
	v_not_b32_e32 v4, v5
	v_xor_b32_e32 v7, s11, v7
	v_cmp_gt_i32_e64 s11, 0, v5
	v_and_b32_e32 v0, exec_lo, v0
	v_not_b32_e32 v5, v6
	v_ashrrev_i32_e32 v4, 31, v4
	v_xor_b32_e32 v2, s10, v2
	v_cmp_gt_i32_e64 s10, 0, v6
	v_and_b32_e32 v0, v0, v7
	v_lshlrev_b32_e32 v7, 25, v29
	v_ashrrev_i32_e32 v5, 31, v5
	v_xor_b32_e32 v4, s11, v4
	v_not_b32_e32 v6, v3
	v_and_b32_e32 v0, v0, v2
	v_lshlrev_b32_e32 v2, 24, v29
	v_not_b32_e32 v58, v7
	v_xor_b32_e32 v5, s10, v5
	v_cmp_gt_i32_e64 s10, 0, v3
	v_and_b32_e32 v0, v0, v4
	v_ashrrev_i32_e32 v3, 31, v6
	v_cmp_gt_i32_e64 s11, 0, v7
	v_ashrrev_i32_e32 v4, 31, v58
	v_add_lshl_u32 v1, v20, v1, 2
	v_and_b32_e32 v0, v0, v5
	v_not_b32_e32 v5, v2
	v_xor_b32_e32 v3, s10, v3
	v_xor_b32_e32 v4, s11, v4
	v_cmp_gt_i32_e64 s10, 0, v2
	s_delay_alu instid0(VALU_DEP_4) | instskip(NEXT) | instid1(VALU_DEP_4)
	v_ashrrev_i32_e32 v2, 31, v5
	v_and_b32_e32 v0, v0, v3
	; wave barrier
	ds_load_b32 v58, v1 offset:8
	v_add_nc_u32_e32 v60, 8, v1
	v_xor_b32_e32 v2, s10, v2
	v_and_b32_e32 v0, v0, v4
	; wave barrier
	s_delay_alu instid0(VALU_DEP_1) | instskip(NEXT) | instid1(VALU_DEP_1)
	v_and_b32_e32 v0, v0, v2
	v_mbcnt_lo_u32_b32 v59, v0, 0
	v_cmp_ne_u32_e64 s11, 0, v0
	s_delay_alu instid0(VALU_DEP_2) | instskip(NEXT) | instid1(VALU_DEP_1)
	v_cmp_eq_u32_e64 s10, 0, v59
	s_and_b32 s11, s11, s10
	s_delay_alu instid0(SALU_CYCLE_1)
	s_and_saveexec_b32 s10, s11
	s_cbranch_execz .LBB247_18
; %bb.17:                               ;   in Loop: Header=BB247_2 Depth=1
	s_waitcnt lgkmcnt(0)
	v_bcnt_u32_b32 v0, v0, v58
	ds_store_b32 v60, v0
.LBB247_18:                             ;   in Loop: Header=BB247_2 Depth=1
	s_or_b32 exec_lo, exec_lo, s10
	; wave barrier
	s_waitcnt lgkmcnt(0)
	s_barrier
	buffer_gl0_inv
	ds_load_2addr_b64 v[4:7], v13 offset0:1 offset1:2
	ds_load_2addr_b64 v[0:3], v15 offset0:2 offset1:3
	s_waitcnt lgkmcnt(1)
	v_add_nc_u32_e32 v61, v5, v4
	s_delay_alu instid0(VALU_DEP_1) | instskip(SKIP_1) | instid1(VALU_DEP_1)
	v_add3_u32 v61, v61, v6, v7
	s_waitcnt lgkmcnt(0)
	v_add3_u32 v61, v61, v0, v1
	s_delay_alu instid0(VALU_DEP_1) | instskip(NEXT) | instid1(VALU_DEP_1)
	v_add3_u32 v3, v61, v2, v3
	v_mov_b32_dpp v61, v3 row_shr:1 row_mask:0xf bank_mask:0xf
	s_delay_alu instid0(VALU_DEP_1) | instskip(NEXT) | instid1(VALU_DEP_1)
	v_cndmask_b32_e64 v61, v61, 0, s0
	v_add_nc_u32_e32 v3, v61, v3
	s_delay_alu instid0(VALU_DEP_1) | instskip(NEXT) | instid1(VALU_DEP_1)
	v_mov_b32_dpp v61, v3 row_shr:2 row_mask:0xf bank_mask:0xf
	v_cndmask_b32_e64 v61, 0, v61, s1
	s_delay_alu instid0(VALU_DEP_1) | instskip(NEXT) | instid1(VALU_DEP_1)
	v_add_nc_u32_e32 v3, v3, v61
	v_mov_b32_dpp v61, v3 row_shr:4 row_mask:0xf bank_mask:0xf
	s_delay_alu instid0(VALU_DEP_1) | instskip(NEXT) | instid1(VALU_DEP_1)
	v_cndmask_b32_e64 v61, 0, v61, s2
	v_add_nc_u32_e32 v3, v3, v61
	s_delay_alu instid0(VALU_DEP_1) | instskip(NEXT) | instid1(VALU_DEP_1)
	v_mov_b32_dpp v61, v3 row_shr:8 row_mask:0xf bank_mask:0xf
	v_cndmask_b32_e64 v61, 0, v61, s3
	s_delay_alu instid0(VALU_DEP_1) | instskip(SKIP_3) | instid1(VALU_DEP_1)
	v_add_nc_u32_e32 v3, v3, v61
	ds_swizzle_b32 v61, v3 offset:swizzle(BROADCAST,32,15)
	s_waitcnt lgkmcnt(0)
	v_cndmask_b32_e64 v61, v61, 0, s4
	v_add_nc_u32_e32 v3, v3, v61
	s_and_saveexec_b32 s10, s9
	s_cbranch_execz .LBB247_20
; %bb.19:                               ;   in Loop: Header=BB247_2 Depth=1
	ds_store_b32 v17, v3
.LBB247_20:                             ;   in Loop: Header=BB247_2 Depth=1
	s_or_b32 exec_lo, exec_lo, s10
	s_waitcnt lgkmcnt(0)
	s_barrier
	buffer_gl0_inv
	s_and_saveexec_b32 s10, s5
	s_cbranch_execz .LBB247_22
; %bb.21:                               ;   in Loop: Header=BB247_2 Depth=1
	ds_load_b32 v61, v21
	s_waitcnt lgkmcnt(0)
	v_mov_b32_dpp v62, v61 row_shr:1 row_mask:0xf bank_mask:0xf
	s_delay_alu instid0(VALU_DEP_1) | instskip(NEXT) | instid1(VALU_DEP_1)
	v_cndmask_b32_e64 v62, v62, 0, s8
	v_add_nc_u32_e32 v61, v62, v61
	ds_store_b32 v21, v61
.LBB247_22:                             ;   in Loop: Header=BB247_2 Depth=1
	s_or_b32 exec_lo, exec_lo, s10
	v_mov_b32_e32 v61, 0
	s_waitcnt lgkmcnt(0)
	s_barrier
	buffer_gl0_inv
	s_and_saveexec_b32 s10, s6
	s_cbranch_execz .LBB247_1
; %bb.23:                               ;   in Loop: Header=BB247_2 Depth=1
	ds_load_b32 v61, v19
	s_branch .LBB247_1
.LBB247_24:
	v_add_nc_u16 v0, v27, v25
	v_add_nc_u16 v1, v28, v5
	;; [unrolled: 1-line block ×3, first 2 shown]
	s_add_u32 s0, s18, s12
	v_add_nc_u16 v3, v30, v6
	s_addc_u32 s1, s19, 0
	v_add_nc_u16 v5, v31, v23
	v_add_nc_u16 v6, v32, v7
	;; [unrolled: 1-line block ×4, first 2 shown]
	s_clause 0x7
	global_store_b8 v8, v0, s[0:1]
	global_store_b8 v8, v1, s[0:1] offset:64
	global_store_b8 v8, v2, s[0:1] offset:128
	;; [unrolled: 1-line block ×7, first 2 shown]
	s_nop 0
	s_sendmsg sendmsg(MSG_DEALLOC_VGPRS)
	s_endpgm
	.section	.rodata,"a",@progbits
	.p2align	6, 0x0
	.amdhsa_kernel _Z17sort_pairs_kernelI22helper_blocked_stripedaLj64ELj8ELj10EEvPKT0_PS1_
		.amdhsa_group_segment_fixed_size 2064
		.amdhsa_private_segment_fixed_size 0
		.amdhsa_kernarg_size 272
		.amdhsa_user_sgpr_count 15
		.amdhsa_user_sgpr_dispatch_ptr 0
		.amdhsa_user_sgpr_queue_ptr 0
		.amdhsa_user_sgpr_kernarg_segment_ptr 1
		.amdhsa_user_sgpr_dispatch_id 0
		.amdhsa_user_sgpr_private_segment_size 0
		.amdhsa_wavefront_size32 1
		.amdhsa_uses_dynamic_stack 0
		.amdhsa_enable_private_segment 0
		.amdhsa_system_sgpr_workgroup_id_x 1
		.amdhsa_system_sgpr_workgroup_id_y 0
		.amdhsa_system_sgpr_workgroup_id_z 0
		.amdhsa_system_sgpr_workgroup_info 0
		.amdhsa_system_vgpr_workitem_id 2
		.amdhsa_next_free_vgpr 63
		.amdhsa_next_free_sgpr 20
		.amdhsa_reserve_vcc 1
		.amdhsa_float_round_mode_32 0
		.amdhsa_float_round_mode_16_64 0
		.amdhsa_float_denorm_mode_32 3
		.amdhsa_float_denorm_mode_16_64 3
		.amdhsa_dx10_clamp 1
		.amdhsa_ieee_mode 1
		.amdhsa_fp16_overflow 0
		.amdhsa_workgroup_processor_mode 1
		.amdhsa_memory_ordered 1
		.amdhsa_forward_progress 0
		.amdhsa_shared_vgpr_count 0
		.amdhsa_exception_fp_ieee_invalid_op 0
		.amdhsa_exception_fp_denorm_src 0
		.amdhsa_exception_fp_ieee_div_zero 0
		.amdhsa_exception_fp_ieee_overflow 0
		.amdhsa_exception_fp_ieee_underflow 0
		.amdhsa_exception_fp_ieee_inexact 0
		.amdhsa_exception_int_div_zero 0
	.end_amdhsa_kernel
	.section	.text._Z17sort_pairs_kernelI22helper_blocked_stripedaLj64ELj8ELj10EEvPKT0_PS1_,"axG",@progbits,_Z17sort_pairs_kernelI22helper_blocked_stripedaLj64ELj8ELj10EEvPKT0_PS1_,comdat
.Lfunc_end247:
	.size	_Z17sort_pairs_kernelI22helper_blocked_stripedaLj64ELj8ELj10EEvPKT0_PS1_, .Lfunc_end247-_Z17sort_pairs_kernelI22helper_blocked_stripedaLj64ELj8ELj10EEvPKT0_PS1_
                                        ; -- End function
	.section	.AMDGPU.csdata,"",@progbits
; Kernel info:
; codeLenInByte = 5080
; NumSgprs: 22
; NumVgprs: 63
; ScratchSize: 0
; MemoryBound: 0
; FloatMode: 240
; IeeeMode: 1
; LDSByteSize: 2064 bytes/workgroup (compile time only)
; SGPRBlocks: 2
; VGPRBlocks: 7
; NumSGPRsForWavesPerEU: 22
; NumVGPRsForWavesPerEU: 63
; Occupancy: 16
; WaveLimiterHint : 0
; COMPUTE_PGM_RSRC2:SCRATCH_EN: 0
; COMPUTE_PGM_RSRC2:USER_SGPR: 15
; COMPUTE_PGM_RSRC2:TRAP_HANDLER: 0
; COMPUTE_PGM_RSRC2:TGID_X_EN: 1
; COMPUTE_PGM_RSRC2:TGID_Y_EN: 0
; COMPUTE_PGM_RSRC2:TGID_Z_EN: 0
; COMPUTE_PGM_RSRC2:TIDIG_COMP_CNT: 2
	.section	.text._Z16sort_keys_kernelI22helper_blocked_stripedaLj128ELj1ELj10EEvPKT0_PS1_,"axG",@progbits,_Z16sort_keys_kernelI22helper_blocked_stripedaLj128ELj1ELj10EEvPKT0_PS1_,comdat
	.protected	_Z16sort_keys_kernelI22helper_blocked_stripedaLj128ELj1ELj10EEvPKT0_PS1_ ; -- Begin function _Z16sort_keys_kernelI22helper_blocked_stripedaLj128ELj1ELj10EEvPKT0_PS1_
	.globl	_Z16sort_keys_kernelI22helper_blocked_stripedaLj128ELj1ELj10EEvPKT0_PS1_
	.p2align	8
	.type	_Z16sort_keys_kernelI22helper_blocked_stripedaLj128ELj1ELj10EEvPKT0_PS1_,@function
_Z16sort_keys_kernelI22helper_blocked_stripedaLj128ELj1ELj10EEvPKT0_PS1_: ; @_Z16sort_keys_kernelI22helper_blocked_stripedaLj128ELj1ELj10EEvPKT0_PS1_
; %bb.0:
	s_clause 0x1
	s_load_b128 s[16:19], s[0:1], 0x0
	s_load_b32 s8, s[0:1], 0x1c
	s_lshl_b32 s14, s15, 7
	v_and_b32_e32 v8, 0x3ff, v0
	v_mbcnt_lo_u32_b32 v1, -1, 0
	v_bfe_u32 v3, v0, 10, 10
	v_bfe_u32 v0, v0, 20, 10
	s_mov_b32 s15, 10
	s_delay_alu instid0(VALU_DEP_3)
	v_add_nc_u32_e32 v6, -1, v1
	v_and_b32_e32 v4, 15, v1
	v_cmp_eq_u32_e32 vcc_lo, 0, v1
	v_and_b32_e32 v7, 3, v1
	v_and_b32_e32 v5, 16, v1
	v_cmp_gt_i32_e64 s7, 0, v6
	s_delay_alu instid0(VALU_DEP_2) | instskip(NEXT) | instid1(VALU_DEP_2)
	v_cmp_eq_u32_e64 s4, 0, v5
	v_cndmask_b32_e64 v5, v6, v1, s7
	s_waitcnt lgkmcnt(0)
	s_add_u32 s0, s16, s14
	s_addc_u32 s1, s17, 0
	s_lshr_b32 s9, s8, 16
	global_load_u8 v2, v8, s[0:1]
	s_mov_b32 s0, 0
	v_mad_u32_u24 v3, v0, s9, v3
	s_mov_b32 s3, s0
	s_mov_b32 s1, s0
	;; [unrolled: 1-line block ×3, first 2 shown]
	v_mov_b32_e32 v12, s3
	v_dual_mov_b32 v10, s1 :: v_dual_mov_b32 v11, s2
	v_mov_b32_e32 v9, s0
	v_lshrrev_b32_e32 v6, 3, v8
	s_and_b32 s8, s8, 0xffff
	v_lshlrev_b32_e32 v13, 5, v8
	v_cmp_eq_u32_e64 s0, 0, v4
	v_mad_u64_u32 v[0:1], null, v3, s8, v[8:9]
	v_cmp_lt_u32_e64 s1, 1, v4
	v_cmp_lt_u32_e64 s2, 3, v4
	;; [unrolled: 1-line block ×3, first 2 shown]
	v_or_b32_e32 v4, 31, v8
	v_mul_u32_u24_e32 v19, 3, v8
	v_and_b32_e32 v14, 12, v6
	v_cmp_gt_u32_e64 s5, 4, v8
	v_cmp_lt_u32_e64 s6, 31, v8
	v_cmp_eq_u32_e64 s7, 0, v8
	v_cmp_eq_u32_e64 s8, 0, v7
	v_cmp_lt_u32_e64 s9, 1, v7
	v_or_b32_e32 v15, 16, v13
	v_cmp_eq_u32_e64 s10, v4, v8
	v_lshlrev_b32_e32 v16, 2, v5
	v_add_nc_u32_e32 v17, -4, v14
	v_lshrrev_b32_e32 v18, 5, v0
	v_add_nc_u32_e32 v19, v8, v19
	s_waitcnt vmcnt(0)
	v_xor_b32_e32 v20, 0xffffff80, v2
	s_branch .LBB248_2
.LBB248_1:                              ;   in Loop: Header=BB248_2 Depth=1
	s_or_b32 exec_lo, exec_lo, s11
	s_waitcnt lgkmcnt(0)
	v_add_nc_u32_e32 v3, v23, v3
	s_add_i32 s15, s15, -1
	s_delay_alu instid0(SALU_CYCLE_1) | instskip(SKIP_3) | instid1(VALU_DEP_1)
	s_cmp_eq_u32 s15, 0
	ds_bpermute_b32 v3, v16, v3
	s_waitcnt lgkmcnt(0)
	v_cndmask_b32_e32 v3, v3, v23, vcc_lo
	v_cndmask_b32_e64 v3, v3, 0, s7
	s_delay_alu instid0(VALU_DEP_1) | instskip(NEXT) | instid1(VALU_DEP_1)
	v_add_nc_u32_e32 v4, v3, v4
	v_add_nc_u32_e32 v5, v4, v5
	s_delay_alu instid0(VALU_DEP_1) | instskip(NEXT) | instid1(VALU_DEP_1)
	v_add_nc_u32_e32 v6, v5, v6
	v_add_nc_u32_e32 v23, v6, v7
	;; [unrolled: 3-line block ×3, first 2 shown]
	s_delay_alu instid0(VALU_DEP_1)
	v_add_nc_u32_e32 v1, v0, v2
	ds_store_2addr_b64 v13, v[3:4], v[5:6] offset0:2 offset1:3
	ds_store_2addr_b64 v15, v[23:24], v[0:1] offset0:2 offset1:3
	s_waitcnt lgkmcnt(0)
	s_barrier
	buffer_gl0_inv
	ds_load_b32 v0, v22
	s_waitcnt lgkmcnt(0)
	s_barrier
	buffer_gl0_inv
	v_add_nc_u32_e32 v0, v0, v21
	ds_store_b8 v0, v20
	s_waitcnt lgkmcnt(0)
	s_barrier
	buffer_gl0_inv
	ds_load_u8 v20, v8
	s_cbranch_scc1 .LBB248_10
.LBB248_2:                              ; =>This Inner Loop Header: Depth=1
	s_waitcnt lgkmcnt(0)
	s_delay_alu instid0(VALU_DEP_1)
	v_and_b32_e32 v0, 1, v20
	v_lshlrev_b32_e32 v1, 30, v20
	v_lshlrev_b32_e32 v2, 29, v20
	;; [unrolled: 1-line block ×4, first 2 shown]
	v_add_co_u32 v0, s11, v0, -1
	s_delay_alu instid0(VALU_DEP_1)
	v_cndmask_b32_e64 v3, 0, 1, s11
	v_not_b32_e32 v7, v1
	v_cmp_gt_i32_e64 s12, 0, v1
	v_not_b32_e32 v1, v2
	v_lshlrev_b32_e32 v6, 26, v20
	v_cmp_ne_u32_e64 s11, 0, v3
	v_ashrrev_i32_e32 v7, 31, v7
	v_lshlrev_b32_e32 v3, 25, v20
	v_ashrrev_i32_e32 v1, 31, v1
	v_cmp_gt_i32_e64 s13, 0, v5
	v_xor_b32_e32 v0, s11, v0
	v_cmp_gt_i32_e64 s11, 0, v2
	v_not_b32_e32 v2, v4
	v_xor_b32_e32 v7, s12, v7
	v_cmp_gt_i32_e64 s12, 0, v4
	v_and_b32_e32 v0, exec_lo, v0
	v_xor_b32_e32 v1, s11, v1
	v_ashrrev_i32_e32 v2, 31, v2
	v_not_b32_e32 v4, v5
	v_not_b32_e32 v5, v6
	v_and_b32_e32 v0, v0, v7
	v_cmp_gt_i32_e64 s11, 0, v6
	v_xor_b32_e32 v2, s12, v2
	v_not_b32_e32 v6, v3
	ds_store_2addr_b64 v13, v[9:10], v[11:12] offset0:2 offset1:3
	ds_store_2addr_b64 v15, v[9:10], v[11:12] offset0:2 offset1:3
	v_and_b32_e32 v0, v0, v1
	v_ashrrev_i32_e32 v1, 31, v4
	v_ashrrev_i32_e32 v4, 31, v5
	v_lshlrev_b32_e32 v5, 24, v20
	s_waitcnt lgkmcnt(0)
	v_and_b32_e32 v0, v0, v2
	v_xor_b32_e32 v1, s13, v1
	v_xor_b32_e32 v2, s11, v4
	v_cmp_gt_i32_e64 s11, 0, v3
	v_not_b32_e32 v3, v5
	v_ashrrev_i32_e32 v4, 31, v6
	v_and_b32_e32 v0, v0, v1
	v_cmp_gt_i32_e64 s12, 0, v5
	s_barrier
	v_ashrrev_i32_e32 v1, 31, v3
	v_xor_b32_e32 v3, s11, v4
	v_and_b32_e32 v0, v0, v2
	buffer_gl0_inv
	v_xor_b32_e32 v1, s12, v1
	; wave barrier
	v_and_b32_e32 v0, v0, v3
	s_delay_alu instid0(VALU_DEP_1) | instskip(SKIP_1) | instid1(VALU_DEP_2)
	v_and_b32_e32 v0, v0, v1
	v_and_b32_e32 v1, 0xff, v20
	v_mbcnt_lo_u32_b32 v21, v0, 0
	s_delay_alu instid0(VALU_DEP_2) | instskip(SKIP_1) | instid1(VALU_DEP_3)
	v_lshl_add_u32 v1, v1, 2, v18
	v_cmp_ne_u32_e64 s12, 0, v0
	v_cmp_eq_u32_e64 s11, 0, v21
	s_delay_alu instid0(VALU_DEP_3) | instskip(NEXT) | instid1(VALU_DEP_2)
	v_lshl_add_u32 v22, v1, 2, 16
	s_and_b32 s12, s12, s11
	s_delay_alu instid0(SALU_CYCLE_1)
	s_and_saveexec_b32 s11, s12
	s_cbranch_execz .LBB248_4
; %bb.3:                                ;   in Loop: Header=BB248_2 Depth=1
	v_bcnt_u32_b32 v0, v0, 0
	ds_store_b32 v22, v0
.LBB248_4:                              ;   in Loop: Header=BB248_2 Depth=1
	s_or_b32 exec_lo, exec_lo, s11
	; wave barrier
	s_waitcnt lgkmcnt(0)
	s_barrier
	buffer_gl0_inv
	ds_load_2addr_b64 v[4:7], v13 offset0:2 offset1:3
	ds_load_2addr_b64 v[0:3], v15 offset0:2 offset1:3
	s_waitcnt lgkmcnt(1)
	v_add_nc_u32_e32 v23, v5, v4
	s_delay_alu instid0(VALU_DEP_1) | instskip(SKIP_1) | instid1(VALU_DEP_1)
	v_add3_u32 v23, v23, v6, v7
	s_waitcnt lgkmcnt(0)
	v_add3_u32 v23, v23, v0, v1
	s_delay_alu instid0(VALU_DEP_1) | instskip(NEXT) | instid1(VALU_DEP_1)
	v_add3_u32 v3, v23, v2, v3
	v_mov_b32_dpp v23, v3 row_shr:1 row_mask:0xf bank_mask:0xf
	s_delay_alu instid0(VALU_DEP_1) | instskip(NEXT) | instid1(VALU_DEP_1)
	v_cndmask_b32_e64 v23, v23, 0, s0
	v_add_nc_u32_e32 v3, v23, v3
	s_delay_alu instid0(VALU_DEP_1) | instskip(NEXT) | instid1(VALU_DEP_1)
	v_mov_b32_dpp v23, v3 row_shr:2 row_mask:0xf bank_mask:0xf
	v_cndmask_b32_e64 v23, 0, v23, s1
	s_delay_alu instid0(VALU_DEP_1) | instskip(NEXT) | instid1(VALU_DEP_1)
	v_add_nc_u32_e32 v3, v3, v23
	v_mov_b32_dpp v23, v3 row_shr:4 row_mask:0xf bank_mask:0xf
	s_delay_alu instid0(VALU_DEP_1) | instskip(NEXT) | instid1(VALU_DEP_1)
	v_cndmask_b32_e64 v23, 0, v23, s2
	v_add_nc_u32_e32 v3, v3, v23
	s_delay_alu instid0(VALU_DEP_1) | instskip(NEXT) | instid1(VALU_DEP_1)
	v_mov_b32_dpp v23, v3 row_shr:8 row_mask:0xf bank_mask:0xf
	v_cndmask_b32_e64 v23, 0, v23, s3
	s_delay_alu instid0(VALU_DEP_1) | instskip(SKIP_3) | instid1(VALU_DEP_1)
	v_add_nc_u32_e32 v3, v3, v23
	ds_swizzle_b32 v23, v3 offset:swizzle(BROADCAST,32,15)
	s_waitcnt lgkmcnt(0)
	v_cndmask_b32_e64 v23, v23, 0, s4
	v_add_nc_u32_e32 v3, v3, v23
	s_and_saveexec_b32 s11, s10
	s_cbranch_execz .LBB248_6
; %bb.5:                                ;   in Loop: Header=BB248_2 Depth=1
	ds_store_b32 v14, v3
.LBB248_6:                              ;   in Loop: Header=BB248_2 Depth=1
	s_or_b32 exec_lo, exec_lo, s11
	s_waitcnt lgkmcnt(0)
	s_barrier
	buffer_gl0_inv
	s_and_saveexec_b32 s11, s5
	s_cbranch_execz .LBB248_8
; %bb.7:                                ;   in Loop: Header=BB248_2 Depth=1
	ds_load_b32 v23, v19
	s_waitcnt lgkmcnt(0)
	v_mov_b32_dpp v24, v23 row_shr:1 row_mask:0xf bank_mask:0xf
	s_delay_alu instid0(VALU_DEP_1) | instskip(NEXT) | instid1(VALU_DEP_1)
	v_cndmask_b32_e64 v24, v24, 0, s8
	v_add_nc_u32_e32 v23, v24, v23
	s_delay_alu instid0(VALU_DEP_1) | instskip(NEXT) | instid1(VALU_DEP_1)
	v_mov_b32_dpp v24, v23 row_shr:2 row_mask:0xf bank_mask:0xf
	v_cndmask_b32_e64 v24, 0, v24, s9
	s_delay_alu instid0(VALU_DEP_1)
	v_add_nc_u32_e32 v23, v23, v24
	ds_store_b32 v19, v23
.LBB248_8:                              ;   in Loop: Header=BB248_2 Depth=1
	s_or_b32 exec_lo, exec_lo, s11
	v_mov_b32_e32 v23, 0
	s_waitcnt lgkmcnt(0)
	s_barrier
	buffer_gl0_inv
	s_and_saveexec_b32 s11, s6
	s_cbranch_execz .LBB248_1
; %bb.9:                                ;   in Loop: Header=BB248_2 Depth=1
	ds_load_b32 v23, v17
	s_branch .LBB248_1
.LBB248_10:
	s_add_u32 s0, s18, s14
	s_addc_u32 s1, s19, 0
	v_add_co_u32 v0, s0, s0, v8
	s_waitcnt lgkmcnt(0)
	v_xor_b32_e32 v2, 0x80, v20
	v_add_co_ci_u32_e64 v1, null, s1, 0, s0
	global_store_b8 v[0:1], v2, off
	s_nop 0
	s_sendmsg sendmsg(MSG_DEALLOC_VGPRS)
	s_endpgm
	.section	.rodata,"a",@progbits
	.p2align	6, 0x0
	.amdhsa_kernel _Z16sort_keys_kernelI22helper_blocked_stripedaLj128ELj1ELj10EEvPKT0_PS1_
		.amdhsa_group_segment_fixed_size 4112
		.amdhsa_private_segment_fixed_size 0
		.amdhsa_kernarg_size 272
		.amdhsa_user_sgpr_count 15
		.amdhsa_user_sgpr_dispatch_ptr 0
		.amdhsa_user_sgpr_queue_ptr 0
		.amdhsa_user_sgpr_kernarg_segment_ptr 1
		.amdhsa_user_sgpr_dispatch_id 0
		.amdhsa_user_sgpr_private_segment_size 0
		.amdhsa_wavefront_size32 1
		.amdhsa_uses_dynamic_stack 0
		.amdhsa_enable_private_segment 0
		.amdhsa_system_sgpr_workgroup_id_x 1
		.amdhsa_system_sgpr_workgroup_id_y 0
		.amdhsa_system_sgpr_workgroup_id_z 0
		.amdhsa_system_sgpr_workgroup_info 0
		.amdhsa_system_vgpr_workitem_id 2
		.amdhsa_next_free_vgpr 25
		.amdhsa_next_free_sgpr 20
		.amdhsa_reserve_vcc 1
		.amdhsa_float_round_mode_32 0
		.amdhsa_float_round_mode_16_64 0
		.amdhsa_float_denorm_mode_32 3
		.amdhsa_float_denorm_mode_16_64 3
		.amdhsa_dx10_clamp 1
		.amdhsa_ieee_mode 1
		.amdhsa_fp16_overflow 0
		.amdhsa_workgroup_processor_mode 1
		.amdhsa_memory_ordered 1
		.amdhsa_forward_progress 0
		.amdhsa_shared_vgpr_count 0
		.amdhsa_exception_fp_ieee_invalid_op 0
		.amdhsa_exception_fp_denorm_src 0
		.amdhsa_exception_fp_ieee_div_zero 0
		.amdhsa_exception_fp_ieee_overflow 0
		.amdhsa_exception_fp_ieee_underflow 0
		.amdhsa_exception_fp_ieee_inexact 0
		.amdhsa_exception_int_div_zero 0
	.end_amdhsa_kernel
	.section	.text._Z16sort_keys_kernelI22helper_blocked_stripedaLj128ELj1ELj10EEvPKT0_PS1_,"axG",@progbits,_Z16sort_keys_kernelI22helper_blocked_stripedaLj128ELj1ELj10EEvPKT0_PS1_,comdat
.Lfunc_end248:
	.size	_Z16sort_keys_kernelI22helper_blocked_stripedaLj128ELj1ELj10EEvPKT0_PS1_, .Lfunc_end248-_Z16sort_keys_kernelI22helper_blocked_stripedaLj128ELj1ELj10EEvPKT0_PS1_
                                        ; -- End function
	.section	.AMDGPU.csdata,"",@progbits
; Kernel info:
; codeLenInByte = 1308
; NumSgprs: 22
; NumVgprs: 25
; ScratchSize: 0
; MemoryBound: 0
; FloatMode: 240
; IeeeMode: 1
; LDSByteSize: 4112 bytes/workgroup (compile time only)
; SGPRBlocks: 2
; VGPRBlocks: 3
; NumSGPRsForWavesPerEU: 22
; NumVGPRsForWavesPerEU: 25
; Occupancy: 16
; WaveLimiterHint : 0
; COMPUTE_PGM_RSRC2:SCRATCH_EN: 0
; COMPUTE_PGM_RSRC2:USER_SGPR: 15
; COMPUTE_PGM_RSRC2:TRAP_HANDLER: 0
; COMPUTE_PGM_RSRC2:TGID_X_EN: 1
; COMPUTE_PGM_RSRC2:TGID_Y_EN: 0
; COMPUTE_PGM_RSRC2:TGID_Z_EN: 0
; COMPUTE_PGM_RSRC2:TIDIG_COMP_CNT: 2
	.section	.text._Z17sort_pairs_kernelI22helper_blocked_stripedaLj128ELj1ELj10EEvPKT0_PS1_,"axG",@progbits,_Z17sort_pairs_kernelI22helper_blocked_stripedaLj128ELj1ELj10EEvPKT0_PS1_,comdat
	.protected	_Z17sort_pairs_kernelI22helper_blocked_stripedaLj128ELj1ELj10EEvPKT0_PS1_ ; -- Begin function _Z17sort_pairs_kernelI22helper_blocked_stripedaLj128ELj1ELj10EEvPKT0_PS1_
	.globl	_Z17sort_pairs_kernelI22helper_blocked_stripedaLj128ELj1ELj10EEvPKT0_PS1_
	.p2align	8
	.type	_Z17sort_pairs_kernelI22helper_blocked_stripedaLj128ELj1ELj10EEvPKT0_PS1_,@function
_Z17sort_pairs_kernelI22helper_blocked_stripedaLj128ELj1ELj10EEvPKT0_PS1_: ; @_Z17sort_pairs_kernelI22helper_blocked_stripedaLj128ELj1ELj10EEvPKT0_PS1_
; %bb.0:
	s_clause 0x1
	s_load_b128 s[16:19], s[0:1], 0x0
	s_load_b32 s8, s[0:1], 0x1c
	s_lshl_b32 s14, s15, 7
	v_and_b32_e32 v8, 0x3ff, v0
	v_mbcnt_lo_u32_b32 v1, -1, 0
	v_bfe_u32 v3, v0, 10, 10
	v_bfe_u32 v0, v0, 20, 10
	s_mov_b32 s15, 10
	s_delay_alu instid0(VALU_DEP_3)
	v_add_nc_u32_e32 v6, -1, v1
	v_and_b32_e32 v4, 15, v1
	v_cmp_eq_u32_e32 vcc_lo, 0, v1
	v_and_b32_e32 v7, 3, v1
	v_and_b32_e32 v5, 16, v1
	v_cmp_gt_i32_e64 s7, 0, v6
	s_delay_alu instid0(VALU_DEP_2) | instskip(NEXT) | instid1(VALU_DEP_2)
	v_cmp_eq_u32_e64 s4, 0, v5
	v_cndmask_b32_e64 v5, v6, v1, s7
	s_waitcnt lgkmcnt(0)
	s_add_u32 s0, s16, s14
	s_addc_u32 s1, s17, 0
	s_lshr_b32 s9, s8, 16
	global_load_u8 v2, v8, s[0:1]
	s_mov_b32 s0, 0
	v_mad_u32_u24 v3, v0, s9, v3
	s_mov_b32 s3, s0
	s_mov_b32 s1, s0
	;; [unrolled: 1-line block ×3, first 2 shown]
	v_mov_b32_e32 v12, s3
	v_dual_mov_b32 v10, s1 :: v_dual_mov_b32 v11, s2
	v_mov_b32_e32 v9, s0
	v_lshrrev_b32_e32 v6, 3, v8
	s_and_b32 s8, s8, 0xffff
	v_lshlrev_b32_e32 v13, 5, v8
	v_cmp_eq_u32_e64 s0, 0, v4
	v_mad_u64_u32 v[0:1], null, v3, s8, v[8:9]
	v_cmp_lt_u32_e64 s1, 1, v4
	v_cmp_lt_u32_e64 s2, 3, v4
	;; [unrolled: 1-line block ×3, first 2 shown]
	v_or_b32_e32 v4, 31, v8
	v_mul_u32_u24_e32 v19, 3, v8
	v_and_b32_e32 v14, 12, v6
	v_cmp_gt_u32_e64 s5, 4, v8
	v_cmp_lt_u32_e64 s6, 31, v8
	v_cmp_eq_u32_e64 s7, 0, v8
	v_cmp_eq_u32_e64 s8, 0, v7
	v_cmp_lt_u32_e64 s9, 1, v7
	v_or_b32_e32 v15, 16, v13
	v_cmp_eq_u32_e64 s10, v4, v8
	v_lshlrev_b32_e32 v16, 2, v5
	v_add_nc_u32_e32 v17, -4, v14
	v_lshrrev_b32_e32 v18, 5, v0
	v_add_nc_u32_e32 v19, v8, v19
	s_waitcnt vmcnt(0)
	v_add_nc_u16 v20, v2, 1
	v_xor_b32_e32 v21, 0xffffff80, v2
	s_branch .LBB249_2
.LBB249_1:                              ;   in Loop: Header=BB249_2 Depth=1
	s_or_b32 exec_lo, exec_lo, s11
	s_waitcnt lgkmcnt(0)
	v_add_nc_u32_e32 v3, v24, v3
	s_add_i32 s15, s15, -1
	s_delay_alu instid0(SALU_CYCLE_1) | instskip(SKIP_3) | instid1(VALU_DEP_1)
	s_cmp_lg_u32 s15, 0
	ds_bpermute_b32 v3, v16, v3
	s_waitcnt lgkmcnt(0)
	v_cndmask_b32_e32 v3, v3, v24, vcc_lo
	v_cndmask_b32_e64 v3, v3, 0, s7
	s_delay_alu instid0(VALU_DEP_1) | instskip(NEXT) | instid1(VALU_DEP_1)
	v_add_nc_u32_e32 v4, v3, v4
	v_add_nc_u32_e32 v5, v4, v5
	s_delay_alu instid0(VALU_DEP_1) | instskip(NEXT) | instid1(VALU_DEP_1)
	v_add_nc_u32_e32 v6, v5, v6
	v_add_nc_u32_e32 v24, v6, v7
	;; [unrolled: 3-line block ×3, first 2 shown]
	s_delay_alu instid0(VALU_DEP_1)
	v_add_nc_u32_e32 v1, v0, v2
	ds_store_2addr_b64 v13, v[3:4], v[5:6] offset0:2 offset1:3
	ds_store_2addr_b64 v15, v[24:25], v[0:1] offset0:2 offset1:3
	s_waitcnt lgkmcnt(0)
	s_barrier
	buffer_gl0_inv
	ds_load_b32 v0, v23
	s_waitcnt lgkmcnt(0)
	s_barrier
	buffer_gl0_inv
	v_add_nc_u32_e32 v0, v0, v22
	ds_store_b8 v0, v21
	s_waitcnt lgkmcnt(0)
	s_barrier
	buffer_gl0_inv
	ds_load_u8 v21, v8
	s_waitcnt lgkmcnt(0)
	s_barrier
	buffer_gl0_inv
	ds_store_b8 v0, v20
	s_waitcnt lgkmcnt(0)
	s_barrier
	buffer_gl0_inv
	ds_load_u8 v20, v8
	s_cbranch_scc0 .LBB249_10
.LBB249_2:                              ; =>This Inner Loop Header: Depth=1
	s_delay_alu instid0(VALU_DEP_1)
	v_and_b32_e32 v0, 1, v21
	v_lshlrev_b32_e32 v1, 30, v21
	v_lshlrev_b32_e32 v2, 29, v21
	;; [unrolled: 1-line block ×4, first 2 shown]
	v_add_co_u32 v0, s11, v0, -1
	s_delay_alu instid0(VALU_DEP_1)
	v_cndmask_b32_e64 v3, 0, 1, s11
	v_not_b32_e32 v7, v1
	v_cmp_gt_i32_e64 s12, 0, v1
	v_not_b32_e32 v1, v2
	v_lshlrev_b32_e32 v6, 26, v21
	v_cmp_ne_u32_e64 s11, 0, v3
	v_ashrrev_i32_e32 v7, 31, v7
	v_lshlrev_b32_e32 v3, 25, v21
	v_ashrrev_i32_e32 v1, 31, v1
	v_cmp_gt_i32_e64 s13, 0, v5
	v_xor_b32_e32 v0, s11, v0
	v_cmp_gt_i32_e64 s11, 0, v2
	v_not_b32_e32 v2, v4
	v_xor_b32_e32 v7, s12, v7
	v_cmp_gt_i32_e64 s12, 0, v4
	v_and_b32_e32 v0, exec_lo, v0
	v_xor_b32_e32 v1, s11, v1
	v_ashrrev_i32_e32 v2, 31, v2
	v_not_b32_e32 v4, v5
	v_not_b32_e32 v5, v6
	v_and_b32_e32 v0, v0, v7
	v_cmp_gt_i32_e64 s11, 0, v6
	v_xor_b32_e32 v2, s12, v2
	v_not_b32_e32 v6, v3
	ds_store_2addr_b64 v13, v[9:10], v[11:12] offset0:2 offset1:3
	ds_store_2addr_b64 v15, v[9:10], v[11:12] offset0:2 offset1:3
	v_and_b32_e32 v0, v0, v1
	v_ashrrev_i32_e32 v1, 31, v4
	v_ashrrev_i32_e32 v4, 31, v5
	v_lshlrev_b32_e32 v5, 24, v21
	s_waitcnt lgkmcnt(0)
	v_and_b32_e32 v0, v0, v2
	v_xor_b32_e32 v1, s13, v1
	v_xor_b32_e32 v2, s11, v4
	v_cmp_gt_i32_e64 s11, 0, v3
	v_not_b32_e32 v3, v5
	v_ashrrev_i32_e32 v4, 31, v6
	v_and_b32_e32 v0, v0, v1
	v_cmp_gt_i32_e64 s12, 0, v5
	s_barrier
	v_ashrrev_i32_e32 v1, 31, v3
	v_xor_b32_e32 v3, s11, v4
	v_and_b32_e32 v0, v0, v2
	buffer_gl0_inv
	v_xor_b32_e32 v1, s12, v1
	; wave barrier
	v_and_b32_e32 v0, v0, v3
	s_delay_alu instid0(VALU_DEP_1) | instskip(SKIP_1) | instid1(VALU_DEP_2)
	v_and_b32_e32 v0, v0, v1
	v_and_b32_e32 v1, 0xff, v21
	v_mbcnt_lo_u32_b32 v22, v0, 0
	s_delay_alu instid0(VALU_DEP_2) | instskip(SKIP_1) | instid1(VALU_DEP_3)
	v_lshl_add_u32 v1, v1, 2, v18
	v_cmp_ne_u32_e64 s12, 0, v0
	v_cmp_eq_u32_e64 s11, 0, v22
	s_delay_alu instid0(VALU_DEP_3) | instskip(NEXT) | instid1(VALU_DEP_2)
	v_lshl_add_u32 v23, v1, 2, 16
	s_and_b32 s12, s12, s11
	s_delay_alu instid0(SALU_CYCLE_1)
	s_and_saveexec_b32 s11, s12
	s_cbranch_execz .LBB249_4
; %bb.3:                                ;   in Loop: Header=BB249_2 Depth=1
	v_bcnt_u32_b32 v0, v0, 0
	ds_store_b32 v23, v0
.LBB249_4:                              ;   in Loop: Header=BB249_2 Depth=1
	s_or_b32 exec_lo, exec_lo, s11
	; wave barrier
	s_waitcnt lgkmcnt(0)
	s_barrier
	buffer_gl0_inv
	ds_load_2addr_b64 v[4:7], v13 offset0:2 offset1:3
	ds_load_2addr_b64 v[0:3], v15 offset0:2 offset1:3
	s_waitcnt lgkmcnt(1)
	v_add_nc_u32_e32 v24, v5, v4
	s_delay_alu instid0(VALU_DEP_1) | instskip(SKIP_1) | instid1(VALU_DEP_1)
	v_add3_u32 v24, v24, v6, v7
	s_waitcnt lgkmcnt(0)
	v_add3_u32 v24, v24, v0, v1
	s_delay_alu instid0(VALU_DEP_1) | instskip(NEXT) | instid1(VALU_DEP_1)
	v_add3_u32 v3, v24, v2, v3
	v_mov_b32_dpp v24, v3 row_shr:1 row_mask:0xf bank_mask:0xf
	s_delay_alu instid0(VALU_DEP_1) | instskip(NEXT) | instid1(VALU_DEP_1)
	v_cndmask_b32_e64 v24, v24, 0, s0
	v_add_nc_u32_e32 v3, v24, v3
	s_delay_alu instid0(VALU_DEP_1) | instskip(NEXT) | instid1(VALU_DEP_1)
	v_mov_b32_dpp v24, v3 row_shr:2 row_mask:0xf bank_mask:0xf
	v_cndmask_b32_e64 v24, 0, v24, s1
	s_delay_alu instid0(VALU_DEP_1) | instskip(NEXT) | instid1(VALU_DEP_1)
	v_add_nc_u32_e32 v3, v3, v24
	v_mov_b32_dpp v24, v3 row_shr:4 row_mask:0xf bank_mask:0xf
	s_delay_alu instid0(VALU_DEP_1) | instskip(NEXT) | instid1(VALU_DEP_1)
	v_cndmask_b32_e64 v24, 0, v24, s2
	v_add_nc_u32_e32 v3, v3, v24
	s_delay_alu instid0(VALU_DEP_1) | instskip(NEXT) | instid1(VALU_DEP_1)
	v_mov_b32_dpp v24, v3 row_shr:8 row_mask:0xf bank_mask:0xf
	v_cndmask_b32_e64 v24, 0, v24, s3
	s_delay_alu instid0(VALU_DEP_1) | instskip(SKIP_3) | instid1(VALU_DEP_1)
	v_add_nc_u32_e32 v3, v3, v24
	ds_swizzle_b32 v24, v3 offset:swizzle(BROADCAST,32,15)
	s_waitcnt lgkmcnt(0)
	v_cndmask_b32_e64 v24, v24, 0, s4
	v_add_nc_u32_e32 v3, v3, v24
	s_and_saveexec_b32 s11, s10
	s_cbranch_execz .LBB249_6
; %bb.5:                                ;   in Loop: Header=BB249_2 Depth=1
	ds_store_b32 v14, v3
.LBB249_6:                              ;   in Loop: Header=BB249_2 Depth=1
	s_or_b32 exec_lo, exec_lo, s11
	s_waitcnt lgkmcnt(0)
	s_barrier
	buffer_gl0_inv
	s_and_saveexec_b32 s11, s5
	s_cbranch_execz .LBB249_8
; %bb.7:                                ;   in Loop: Header=BB249_2 Depth=1
	ds_load_b32 v24, v19
	s_waitcnt lgkmcnt(0)
	v_mov_b32_dpp v25, v24 row_shr:1 row_mask:0xf bank_mask:0xf
	s_delay_alu instid0(VALU_DEP_1) | instskip(NEXT) | instid1(VALU_DEP_1)
	v_cndmask_b32_e64 v25, v25, 0, s8
	v_add_nc_u32_e32 v24, v25, v24
	s_delay_alu instid0(VALU_DEP_1) | instskip(NEXT) | instid1(VALU_DEP_1)
	v_mov_b32_dpp v25, v24 row_shr:2 row_mask:0xf bank_mask:0xf
	v_cndmask_b32_e64 v25, 0, v25, s9
	s_delay_alu instid0(VALU_DEP_1)
	v_add_nc_u32_e32 v24, v24, v25
	ds_store_b32 v19, v24
.LBB249_8:                              ;   in Loop: Header=BB249_2 Depth=1
	s_or_b32 exec_lo, exec_lo, s11
	v_mov_b32_e32 v24, 0
	s_waitcnt lgkmcnt(0)
	s_barrier
	buffer_gl0_inv
	s_and_saveexec_b32 s11, s6
	s_cbranch_execz .LBB249_1
; %bb.9:                                ;   in Loop: Header=BB249_2 Depth=1
	ds_load_b32 v24, v17
	s_branch .LBB249_1
.LBB249_10:
	s_waitcnt lgkmcnt(0)
	v_add_nc_u16 v0, v20, v21
	s_add_u32 s0, s18, s14
	s_addc_u32 s1, s19, 0
	s_delay_alu instid0(VALU_DEP_1) | instskip(SKIP_1) | instid1(VALU_DEP_1)
	v_add_nc_u16 v2, v0, 0xff80
	v_add_co_u32 v0, s0, s0, v8
	v_add_co_ci_u32_e64 v1, null, s1, 0, s0
	global_store_b8 v[0:1], v2, off
	s_nop 0
	s_sendmsg sendmsg(MSG_DEALLOC_VGPRS)
	s_endpgm
	.section	.rodata,"a",@progbits
	.p2align	6, 0x0
	.amdhsa_kernel _Z17sort_pairs_kernelI22helper_blocked_stripedaLj128ELj1ELj10EEvPKT0_PS1_
		.amdhsa_group_segment_fixed_size 4112
		.amdhsa_private_segment_fixed_size 0
		.amdhsa_kernarg_size 272
		.amdhsa_user_sgpr_count 15
		.amdhsa_user_sgpr_dispatch_ptr 0
		.amdhsa_user_sgpr_queue_ptr 0
		.amdhsa_user_sgpr_kernarg_segment_ptr 1
		.amdhsa_user_sgpr_dispatch_id 0
		.amdhsa_user_sgpr_private_segment_size 0
		.amdhsa_wavefront_size32 1
		.amdhsa_uses_dynamic_stack 0
		.amdhsa_enable_private_segment 0
		.amdhsa_system_sgpr_workgroup_id_x 1
		.amdhsa_system_sgpr_workgroup_id_y 0
		.amdhsa_system_sgpr_workgroup_id_z 0
		.amdhsa_system_sgpr_workgroup_info 0
		.amdhsa_system_vgpr_workitem_id 2
		.amdhsa_next_free_vgpr 26
		.amdhsa_next_free_sgpr 20
		.amdhsa_reserve_vcc 1
		.amdhsa_float_round_mode_32 0
		.amdhsa_float_round_mode_16_64 0
		.amdhsa_float_denorm_mode_32 3
		.amdhsa_float_denorm_mode_16_64 3
		.amdhsa_dx10_clamp 1
		.amdhsa_ieee_mode 1
		.amdhsa_fp16_overflow 0
		.amdhsa_workgroup_processor_mode 1
		.amdhsa_memory_ordered 1
		.amdhsa_forward_progress 0
		.amdhsa_shared_vgpr_count 0
		.amdhsa_exception_fp_ieee_invalid_op 0
		.amdhsa_exception_fp_denorm_src 0
		.amdhsa_exception_fp_ieee_div_zero 0
		.amdhsa_exception_fp_ieee_overflow 0
		.amdhsa_exception_fp_ieee_underflow 0
		.amdhsa_exception_fp_ieee_inexact 0
		.amdhsa_exception_int_div_zero 0
	.end_amdhsa_kernel
	.section	.text._Z17sort_pairs_kernelI22helper_blocked_stripedaLj128ELj1ELj10EEvPKT0_PS1_,"axG",@progbits,_Z17sort_pairs_kernelI22helper_blocked_stripedaLj128ELj1ELj10EEvPKT0_PS1_,comdat
.Lfunc_end249:
	.size	_Z17sort_pairs_kernelI22helper_blocked_stripedaLj128ELj1ELj10EEvPKT0_PS1_, .Lfunc_end249-_Z17sort_pairs_kernelI22helper_blocked_stripedaLj128ELj1ELj10EEvPKT0_PS1_
                                        ; -- End function
	.section	.AMDGPU.csdata,"",@progbits
; Kernel info:
; codeLenInByte = 1376
; NumSgprs: 22
; NumVgprs: 26
; ScratchSize: 0
; MemoryBound: 0
; FloatMode: 240
; IeeeMode: 1
; LDSByteSize: 4112 bytes/workgroup (compile time only)
; SGPRBlocks: 2
; VGPRBlocks: 3
; NumSGPRsForWavesPerEU: 22
; NumVGPRsForWavesPerEU: 26
; Occupancy: 16
; WaveLimiterHint : 0
; COMPUTE_PGM_RSRC2:SCRATCH_EN: 0
; COMPUTE_PGM_RSRC2:USER_SGPR: 15
; COMPUTE_PGM_RSRC2:TRAP_HANDLER: 0
; COMPUTE_PGM_RSRC2:TGID_X_EN: 1
; COMPUTE_PGM_RSRC2:TGID_Y_EN: 0
; COMPUTE_PGM_RSRC2:TGID_Z_EN: 0
; COMPUTE_PGM_RSRC2:TIDIG_COMP_CNT: 2
	.section	.text._Z16sort_keys_kernelI22helper_blocked_stripedaLj128ELj3ELj10EEvPKT0_PS1_,"axG",@progbits,_Z16sort_keys_kernelI22helper_blocked_stripedaLj128ELj3ELj10EEvPKT0_PS1_,comdat
	.protected	_Z16sort_keys_kernelI22helper_blocked_stripedaLj128ELj3ELj10EEvPKT0_PS1_ ; -- Begin function _Z16sort_keys_kernelI22helper_blocked_stripedaLj128ELj3ELj10EEvPKT0_PS1_
	.globl	_Z16sort_keys_kernelI22helper_blocked_stripedaLj128ELj3ELj10EEvPKT0_PS1_
	.p2align	8
	.type	_Z16sort_keys_kernelI22helper_blocked_stripedaLj128ELj3ELj10EEvPKT0_PS1_,@function
_Z16sort_keys_kernelI22helper_blocked_stripedaLj128ELj3ELj10EEvPKT0_PS1_: ; @_Z16sort_keys_kernelI22helper_blocked_stripedaLj128ELj3ELj10EEvPKT0_PS1_
; %bb.0:
	s_clause 0x1
	s_load_b128 s[16:19], s[0:1], 0x0
	s_load_b32 s10, s[0:1], 0x1c
	v_and_b32_e32 v8, 0x3ff, v0
	s_mul_i32 s13, s15, 0x180
	v_mbcnt_lo_u32_b32 v4, -1, 0
	v_bfe_u32 v6, v0, 10, 10
	v_bfe_u32 v0, v0, 20, 10
	v_mul_u32_u24_e32 v2, 3, v8
	s_mov_b32 s14, 10
	v_and_b32_e32 v14, 16, v4
	v_add_nc_u32_e32 v15, -1, v4
	v_mul_u32_u24_e32 v5, 3, v4
	v_and_b32_e32 v16, 3, v4
	v_cmp_eq_u32_e32 vcc_lo, 0, v4
	v_cmp_eq_u32_e64 s4, 0, v14
	v_cmp_gt_i32_e64 s7, 0, v15
	v_and_b32_e32 v7, 15, v4
	v_cmp_eq_u32_e64 s8, 0, v16
	v_cmp_lt_u32_e64 s9, 1, v16
	s_waitcnt lgkmcnt(0)
	s_add_u32 s0, s16, s13
	s_addc_u32 s1, s17, 0
	s_clause 0x1
	global_load_u16 v1, v2, s[0:1]
	global_load_u8 v3, v2, s[0:1] offset:2
	s_mov_b32 s0, 0
	v_cndmask_b32_e64 v18, v15, v4, s7
	s_mov_b32 s1, s0
	s_lshr_b32 s11, s10, 16
	s_mov_b32 s2, s0
	s_mov_b32 s3, s0
	v_dual_mov_b32 v10, s1 :: v_dual_mov_b32 v9, s0
	v_mad_u32_u24 v6, v0, s11, v6
	v_mov_b32_e32 v12, s3
	v_lshrrev_b32_e32 v17, 5, v8
	s_and_b32 s10, s10, 0xffff
	v_mov_b32_e32 v11, s2
	v_lshlrev_b32_e32 v13, 5, v8
	v_cmp_eq_u32_e64 s0, 0, v7
	v_cmp_lt_u32_e64 s1, 1, v7
	v_cmp_lt_u32_e64 s2, 3, v7
	;; [unrolled: 1-line block ×3, first 2 shown]
	v_or_b32_e32 v7, 31, v8
	v_mul_u32_u24_e32 v19, 0x60, v17
	v_cmp_gt_u32_e64 s5, 4, v8
	v_cmp_lt_u32_e64 s6, 31, v8
	v_cmp_eq_u32_e64 s7, 0, v8
	v_lshlrev_b32_e32 v16, 2, v18
	v_add_nc_u32_e32 v21, v8, v2
	s_waitcnt vmcnt(1)
	v_lshrrev_b32_e32 v14, 8, v1
	v_and_b32_e32 v1, 0xff, v1
	s_delay_alu instid0(VALU_DEP_2) | instskip(SKIP_1) | instid1(VALU_DEP_2)
	v_lshlrev_b16 v15, 8, v14
	v_or_b32_e32 v14, 16, v13
	v_or_b32_e32 v20, v1, v15
	v_mad_u64_u32 v[0:1], null, v6, s10, v[8:9]
	v_lshlrev_b32_e32 v15, 2, v17
	v_cmp_eq_u32_e64 s10, v7, v8
	s_delay_alu instid0(VALU_DEP_4)
	v_and_b32_e32 v1, 0xffff, v20
	v_or_b32_e32 v17, v4, v19
	v_add_nc_u32_e32 v19, v5, v19
	v_add_nc_u32_e32 v18, -4, v15
	v_lshrrev_b32_e32 v20, 5, v0
	s_waitcnt vmcnt(0)
	v_lshl_or_b32 v3, v3, 16, v1
	s_branch .LBB250_2
.LBB250_1:                              ;   in Loop: Header=BB250_2 Depth=1
	s_or_b32 exec_lo, exec_lo, s11
	s_waitcnt lgkmcnt(0)
	v_add_nc_u32_e32 v3, v33, v3
	s_add_i32 s14, s14, -1
	s_delay_alu instid0(SALU_CYCLE_1) | instskip(SKIP_3) | instid1(VALU_DEP_1)
	s_cmp_eq_u32 s14, 0
	ds_bpermute_b32 v3, v16, v3
	s_waitcnt lgkmcnt(0)
	v_cndmask_b32_e32 v3, v3, v33, vcc_lo
	v_cndmask_b32_e64 v3, v3, 0, s7
	s_delay_alu instid0(VALU_DEP_1) | instskip(NEXT) | instid1(VALU_DEP_1)
	v_add_nc_u32_e32 v4, v3, v4
	v_add_nc_u32_e32 v5, v4, v5
	s_delay_alu instid0(VALU_DEP_1) | instskip(NEXT) | instid1(VALU_DEP_1)
	v_add_nc_u32_e32 v6, v5, v6
	v_add_nc_u32_e32 v33, v6, v7
	;; [unrolled: 3-line block ×3, first 2 shown]
	s_delay_alu instid0(VALU_DEP_1)
	v_add_nc_u32_e32 v1, v0, v2
	ds_store_2addr_b64 v13, v[3:4], v[5:6] offset0:2 offset1:3
	ds_store_2addr_b64 v14, v[33:34], v[0:1] offset0:2 offset1:3
	s_waitcnt lgkmcnt(0)
	s_barrier
	buffer_gl0_inv
	ds_load_b32 v0, v26
	ds_load_b32 v1, v29
	;; [unrolled: 1-line block ×3, first 2 shown]
	s_waitcnt lgkmcnt(0)
	s_barrier
	buffer_gl0_inv
	v_add_nc_u32_e32 v0, v0, v25
	v_add3_u32 v1, v28, v27, v1
	v_add3_u32 v2, v31, v30, v2
	ds_store_b8 v0, v22
	ds_store_b8 v1, v23
	;; [unrolled: 1-line block ×3, first 2 shown]
	s_waitcnt lgkmcnt(0)
	s_barrier
	buffer_gl0_inv
	ds_load_u8 v0, v8 offset:128
	ds_load_u8 v1, v8
	ds_load_u8 v3, v8 offset:256
	s_waitcnt lgkmcnt(2)
	v_xor_b32_e32 v0, 0xffffff80, v0
	s_waitcnt lgkmcnt(1)
	v_xor_b32_e32 v2, 0xffffff80, v1
	;; [unrolled: 2-line block ×3, first 2 shown]
	v_lshlrev_b16 v3, 8, v0
	s_delay_alu instid0(VALU_DEP_3) | instskip(NEXT) | instid1(VALU_DEP_3)
	v_and_b32_e32 v4, 0xff, v2
	v_and_b32_e32 v5, 0xff, v1
	s_delay_alu instid0(VALU_DEP_2) | instskip(NEXT) | instid1(VALU_DEP_2)
	v_or_b32_e32 v3, v4, v3
	v_lshlrev_b32_e32 v4, 16, v5
	s_delay_alu instid0(VALU_DEP_2) | instskip(NEXT) | instid1(VALU_DEP_1)
	v_and_b32_e32 v3, 0xffff, v3
	v_or_b32_e32 v3, v3, v4
	s_cbranch_scc1 .LBB250_14
.LBB250_2:                              ; =>This Inner Loop Header: Depth=1
	s_delay_alu instid0(VALU_DEP_1) | instskip(SKIP_2) | instid1(VALU_DEP_3)
	v_lshrrev_b32_e32 v0, 8, v3
	v_lshrrev_b32_e32 v1, 16, v3
	v_xor_b32_e32 v2, 0x80, v3
	v_xor_b32_e32 v0, 0x80, v0
	s_delay_alu instid0(VALU_DEP_3)
	v_xor_b32_e32 v1, 0x80, v1
	ds_store_b8 v19, v2
	ds_store_b8 v19, v0 offset:1
	ds_store_b8 v19, v1 offset:2
	; wave barrier
	ds_load_u8 v22, v17
	ds_load_u8 v23, v17 offset:32
	ds_load_u8 v24, v17 offset:64
	; wave barrier
	; wave barrier
	s_waitcnt lgkmcnt(0)
	s_barrier
	buffer_gl0_inv
	ds_store_2addr_b64 v13, v[9:10], v[11:12] offset0:2 offset1:3
	ds_store_2addr_b64 v14, v[9:10], v[11:12] offset0:2 offset1:3
	s_waitcnt lgkmcnt(0)
	s_barrier
	buffer_gl0_inv
	; wave barrier
	v_and_b32_e32 v0, 1, v22
	v_lshlrev_b32_e32 v1, 30, v22
	v_lshlrev_b32_e32 v2, 29, v22
	;; [unrolled: 1-line block ×4, first 2 shown]
	v_add_co_u32 v0, s11, v0, -1
	s_delay_alu instid0(VALU_DEP_1)
	v_cndmask_b32_e64 v4, 0, 1, s11
	v_not_b32_e32 v25, v1
	v_cmp_gt_i32_e64 s12, 0, v1
	v_not_b32_e32 v1, v2
	v_lshlrev_b32_e32 v6, 26, v22
	v_cmp_ne_u32_e64 s11, 0, v4
	v_ashrrev_i32_e32 v25, 31, v25
	v_lshlrev_b32_e32 v7, 25, v22
	v_ashrrev_i32_e32 v1, 31, v1
	v_lshlrev_b32_e32 v4, 24, v22
	v_xor_b32_e32 v0, s11, v0
	v_cmp_gt_i32_e64 s11, 0, v2
	v_not_b32_e32 v2, v3
	v_xor_b32_e32 v25, s12, v25
	v_cmp_gt_i32_e64 s12, 0, v3
	v_and_b32_e32 v0, exec_lo, v0
	v_not_b32_e32 v3, v5
	v_ashrrev_i32_e32 v2, 31, v2
	v_xor_b32_e32 v1, s11, v1
	v_cmp_gt_i32_e64 s11, 0, v5
	v_and_b32_e32 v0, v0, v25
	v_not_b32_e32 v5, v6
	v_ashrrev_i32_e32 v3, 31, v3
	v_xor_b32_e32 v2, s12, v2
	v_cmp_gt_i32_e64 s12, 0, v6
	v_and_b32_e32 v0, v0, v1
	;; [unrolled: 5-line block ×4, first 2 shown]
	v_ashrrev_i32_e32 v2, 31, v2
	v_xor_b32_e32 v1, s11, v1
	s_delay_alu instid0(VALU_DEP_3) | instskip(NEXT) | instid1(VALU_DEP_3)
	v_and_b32_e32 v0, v0, v5
	v_xor_b32_e32 v2, s12, v2
	s_delay_alu instid0(VALU_DEP_2) | instskip(SKIP_1) | instid1(VALU_DEP_2)
	v_and_b32_e32 v0, v0, v1
	v_and_b32_e32 v1, 0xff, v22
	;; [unrolled: 1-line block ×3, first 2 shown]
	s_delay_alu instid0(VALU_DEP_2) | instskip(NEXT) | instid1(VALU_DEP_2)
	v_lshl_add_u32 v1, v1, 2, v20
	v_mbcnt_lo_u32_b32 v25, v0, 0
	v_cmp_ne_u32_e64 s12, 0, v0
	s_delay_alu instid0(VALU_DEP_3) | instskip(NEXT) | instid1(VALU_DEP_3)
	v_lshl_add_u32 v26, v1, 2, 16
	v_cmp_eq_u32_e64 s11, 0, v25
	s_delay_alu instid0(VALU_DEP_1) | instskip(NEXT) | instid1(SALU_CYCLE_1)
	s_and_b32 s12, s12, s11
	s_and_saveexec_b32 s11, s12
	s_cbranch_execz .LBB250_4
; %bb.3:                                ;   in Loop: Header=BB250_2 Depth=1
	v_bcnt_u32_b32 v0, v0, 0
	ds_store_b32 v26, v0
.LBB250_4:                              ;   in Loop: Header=BB250_2 Depth=1
	s_or_b32 exec_lo, exec_lo, s11
	v_and_b32_e32 v0, 1, v23
	v_lshlrev_b32_e32 v2, 30, v23
	v_lshlrev_b32_e32 v4, 29, v23
	;; [unrolled: 1-line block ×4, first 2 shown]
	v_add_co_u32 v0, s11, v0, -1
	s_delay_alu instid0(VALU_DEP_1)
	v_cndmask_b32_e64 v3, 0, 1, s11
	v_not_b32_e32 v7, v2
	v_cmp_gt_i32_e64 s12, 0, v2
	v_not_b32_e32 v2, v4
	v_and_b32_e32 v1, 0xff, v23
	v_cmp_ne_u32_e64 s11, 0, v3
	v_ashrrev_i32_e32 v7, 31, v7
	v_lshlrev_b32_e32 v3, 26, v23
	v_ashrrev_i32_e32 v2, 31, v2
	v_lshlrev_b32_e32 v1, 2, v1
	v_xor_b32_e32 v0, s11, v0
	v_cmp_gt_i32_e64 s11, 0, v4
	v_not_b32_e32 v4, v5
	v_xor_b32_e32 v7, s12, v7
	v_cmp_gt_i32_e64 s12, 0, v5
	v_and_b32_e32 v0, exec_lo, v0
	v_not_b32_e32 v5, v6
	v_ashrrev_i32_e32 v4, 31, v4
	v_xor_b32_e32 v2, s11, v2
	v_cmp_gt_i32_e64 s11, 0, v6
	v_and_b32_e32 v0, v0, v7
	v_lshlrev_b32_e32 v7, 25, v23
	v_ashrrev_i32_e32 v5, 31, v5
	v_xor_b32_e32 v4, s12, v4
	v_not_b32_e32 v6, v3
	v_and_b32_e32 v0, v0, v2
	v_lshlrev_b32_e32 v2, 24, v23
	v_not_b32_e32 v27, v7
	v_xor_b32_e32 v5, s11, v5
	v_cmp_gt_i32_e64 s11, 0, v3
	v_and_b32_e32 v0, v0, v4
	v_ashrrev_i32_e32 v3, 31, v6
	v_cmp_gt_i32_e64 s12, 0, v7
	v_ashrrev_i32_e32 v4, 31, v27
	v_add_lshl_u32 v1, v20, v1, 2
	v_and_b32_e32 v0, v0, v5
	v_not_b32_e32 v5, v2
	v_xor_b32_e32 v3, s11, v3
	v_xor_b32_e32 v4, s12, v4
	v_cmp_gt_i32_e64 s11, 0, v2
	s_delay_alu instid0(VALU_DEP_4) | instskip(NEXT) | instid1(VALU_DEP_4)
	v_ashrrev_i32_e32 v2, 31, v5
	v_and_b32_e32 v0, v0, v3
	; wave barrier
	ds_load_b32 v27, v1 offset:16
	v_add_nc_u32_e32 v29, 16, v1
	v_xor_b32_e32 v2, s11, v2
	v_and_b32_e32 v0, v0, v4
	; wave barrier
	s_delay_alu instid0(VALU_DEP_1) | instskip(NEXT) | instid1(VALU_DEP_1)
	v_and_b32_e32 v0, v0, v2
	v_mbcnt_lo_u32_b32 v28, v0, 0
	v_cmp_ne_u32_e64 s12, 0, v0
	s_delay_alu instid0(VALU_DEP_2) | instskip(NEXT) | instid1(VALU_DEP_1)
	v_cmp_eq_u32_e64 s11, 0, v28
	s_and_b32 s12, s12, s11
	s_delay_alu instid0(SALU_CYCLE_1)
	s_and_saveexec_b32 s11, s12
	s_cbranch_execz .LBB250_6
; %bb.5:                                ;   in Loop: Header=BB250_2 Depth=1
	s_waitcnt lgkmcnt(0)
	v_bcnt_u32_b32 v0, v0, v27
	ds_store_b32 v29, v0
.LBB250_6:                              ;   in Loop: Header=BB250_2 Depth=1
	s_or_b32 exec_lo, exec_lo, s11
	v_and_b32_e32 v0, 1, v24
	v_lshlrev_b32_e32 v2, 30, v24
	v_lshlrev_b32_e32 v4, 29, v24
	;; [unrolled: 1-line block ×4, first 2 shown]
	v_add_co_u32 v0, s11, v0, -1
	s_delay_alu instid0(VALU_DEP_1)
	v_cndmask_b32_e64 v3, 0, 1, s11
	v_not_b32_e32 v7, v2
	v_cmp_gt_i32_e64 s12, 0, v2
	v_not_b32_e32 v2, v4
	v_and_b32_e32 v1, 0xff, v24
	v_cmp_ne_u32_e64 s11, 0, v3
	v_ashrrev_i32_e32 v7, 31, v7
	v_lshlrev_b32_e32 v3, 26, v24
	v_ashrrev_i32_e32 v2, 31, v2
	v_lshlrev_b32_e32 v1, 2, v1
	v_xor_b32_e32 v0, s11, v0
	v_cmp_gt_i32_e64 s11, 0, v4
	v_not_b32_e32 v4, v5
	v_xor_b32_e32 v7, s12, v7
	v_cmp_gt_i32_e64 s12, 0, v5
	v_and_b32_e32 v0, exec_lo, v0
	v_not_b32_e32 v5, v6
	v_ashrrev_i32_e32 v4, 31, v4
	v_xor_b32_e32 v2, s11, v2
	v_cmp_gt_i32_e64 s11, 0, v6
	v_and_b32_e32 v0, v0, v7
	v_lshlrev_b32_e32 v7, 25, v24
	v_ashrrev_i32_e32 v5, 31, v5
	v_xor_b32_e32 v4, s12, v4
	v_not_b32_e32 v6, v3
	v_and_b32_e32 v0, v0, v2
	v_lshlrev_b32_e32 v2, 24, v24
	v_not_b32_e32 v30, v7
	v_xor_b32_e32 v5, s11, v5
	v_cmp_gt_i32_e64 s11, 0, v3
	v_and_b32_e32 v0, v0, v4
	v_ashrrev_i32_e32 v3, 31, v6
	v_cmp_gt_i32_e64 s12, 0, v7
	v_ashrrev_i32_e32 v4, 31, v30
	v_add_lshl_u32 v1, v20, v1, 2
	v_and_b32_e32 v0, v0, v5
	v_not_b32_e32 v5, v2
	v_xor_b32_e32 v3, s11, v3
	v_xor_b32_e32 v4, s12, v4
	v_cmp_gt_i32_e64 s11, 0, v2
	s_delay_alu instid0(VALU_DEP_4) | instskip(NEXT) | instid1(VALU_DEP_4)
	v_ashrrev_i32_e32 v2, 31, v5
	v_and_b32_e32 v0, v0, v3
	; wave barrier
	ds_load_b32 v30, v1 offset:16
	v_add_nc_u32_e32 v32, 16, v1
	v_xor_b32_e32 v2, s11, v2
	v_and_b32_e32 v0, v0, v4
	; wave barrier
	s_delay_alu instid0(VALU_DEP_1) | instskip(NEXT) | instid1(VALU_DEP_1)
	v_and_b32_e32 v0, v0, v2
	v_mbcnt_lo_u32_b32 v31, v0, 0
	v_cmp_ne_u32_e64 s12, 0, v0
	s_delay_alu instid0(VALU_DEP_2) | instskip(NEXT) | instid1(VALU_DEP_1)
	v_cmp_eq_u32_e64 s11, 0, v31
	s_and_b32 s12, s12, s11
	s_delay_alu instid0(SALU_CYCLE_1)
	s_and_saveexec_b32 s11, s12
	s_cbranch_execz .LBB250_8
; %bb.7:                                ;   in Loop: Header=BB250_2 Depth=1
	s_waitcnt lgkmcnt(0)
	v_bcnt_u32_b32 v0, v0, v30
	ds_store_b32 v32, v0
.LBB250_8:                              ;   in Loop: Header=BB250_2 Depth=1
	s_or_b32 exec_lo, exec_lo, s11
	; wave barrier
	s_waitcnt lgkmcnt(0)
	s_barrier
	buffer_gl0_inv
	ds_load_2addr_b64 v[4:7], v13 offset0:2 offset1:3
	ds_load_2addr_b64 v[0:3], v14 offset0:2 offset1:3
	s_waitcnt lgkmcnt(1)
	v_add_nc_u32_e32 v33, v5, v4
	s_delay_alu instid0(VALU_DEP_1) | instskip(SKIP_1) | instid1(VALU_DEP_1)
	v_add3_u32 v33, v33, v6, v7
	s_waitcnt lgkmcnt(0)
	v_add3_u32 v33, v33, v0, v1
	s_delay_alu instid0(VALU_DEP_1) | instskip(NEXT) | instid1(VALU_DEP_1)
	v_add3_u32 v3, v33, v2, v3
	v_mov_b32_dpp v33, v3 row_shr:1 row_mask:0xf bank_mask:0xf
	s_delay_alu instid0(VALU_DEP_1) | instskip(NEXT) | instid1(VALU_DEP_1)
	v_cndmask_b32_e64 v33, v33, 0, s0
	v_add_nc_u32_e32 v3, v33, v3
	s_delay_alu instid0(VALU_DEP_1) | instskip(NEXT) | instid1(VALU_DEP_1)
	v_mov_b32_dpp v33, v3 row_shr:2 row_mask:0xf bank_mask:0xf
	v_cndmask_b32_e64 v33, 0, v33, s1
	s_delay_alu instid0(VALU_DEP_1) | instskip(NEXT) | instid1(VALU_DEP_1)
	v_add_nc_u32_e32 v3, v3, v33
	v_mov_b32_dpp v33, v3 row_shr:4 row_mask:0xf bank_mask:0xf
	s_delay_alu instid0(VALU_DEP_1) | instskip(NEXT) | instid1(VALU_DEP_1)
	v_cndmask_b32_e64 v33, 0, v33, s2
	v_add_nc_u32_e32 v3, v3, v33
	s_delay_alu instid0(VALU_DEP_1) | instskip(NEXT) | instid1(VALU_DEP_1)
	v_mov_b32_dpp v33, v3 row_shr:8 row_mask:0xf bank_mask:0xf
	v_cndmask_b32_e64 v33, 0, v33, s3
	s_delay_alu instid0(VALU_DEP_1) | instskip(SKIP_3) | instid1(VALU_DEP_1)
	v_add_nc_u32_e32 v3, v3, v33
	ds_swizzle_b32 v33, v3 offset:swizzle(BROADCAST,32,15)
	s_waitcnt lgkmcnt(0)
	v_cndmask_b32_e64 v33, v33, 0, s4
	v_add_nc_u32_e32 v3, v3, v33
	s_and_saveexec_b32 s11, s10
	s_cbranch_execz .LBB250_10
; %bb.9:                                ;   in Loop: Header=BB250_2 Depth=1
	ds_store_b32 v15, v3
.LBB250_10:                             ;   in Loop: Header=BB250_2 Depth=1
	s_or_b32 exec_lo, exec_lo, s11
	s_waitcnt lgkmcnt(0)
	s_barrier
	buffer_gl0_inv
	s_and_saveexec_b32 s11, s5
	s_cbranch_execz .LBB250_12
; %bb.11:                               ;   in Loop: Header=BB250_2 Depth=1
	ds_load_b32 v33, v21
	s_waitcnt lgkmcnt(0)
	v_mov_b32_dpp v34, v33 row_shr:1 row_mask:0xf bank_mask:0xf
	s_delay_alu instid0(VALU_DEP_1) | instskip(NEXT) | instid1(VALU_DEP_1)
	v_cndmask_b32_e64 v34, v34, 0, s8
	v_add_nc_u32_e32 v33, v34, v33
	s_delay_alu instid0(VALU_DEP_1) | instskip(NEXT) | instid1(VALU_DEP_1)
	v_mov_b32_dpp v34, v33 row_shr:2 row_mask:0xf bank_mask:0xf
	v_cndmask_b32_e64 v34, 0, v34, s9
	s_delay_alu instid0(VALU_DEP_1)
	v_add_nc_u32_e32 v33, v33, v34
	ds_store_b32 v21, v33
.LBB250_12:                             ;   in Loop: Header=BB250_2 Depth=1
	s_or_b32 exec_lo, exec_lo, s11
	v_mov_b32_e32 v33, 0
	s_waitcnt lgkmcnt(0)
	s_barrier
	buffer_gl0_inv
	s_and_saveexec_b32 s11, s6
	s_cbranch_execz .LBB250_1
; %bb.13:                               ;   in Loop: Header=BB250_2 Depth=1
	ds_load_b32 v33, v18
	s_branch .LBB250_1
.LBB250_14:
	s_add_u32 s0, s18, s13
	s_addc_u32 s1, s19, 0
	s_clause 0x2
	global_store_b8 v8, v2, s[0:1]
	global_store_b8 v8, v0, s[0:1] offset:128
	global_store_b8 v8, v1, s[0:1] offset:256
	s_nop 0
	s_sendmsg sendmsg(MSG_DEALLOC_VGPRS)
	s_endpgm
	.section	.rodata,"a",@progbits
	.p2align	6, 0x0
	.amdhsa_kernel _Z16sort_keys_kernelI22helper_blocked_stripedaLj128ELj3ELj10EEvPKT0_PS1_
		.amdhsa_group_segment_fixed_size 4112
		.amdhsa_private_segment_fixed_size 0
		.amdhsa_kernarg_size 272
		.amdhsa_user_sgpr_count 15
		.amdhsa_user_sgpr_dispatch_ptr 0
		.amdhsa_user_sgpr_queue_ptr 0
		.amdhsa_user_sgpr_kernarg_segment_ptr 1
		.amdhsa_user_sgpr_dispatch_id 0
		.amdhsa_user_sgpr_private_segment_size 0
		.amdhsa_wavefront_size32 1
		.amdhsa_uses_dynamic_stack 0
		.amdhsa_enable_private_segment 0
		.amdhsa_system_sgpr_workgroup_id_x 1
		.amdhsa_system_sgpr_workgroup_id_y 0
		.amdhsa_system_sgpr_workgroup_id_z 0
		.amdhsa_system_sgpr_workgroup_info 0
		.amdhsa_system_vgpr_workitem_id 2
		.amdhsa_next_free_vgpr 35
		.amdhsa_next_free_sgpr 20
		.amdhsa_reserve_vcc 1
		.amdhsa_float_round_mode_32 0
		.amdhsa_float_round_mode_16_64 0
		.amdhsa_float_denorm_mode_32 3
		.amdhsa_float_denorm_mode_16_64 3
		.amdhsa_dx10_clamp 1
		.amdhsa_ieee_mode 1
		.amdhsa_fp16_overflow 0
		.amdhsa_workgroup_processor_mode 1
		.amdhsa_memory_ordered 1
		.amdhsa_forward_progress 0
		.amdhsa_shared_vgpr_count 0
		.amdhsa_exception_fp_ieee_invalid_op 0
		.amdhsa_exception_fp_denorm_src 0
		.amdhsa_exception_fp_ieee_div_zero 0
		.amdhsa_exception_fp_ieee_overflow 0
		.amdhsa_exception_fp_ieee_underflow 0
		.amdhsa_exception_fp_ieee_inexact 0
		.amdhsa_exception_int_div_zero 0
	.end_amdhsa_kernel
	.section	.text._Z16sort_keys_kernelI22helper_blocked_stripedaLj128ELj3ELj10EEvPKT0_PS1_,"axG",@progbits,_Z16sort_keys_kernelI22helper_blocked_stripedaLj128ELj3ELj10EEvPKT0_PS1_,comdat
.Lfunc_end250:
	.size	_Z16sort_keys_kernelI22helper_blocked_stripedaLj128ELj3ELj10EEvPKT0_PS1_, .Lfunc_end250-_Z16sort_keys_kernelI22helper_blocked_stripedaLj128ELj3ELj10EEvPKT0_PS1_
                                        ; -- End function
	.section	.AMDGPU.csdata,"",@progbits
; Kernel info:
; codeLenInByte = 2316
; NumSgprs: 22
; NumVgprs: 35
; ScratchSize: 0
; MemoryBound: 0
; FloatMode: 240
; IeeeMode: 1
; LDSByteSize: 4112 bytes/workgroup (compile time only)
; SGPRBlocks: 2
; VGPRBlocks: 4
; NumSGPRsForWavesPerEU: 22
; NumVGPRsForWavesPerEU: 35
; Occupancy: 16
; WaveLimiterHint : 1
; COMPUTE_PGM_RSRC2:SCRATCH_EN: 0
; COMPUTE_PGM_RSRC2:USER_SGPR: 15
; COMPUTE_PGM_RSRC2:TRAP_HANDLER: 0
; COMPUTE_PGM_RSRC2:TGID_X_EN: 1
; COMPUTE_PGM_RSRC2:TGID_Y_EN: 0
; COMPUTE_PGM_RSRC2:TGID_Z_EN: 0
; COMPUTE_PGM_RSRC2:TIDIG_COMP_CNT: 2
	.section	.text._Z17sort_pairs_kernelI22helper_blocked_stripedaLj128ELj3ELj10EEvPKT0_PS1_,"axG",@progbits,_Z17sort_pairs_kernelI22helper_blocked_stripedaLj128ELj3ELj10EEvPKT0_PS1_,comdat
	.protected	_Z17sort_pairs_kernelI22helper_blocked_stripedaLj128ELj3ELj10EEvPKT0_PS1_ ; -- Begin function _Z17sort_pairs_kernelI22helper_blocked_stripedaLj128ELj3ELj10EEvPKT0_PS1_
	.globl	_Z17sort_pairs_kernelI22helper_blocked_stripedaLj128ELj3ELj10EEvPKT0_PS1_
	.p2align	8
	.type	_Z17sort_pairs_kernelI22helper_blocked_stripedaLj128ELj3ELj10EEvPKT0_PS1_,@function
_Z17sort_pairs_kernelI22helper_blocked_stripedaLj128ELj3ELj10EEvPKT0_PS1_: ; @_Z17sort_pairs_kernelI22helper_blocked_stripedaLj128ELj3ELj10EEvPKT0_PS1_
; %bb.0:
	s_clause 0x1
	s_load_b128 s[16:19], s[0:1], 0x0
	s_load_b32 s11, s[0:1], 0x1c
	v_and_b32_e32 v8, 0x3ff, v0
	s_mul_i32 s13, s15, 0x180
	v_mbcnt_lo_u32_b32 v4, -1, 0
	v_bfe_u32 v6, v0, 10, 10
	v_bfe_u32 v0, v0, 20, 10
	v_mul_u32_u24_e32 v2, 3, v8
	s_mov_b32 s14, 10
	v_and_b32_e32 v16, 3, v4
	v_add_nc_u32_e32 v15, -1, v4
	v_mul_u32_u24_e32 v5, 3, v4
	v_and_b32_e32 v14, 16, v4
	v_cmp_eq_u32_e32 vcc_lo, 0, v4
	v_cmp_eq_u32_e64 s8, 0, v16
	v_cmp_lt_u32_e64 s9, 1, v16
	v_cmp_gt_i32_e64 s7, 0, v15
	v_cmp_eq_u32_e64 s4, 0, v14
	v_and_b32_e32 v7, 15, v4
	s_waitcnt lgkmcnt(0)
	s_add_u32 s0, s16, s13
	s_addc_u32 s1, s17, 0
	s_clause 0x1
	global_load_u16 v1, v2, s[0:1]
	global_load_i8 v3, v2, s[0:1] offset:2
	s_mov_b32 s0, 0
	s_lshr_b32 s12, s11, 16
	s_mov_b32 s3, s0
	s_mov_b32 s2, s0
	v_mov_b32_e32 v12, s3
	s_mov_b32 s1, s0
	s_delay_alu instid0(SALU_CYCLE_1)
	v_dual_mov_b32 v11, s2 :: v_dual_mov_b32 v10, s1
	v_mov_b32_e32 v9, s0
	v_cmp_eq_u32_e64 s0, 0, v7
	v_cmp_lt_u32_e64 s1, 1, v7
	v_cmp_lt_u32_e64 s2, 3, v7
	v_cmp_lt_u32_e64 s3, 7, v7
	v_or_b32_e32 v7, 31, v8
	v_lshrrev_b32_e32 v17, 5, v8
	v_mad_u32_u24 v6, v0, s12, v6
	s_and_b32 s11, s11, 0xffff
	v_lshlrev_b32_e32 v13, 5, v8
	v_cmp_eq_u32_e64 s10, v7, v8
	v_mul_u32_u24_e32 v19, 0x60, v17
	v_lshlrev_b32_e32 v16, 2, v17
	v_cndmask_b32_e64 v15, v15, v4, s7
	v_cmp_gt_u32_e64 s5, 4, v8
	v_cmp_lt_u32_e64 s6, 31, v8
	v_cmp_eq_u32_e64 s7, 0, v8
	v_or_b32_e32 v14, 16, v13
	v_lshlrev_b32_e32 v15, 2, v15
	v_add_nc_u32_e32 v21, v8, v2
	s_waitcnt vmcnt(1)
	v_lshrrev_b32_e32 v7, 8, v1
	v_add_nc_u16 v18, v1, 1
	s_waitcnt vmcnt(0)
	v_add_nc_u16 v20, v3, 1
	s_delay_alu instid0(VALU_DEP_3) | instskip(NEXT) | instid1(VALU_DEP_3)
	v_lshlrev_b16 v7, 8, v7
	v_and_b32_e32 v17, 0xff, v18
	v_and_b32_e32 v18, 0xff, v1
	v_mad_u64_u32 v[0:1], null, v6, s11, v[8:9]
	v_and_b32_e32 v1, 0xff, v3
	s_delay_alu instid0(VALU_DEP_4)
	v_or_b32_e32 v17, v7, v17
	v_and_b32_e32 v3, 0xff, v20
	v_or_b32_e32 v6, v18, v7
	v_add_nc_u32_e32 v18, -4, v16
	v_lshlrev_b32_e32 v1, 16, v1
	v_add_nc_u16 v7, v17, 0x100
	v_or_b32_e32 v17, v4, v19
	v_lshlrev_b32_e32 v3, 16, v3
	v_and_b32_e32 v4, 0xffff, v6
	v_add_nc_u32_e32 v19, v5, v19
	v_and_b32_e32 v6, 0xffff, v7
	v_lshrrev_b32_e32 v20, 5, v0
	s_delay_alu instid0(VALU_DEP_4) | instskip(NEXT) | instid1(VALU_DEP_3)
	v_or_b32_e32 v7, v4, v1
	v_or_b32_e32 v0, v6, v3
	s_branch .LBB251_2
.LBB251_1:                              ;   in Loop: Header=BB251_2 Depth=1
	s_or_b32 exec_lo, exec_lo, s11
	s_waitcnt lgkmcnt(0)
	v_add_nc_u32_e32 v3, v36, v3
	s_add_i32 s14, s14, -1
	s_delay_alu instid0(SALU_CYCLE_1) | instskip(SKIP_3) | instid1(VALU_DEP_1)
	s_cmp_eq_u32 s14, 0
	ds_bpermute_b32 v3, v15, v3
	s_waitcnt lgkmcnt(0)
	v_cndmask_b32_e32 v3, v3, v36, vcc_lo
	v_cndmask_b32_e64 v3, v3, 0, s7
	s_delay_alu instid0(VALU_DEP_1) | instskip(NEXT) | instid1(VALU_DEP_1)
	v_add_nc_u32_e32 v4, v3, v4
	v_add_nc_u32_e32 v5, v4, v5
	s_delay_alu instid0(VALU_DEP_1) | instskip(NEXT) | instid1(VALU_DEP_1)
	v_add_nc_u32_e32 v6, v5, v6
	v_add_nc_u32_e32 v36, v6, v7
	;; [unrolled: 3-line block ×3, first 2 shown]
	s_delay_alu instid0(VALU_DEP_1)
	v_add_nc_u32_e32 v1, v0, v2
	ds_store_2addr_b64 v13, v[3:4], v[5:6] offset0:2 offset1:3
	ds_store_2addr_b64 v14, v[36:37], v[0:1] offset0:2 offset1:3
	s_waitcnt lgkmcnt(0)
	s_barrier
	buffer_gl0_inv
	ds_load_b32 v0, v29
	ds_load_b32 v1, v32
	;; [unrolled: 1-line block ×3, first 2 shown]
	s_waitcnt lgkmcnt(0)
	s_barrier
	buffer_gl0_inv
	v_add_nc_u32_e32 v0, v0, v28
	v_add3_u32 v1, v31, v30, v1
	v_add3_u32 v2, v34, v33, v2
	ds_store_b8 v0, v22
	ds_store_b8 v1, v23
	;; [unrolled: 1-line block ×3, first 2 shown]
	s_waitcnt lgkmcnt(0)
	s_barrier
	buffer_gl0_inv
	ds_load_u8 v5, v8
	ds_load_u8 v4, v8 offset:128
	ds_load_u8 v6, v8 offset:256
	s_waitcnt lgkmcnt(0)
	s_barrier
	buffer_gl0_inv
	ds_store_b8 v0, v25
	ds_store_b8 v1, v26
	ds_store_b8 v2, v27
	s_waitcnt lgkmcnt(0)
	s_barrier
	buffer_gl0_inv
	ds_load_u8 v1, v8 offset:128
	ds_load_u8 v3, v8
	ds_load_u8 v2, v8 offset:256
	v_xor_b32_e32 v5, 0xffffff80, v5
	v_xor_b32_e32 v4, 0xffffff80, v4
	;; [unrolled: 1-line block ×3, first 2 shown]
	s_delay_alu instid0(VALU_DEP_3) | instskip(NEXT) | instid1(VALU_DEP_3)
	v_and_b32_e32 v22, 0xff, v5
	v_lshlrev_b16 v7, 8, v4
	s_delay_alu instid0(VALU_DEP_3) | instskip(SKIP_2) | instid1(VALU_DEP_3)
	v_and_b32_e32 v23, 0xff, v6
	s_waitcnt lgkmcnt(2)
	v_lshlrev_b16 v0, 8, v1
	v_or_b32_e32 v7, v22, v7
	s_waitcnt lgkmcnt(0)
	v_lshlrev_b32_e32 v22, 16, v2
	s_delay_alu instid0(VALU_DEP_3) | instskip(SKIP_2) | instid1(VALU_DEP_3)
	v_or_b32_e32 v0, v3, v0
	v_lshlrev_b32_e32 v23, 16, v23
	v_and_b32_e32 v7, 0xffff, v7
	v_and_b32_e32 v0, 0xffff, v0
	s_delay_alu instid0(VALU_DEP_2) | instskip(NEXT) | instid1(VALU_DEP_2)
	v_or_b32_e32 v7, v7, v23
	v_or_b32_e32 v0, v0, v22
	s_cbranch_scc1 .LBB251_14
.LBB251_2:                              ; =>This Inner Loop Header: Depth=1
	s_delay_alu instid0(VALU_DEP_2) | instskip(SKIP_2) | instid1(VALU_DEP_3)
	v_lshrrev_b32_e32 v1, 8, v7
	v_lshrrev_b32_e32 v2, 16, v7
	v_xor_b32_e32 v3, 0x80, v7
	v_xor_b32_e32 v1, 0x80, v1
	s_delay_alu instid0(VALU_DEP_3)
	v_xor_b32_e32 v2, 0x80, v2
	ds_store_b8 v19, v3
	ds_store_b8 v19, v1 offset:1
	ds_store_b8 v19, v2 offset:2
	; wave barrier
	ds_load_u8 v22, v17
	v_lshrrev_b32_e32 v1, 8, v0
	ds_load_u8 v23, v17 offset:32
	ds_load_u8 v24, v17 offset:64
	; wave barrier
	ds_store_b8 v19, v0
	ds_store_b8 v19, v1 offset:1
	ds_store_b8_d16_hi v19, v0 offset:2
	; wave barrier
	s_waitcnt lgkmcnt(5)
	v_and_b32_e32 v2, 1, v22
	v_lshlrev_b32_e32 v3, 30, v22
	v_lshlrev_b32_e32 v4, 29, v22
	;; [unrolled: 1-line block ×4, first 2 shown]
	v_add_co_u32 v2, s11, v2, -1
	s_delay_alu instid0(VALU_DEP_1)
	v_cndmask_b32_e64 v6, 0, 1, s11
	v_not_b32_e32 v27, v3
	v_cmp_gt_i32_e64 s12, 0, v3
	v_not_b32_e32 v3, v4
	v_lshlrev_b32_e32 v25, 26, v22
	v_cmp_ne_u32_e64 s11, 0, v6
	v_ashrrev_i32_e32 v27, 31, v27
	v_lshlrev_b32_e32 v26, 25, v22
	v_ashrrev_i32_e32 v3, 31, v3
	v_lshlrev_b32_e32 v6, 24, v22
	v_xor_b32_e32 v2, s11, v2
	v_cmp_gt_i32_e64 s11, 0, v4
	v_not_b32_e32 v4, v5
	v_xor_b32_e32 v27, s12, v27
	v_cmp_gt_i32_e64 s12, 0, v5
	v_and_b32_e32 v2, exec_lo, v2
	v_not_b32_e32 v5, v7
	v_ashrrev_i32_e32 v4, 31, v4
	v_xor_b32_e32 v3, s11, v3
	v_cmp_gt_i32_e64 s11, 0, v7
	v_and_b32_e32 v2, v2, v27
	v_not_b32_e32 v7, v25
	v_ashrrev_i32_e32 v5, 31, v5
	v_xor_b32_e32 v4, s12, v4
	v_cmp_gt_i32_e64 s12, 0, v25
	v_and_b32_e32 v2, v2, v3
	v_not_b32_e32 v3, v26
	v_ashrrev_i32_e32 v7, 31, v7
	v_xor_b32_e32 v5, s11, v5
	v_cmp_gt_i32_e64 s11, 0, v26
	v_and_b32_e32 v2, v2, v4
	v_not_b32_e32 v4, v6
	v_ashrrev_i32_e32 v3, 31, v3
	v_xor_b32_e32 v7, s12, v7
	v_cmp_gt_i32_e64 s12, 0, v6
	v_and_b32_e32 v2, v2, v5
	v_ashrrev_i32_e32 v4, 31, v4
	v_xor_b32_e32 v3, s11, v3
	ds_load_u8 v25, v17
	ds_load_u8 v26, v17 offset:32
	ds_load_u8 v27, v17 offset:64
	s_waitcnt lgkmcnt(0)
	v_and_b32_e32 v2, v2, v7
	v_xor_b32_e32 v0, s12, v4
	s_barrier
	buffer_gl0_inv
	ds_store_2addr_b64 v13, v[9:10], v[11:12] offset0:2 offset1:3
	ds_store_2addr_b64 v14, v[9:10], v[11:12] offset0:2 offset1:3
	v_and_b32_e32 v1, v2, v3
	s_waitcnt lgkmcnt(0)
	s_barrier
	buffer_gl0_inv
	v_and_b32_e32 v0, v1, v0
	v_and_b32_e32 v1, 0xff, v22
	; wave barrier
	s_delay_alu instid0(VALU_DEP_2) | instskip(NEXT) | instid1(VALU_DEP_2)
	v_mbcnt_lo_u32_b32 v28, v0, 0
	v_lshl_add_u32 v1, v1, 2, v20
	v_cmp_ne_u32_e64 s12, 0, v0
	s_delay_alu instid0(VALU_DEP_3) | instskip(NEXT) | instid1(VALU_DEP_3)
	v_cmp_eq_u32_e64 s11, 0, v28
	v_lshl_add_u32 v29, v1, 2, 16
	s_delay_alu instid0(VALU_DEP_2) | instskip(NEXT) | instid1(SALU_CYCLE_1)
	s_and_b32 s12, s12, s11
	s_and_saveexec_b32 s11, s12
	s_cbranch_execz .LBB251_4
; %bb.3:                                ;   in Loop: Header=BB251_2 Depth=1
	v_bcnt_u32_b32 v0, v0, 0
	ds_store_b32 v29, v0
.LBB251_4:                              ;   in Loop: Header=BB251_2 Depth=1
	s_or_b32 exec_lo, exec_lo, s11
	v_and_b32_e32 v0, 1, v23
	v_lshlrev_b32_e32 v2, 30, v23
	v_lshlrev_b32_e32 v4, 29, v23
	;; [unrolled: 1-line block ×4, first 2 shown]
	v_add_co_u32 v0, s11, v0, -1
	s_delay_alu instid0(VALU_DEP_1)
	v_cndmask_b32_e64 v3, 0, 1, s11
	v_not_b32_e32 v7, v2
	v_cmp_gt_i32_e64 s12, 0, v2
	v_not_b32_e32 v2, v4
	v_and_b32_e32 v1, 0xff, v23
	v_cmp_ne_u32_e64 s11, 0, v3
	v_ashrrev_i32_e32 v7, 31, v7
	v_lshlrev_b32_e32 v3, 26, v23
	v_ashrrev_i32_e32 v2, 31, v2
	v_lshlrev_b32_e32 v1, 2, v1
	v_xor_b32_e32 v0, s11, v0
	v_cmp_gt_i32_e64 s11, 0, v4
	v_not_b32_e32 v4, v5
	v_xor_b32_e32 v7, s12, v7
	v_cmp_gt_i32_e64 s12, 0, v5
	v_and_b32_e32 v0, exec_lo, v0
	v_not_b32_e32 v5, v6
	v_ashrrev_i32_e32 v4, 31, v4
	v_xor_b32_e32 v2, s11, v2
	v_cmp_gt_i32_e64 s11, 0, v6
	v_and_b32_e32 v0, v0, v7
	v_lshlrev_b32_e32 v7, 25, v23
	v_ashrrev_i32_e32 v5, 31, v5
	v_xor_b32_e32 v4, s12, v4
	v_not_b32_e32 v6, v3
	v_and_b32_e32 v0, v0, v2
	v_lshlrev_b32_e32 v2, 24, v23
	v_not_b32_e32 v30, v7
	v_xor_b32_e32 v5, s11, v5
	v_cmp_gt_i32_e64 s11, 0, v3
	v_and_b32_e32 v0, v0, v4
	v_ashrrev_i32_e32 v3, 31, v6
	v_cmp_gt_i32_e64 s12, 0, v7
	v_ashrrev_i32_e32 v4, 31, v30
	v_add_lshl_u32 v1, v20, v1, 2
	v_and_b32_e32 v0, v0, v5
	v_not_b32_e32 v5, v2
	v_xor_b32_e32 v3, s11, v3
	v_xor_b32_e32 v4, s12, v4
	v_cmp_gt_i32_e64 s11, 0, v2
	s_delay_alu instid0(VALU_DEP_4) | instskip(NEXT) | instid1(VALU_DEP_4)
	v_ashrrev_i32_e32 v2, 31, v5
	v_and_b32_e32 v0, v0, v3
	; wave barrier
	ds_load_b32 v30, v1 offset:16
	v_add_nc_u32_e32 v32, 16, v1
	v_xor_b32_e32 v2, s11, v2
	v_and_b32_e32 v0, v0, v4
	; wave barrier
	s_delay_alu instid0(VALU_DEP_1) | instskip(NEXT) | instid1(VALU_DEP_1)
	v_and_b32_e32 v0, v0, v2
	v_mbcnt_lo_u32_b32 v31, v0, 0
	v_cmp_ne_u32_e64 s12, 0, v0
	s_delay_alu instid0(VALU_DEP_2) | instskip(NEXT) | instid1(VALU_DEP_1)
	v_cmp_eq_u32_e64 s11, 0, v31
	s_and_b32 s12, s12, s11
	s_delay_alu instid0(SALU_CYCLE_1)
	s_and_saveexec_b32 s11, s12
	s_cbranch_execz .LBB251_6
; %bb.5:                                ;   in Loop: Header=BB251_2 Depth=1
	s_waitcnt lgkmcnt(0)
	v_bcnt_u32_b32 v0, v0, v30
	ds_store_b32 v32, v0
.LBB251_6:                              ;   in Loop: Header=BB251_2 Depth=1
	s_or_b32 exec_lo, exec_lo, s11
	v_and_b32_e32 v0, 1, v24
	v_lshlrev_b32_e32 v2, 30, v24
	v_lshlrev_b32_e32 v4, 29, v24
	;; [unrolled: 1-line block ×4, first 2 shown]
	v_add_co_u32 v0, s11, v0, -1
	s_delay_alu instid0(VALU_DEP_1)
	v_cndmask_b32_e64 v3, 0, 1, s11
	v_not_b32_e32 v7, v2
	v_cmp_gt_i32_e64 s12, 0, v2
	v_not_b32_e32 v2, v4
	v_and_b32_e32 v1, 0xff, v24
	v_cmp_ne_u32_e64 s11, 0, v3
	v_ashrrev_i32_e32 v7, 31, v7
	v_lshlrev_b32_e32 v3, 26, v24
	v_ashrrev_i32_e32 v2, 31, v2
	v_lshlrev_b32_e32 v1, 2, v1
	v_xor_b32_e32 v0, s11, v0
	v_cmp_gt_i32_e64 s11, 0, v4
	v_not_b32_e32 v4, v5
	v_xor_b32_e32 v7, s12, v7
	v_cmp_gt_i32_e64 s12, 0, v5
	v_and_b32_e32 v0, exec_lo, v0
	v_not_b32_e32 v5, v6
	v_ashrrev_i32_e32 v4, 31, v4
	v_xor_b32_e32 v2, s11, v2
	v_cmp_gt_i32_e64 s11, 0, v6
	v_and_b32_e32 v0, v0, v7
	v_lshlrev_b32_e32 v7, 25, v24
	v_ashrrev_i32_e32 v5, 31, v5
	v_xor_b32_e32 v4, s12, v4
	v_not_b32_e32 v6, v3
	v_and_b32_e32 v0, v0, v2
	v_lshlrev_b32_e32 v2, 24, v24
	v_not_b32_e32 v33, v7
	v_xor_b32_e32 v5, s11, v5
	v_cmp_gt_i32_e64 s11, 0, v3
	v_and_b32_e32 v0, v0, v4
	v_ashrrev_i32_e32 v3, 31, v6
	v_cmp_gt_i32_e64 s12, 0, v7
	v_ashrrev_i32_e32 v4, 31, v33
	v_add_lshl_u32 v1, v20, v1, 2
	v_and_b32_e32 v0, v0, v5
	v_not_b32_e32 v5, v2
	v_xor_b32_e32 v3, s11, v3
	v_xor_b32_e32 v4, s12, v4
	v_cmp_gt_i32_e64 s11, 0, v2
	s_delay_alu instid0(VALU_DEP_4) | instskip(NEXT) | instid1(VALU_DEP_4)
	v_ashrrev_i32_e32 v2, 31, v5
	v_and_b32_e32 v0, v0, v3
	; wave barrier
	ds_load_b32 v33, v1 offset:16
	v_add_nc_u32_e32 v35, 16, v1
	v_xor_b32_e32 v2, s11, v2
	v_and_b32_e32 v0, v0, v4
	; wave barrier
	s_delay_alu instid0(VALU_DEP_1) | instskip(NEXT) | instid1(VALU_DEP_1)
	v_and_b32_e32 v0, v0, v2
	v_mbcnt_lo_u32_b32 v34, v0, 0
	v_cmp_ne_u32_e64 s12, 0, v0
	s_delay_alu instid0(VALU_DEP_2) | instskip(NEXT) | instid1(VALU_DEP_1)
	v_cmp_eq_u32_e64 s11, 0, v34
	s_and_b32 s12, s12, s11
	s_delay_alu instid0(SALU_CYCLE_1)
	s_and_saveexec_b32 s11, s12
	s_cbranch_execz .LBB251_8
; %bb.7:                                ;   in Loop: Header=BB251_2 Depth=1
	s_waitcnt lgkmcnt(0)
	v_bcnt_u32_b32 v0, v0, v33
	ds_store_b32 v35, v0
.LBB251_8:                              ;   in Loop: Header=BB251_2 Depth=1
	s_or_b32 exec_lo, exec_lo, s11
	; wave barrier
	s_waitcnt lgkmcnt(0)
	s_barrier
	buffer_gl0_inv
	ds_load_2addr_b64 v[4:7], v13 offset0:2 offset1:3
	ds_load_2addr_b64 v[0:3], v14 offset0:2 offset1:3
	s_waitcnt lgkmcnt(1)
	v_add_nc_u32_e32 v36, v5, v4
	s_delay_alu instid0(VALU_DEP_1) | instskip(SKIP_1) | instid1(VALU_DEP_1)
	v_add3_u32 v36, v36, v6, v7
	s_waitcnt lgkmcnt(0)
	v_add3_u32 v36, v36, v0, v1
	s_delay_alu instid0(VALU_DEP_1) | instskip(NEXT) | instid1(VALU_DEP_1)
	v_add3_u32 v3, v36, v2, v3
	v_mov_b32_dpp v36, v3 row_shr:1 row_mask:0xf bank_mask:0xf
	s_delay_alu instid0(VALU_DEP_1) | instskip(NEXT) | instid1(VALU_DEP_1)
	v_cndmask_b32_e64 v36, v36, 0, s0
	v_add_nc_u32_e32 v3, v36, v3
	s_delay_alu instid0(VALU_DEP_1) | instskip(NEXT) | instid1(VALU_DEP_1)
	v_mov_b32_dpp v36, v3 row_shr:2 row_mask:0xf bank_mask:0xf
	v_cndmask_b32_e64 v36, 0, v36, s1
	s_delay_alu instid0(VALU_DEP_1) | instskip(NEXT) | instid1(VALU_DEP_1)
	v_add_nc_u32_e32 v3, v3, v36
	v_mov_b32_dpp v36, v3 row_shr:4 row_mask:0xf bank_mask:0xf
	s_delay_alu instid0(VALU_DEP_1) | instskip(NEXT) | instid1(VALU_DEP_1)
	v_cndmask_b32_e64 v36, 0, v36, s2
	v_add_nc_u32_e32 v3, v3, v36
	s_delay_alu instid0(VALU_DEP_1) | instskip(NEXT) | instid1(VALU_DEP_1)
	v_mov_b32_dpp v36, v3 row_shr:8 row_mask:0xf bank_mask:0xf
	v_cndmask_b32_e64 v36, 0, v36, s3
	s_delay_alu instid0(VALU_DEP_1) | instskip(SKIP_3) | instid1(VALU_DEP_1)
	v_add_nc_u32_e32 v3, v3, v36
	ds_swizzle_b32 v36, v3 offset:swizzle(BROADCAST,32,15)
	s_waitcnt lgkmcnt(0)
	v_cndmask_b32_e64 v36, v36, 0, s4
	v_add_nc_u32_e32 v3, v3, v36
	s_and_saveexec_b32 s11, s10
	s_cbranch_execz .LBB251_10
; %bb.9:                                ;   in Loop: Header=BB251_2 Depth=1
	ds_store_b32 v16, v3
.LBB251_10:                             ;   in Loop: Header=BB251_2 Depth=1
	s_or_b32 exec_lo, exec_lo, s11
	s_waitcnt lgkmcnt(0)
	s_barrier
	buffer_gl0_inv
	s_and_saveexec_b32 s11, s5
	s_cbranch_execz .LBB251_12
; %bb.11:                               ;   in Loop: Header=BB251_2 Depth=1
	ds_load_b32 v36, v21
	s_waitcnt lgkmcnt(0)
	v_mov_b32_dpp v37, v36 row_shr:1 row_mask:0xf bank_mask:0xf
	s_delay_alu instid0(VALU_DEP_1) | instskip(NEXT) | instid1(VALU_DEP_1)
	v_cndmask_b32_e64 v37, v37, 0, s8
	v_add_nc_u32_e32 v36, v37, v36
	s_delay_alu instid0(VALU_DEP_1) | instskip(NEXT) | instid1(VALU_DEP_1)
	v_mov_b32_dpp v37, v36 row_shr:2 row_mask:0xf bank_mask:0xf
	v_cndmask_b32_e64 v37, 0, v37, s9
	s_delay_alu instid0(VALU_DEP_1)
	v_add_nc_u32_e32 v36, v36, v37
	ds_store_b32 v21, v36
.LBB251_12:                             ;   in Loop: Header=BB251_2 Depth=1
	s_or_b32 exec_lo, exec_lo, s11
	v_mov_b32_e32 v36, 0
	s_waitcnt lgkmcnt(0)
	s_barrier
	buffer_gl0_inv
	s_and_saveexec_b32 s11, s6
	s_cbranch_execz .LBB251_1
; %bb.13:                               ;   in Loop: Header=BB251_2 Depth=1
	ds_load_b32 v36, v18
	s_branch .LBB251_1
.LBB251_14:
	v_add_nc_u16 v0, v5, v3
	v_add_nc_u16 v1, v4, v1
	;; [unrolled: 1-line block ×3, first 2 shown]
	s_add_u32 s0, s18, s13
	s_addc_u32 s1, s19, 0
	s_clause 0x2
	global_store_b8 v8, v0, s[0:1]
	global_store_b8 v8, v1, s[0:1] offset:128
	global_store_b8 v8, v2, s[0:1] offset:256
	s_nop 0
	s_sendmsg sendmsg(MSG_DEALLOC_VGPRS)
	s_endpgm
	.section	.rodata,"a",@progbits
	.p2align	6, 0x0
	.amdhsa_kernel _Z17sort_pairs_kernelI22helper_blocked_stripedaLj128ELj3ELj10EEvPKT0_PS1_
		.amdhsa_group_segment_fixed_size 4112
		.amdhsa_private_segment_fixed_size 0
		.amdhsa_kernarg_size 272
		.amdhsa_user_sgpr_count 15
		.amdhsa_user_sgpr_dispatch_ptr 0
		.amdhsa_user_sgpr_queue_ptr 0
		.amdhsa_user_sgpr_kernarg_segment_ptr 1
		.amdhsa_user_sgpr_dispatch_id 0
		.amdhsa_user_sgpr_private_segment_size 0
		.amdhsa_wavefront_size32 1
		.amdhsa_uses_dynamic_stack 0
		.amdhsa_enable_private_segment 0
		.amdhsa_system_sgpr_workgroup_id_x 1
		.amdhsa_system_sgpr_workgroup_id_y 0
		.amdhsa_system_sgpr_workgroup_id_z 0
		.amdhsa_system_sgpr_workgroup_info 0
		.amdhsa_system_vgpr_workitem_id 2
		.amdhsa_next_free_vgpr 38
		.amdhsa_next_free_sgpr 20
		.amdhsa_reserve_vcc 1
		.amdhsa_float_round_mode_32 0
		.amdhsa_float_round_mode_16_64 0
		.amdhsa_float_denorm_mode_32 3
		.amdhsa_float_denorm_mode_16_64 3
		.amdhsa_dx10_clamp 1
		.amdhsa_ieee_mode 1
		.amdhsa_fp16_overflow 0
		.amdhsa_workgroup_processor_mode 1
		.amdhsa_memory_ordered 1
		.amdhsa_forward_progress 0
		.amdhsa_shared_vgpr_count 0
		.amdhsa_exception_fp_ieee_invalid_op 0
		.amdhsa_exception_fp_denorm_src 0
		.amdhsa_exception_fp_ieee_div_zero 0
		.amdhsa_exception_fp_ieee_overflow 0
		.amdhsa_exception_fp_ieee_underflow 0
		.amdhsa_exception_fp_ieee_inexact 0
		.amdhsa_exception_int_div_zero 0
	.end_amdhsa_kernel
	.section	.text._Z17sort_pairs_kernelI22helper_blocked_stripedaLj128ELj3ELj10EEvPKT0_PS1_,"axG",@progbits,_Z17sort_pairs_kernelI22helper_blocked_stripedaLj128ELj3ELj10EEvPKT0_PS1_,comdat
.Lfunc_end251:
	.size	_Z17sort_pairs_kernelI22helper_blocked_stripedaLj128ELj3ELj10EEvPKT0_PS1_, .Lfunc_end251-_Z17sort_pairs_kernelI22helper_blocked_stripedaLj128ELj3ELj10EEvPKT0_PS1_
                                        ; -- End function
	.section	.AMDGPU.csdata,"",@progbits
; Kernel info:
; codeLenInByte = 2576
; NumSgprs: 22
; NumVgprs: 38
; ScratchSize: 0
; MemoryBound: 0
; FloatMode: 240
; IeeeMode: 1
; LDSByteSize: 4112 bytes/workgroup (compile time only)
; SGPRBlocks: 2
; VGPRBlocks: 4
; NumSGPRsForWavesPerEU: 22
; NumVGPRsForWavesPerEU: 38
; Occupancy: 16
; WaveLimiterHint : 1
; COMPUTE_PGM_RSRC2:SCRATCH_EN: 0
; COMPUTE_PGM_RSRC2:USER_SGPR: 15
; COMPUTE_PGM_RSRC2:TRAP_HANDLER: 0
; COMPUTE_PGM_RSRC2:TGID_X_EN: 1
; COMPUTE_PGM_RSRC2:TGID_Y_EN: 0
; COMPUTE_PGM_RSRC2:TGID_Z_EN: 0
; COMPUTE_PGM_RSRC2:TIDIG_COMP_CNT: 2
	.section	.text._Z16sort_keys_kernelI22helper_blocked_stripedaLj128ELj4ELj10EEvPKT0_PS1_,"axG",@progbits,_Z16sort_keys_kernelI22helper_blocked_stripedaLj128ELj4ELj10EEvPKT0_PS1_,comdat
	.protected	_Z16sort_keys_kernelI22helper_blocked_stripedaLj128ELj4ELj10EEvPKT0_PS1_ ; -- Begin function _Z16sort_keys_kernelI22helper_blocked_stripedaLj128ELj4ELj10EEvPKT0_PS1_
	.globl	_Z16sort_keys_kernelI22helper_blocked_stripedaLj128ELj4ELj10EEvPKT0_PS1_
	.p2align	8
	.type	_Z16sort_keys_kernelI22helper_blocked_stripedaLj128ELj4ELj10EEvPKT0_PS1_,@function
_Z16sort_keys_kernelI22helper_blocked_stripedaLj128ELj4ELj10EEvPKT0_PS1_: ; @_Z16sort_keys_kernelI22helper_blocked_stripedaLj128ELj4ELj10EEvPKT0_PS1_
; %bb.0:
	s_clause 0x1
	s_load_b128 s[16:19], s[0:1], 0x0
	s_load_b32 s2, s[0:1], 0x1c
	s_mov_b32 s14, 0
	s_lshl_b32 s20, s15, 9
	s_mov_b32 s15, s14
	v_and_b32_e32 v8, 0x3ff, v0
	v_bfe_u32 v2, v0, 10, 10
	v_bfe_u32 v0, v0, 20, 10
	v_mbcnt_lo_u32_b32 v4, -1, 0
	s_delay_alu instid0(VALU_DEP_4) | instskip(NEXT) | instid1(VALU_DEP_2)
	v_lshlrev_b32_e32 v1, 2, v8
	v_and_b32_e32 v13, 28, v4
	v_cmp_eq_u32_e64 s11, 0, v4
	s_delay_alu instid0(VALU_DEP_2)
	v_or_b32_e32 v15, 32, v13
	v_or_b32_e32 v16, 64, v13
	s_waitcnt lgkmcnt(0)
	s_add_u32 s0, s16, s20
	s_addc_u32 s1, s17, 0
	s_mov_b32 s16, s14
	global_load_b32 v1, v1, s[0:1]
	s_lshr_b32 s1, s2, 16
	s_and_b32 s2, s2, 0xffff
	v_mad_u32_u24 v0, v0, s1, v2
	s_mov_b32 s17, s14
	v_and_b32_e32 v5, 3, v4
	v_or_b32_e32 v17, 0x60, v13
	v_dual_mov_b32 v11, s16 :: v_dual_mov_b32 v12, s17
	v_mad_u64_u32 v[2:3], null, v0, s2, v[8:9]
	v_add_nc_u32_e32 v3, -1, v4
	v_dual_mov_b32 v9, s14 :: v_dual_and_b32 v0, 15, v4
	v_lshlrev_b32_e32 v14, 5, v8
	v_cmp_eq_u32_e32 vcc_lo, 3, v5
	s_delay_alu instid0(VALU_DEP_4)
	v_cmp_gt_i32_e64 s8, 0, v3
	v_lshrrev_b32_e32 v19, 5, v2
	v_and_b32_e32 v2, 16, v4
	v_cmp_eq_u32_e64 s3, 0, v0
	v_cmp_lt_u32_e64 s4, 1, v0
	v_cmp_lt_u32_e64 s5, 3, v0
	;; [unrolled: 1-line block ×3, first 2 shown]
	v_or_b32_e32 v0, 31, v8
	v_cmp_eq_u32_e64 s7, 0, v2
	v_cndmask_b32_e64 v2, v3, v4, s8
	v_lshrrev_b32_e32 v3, 3, v8
	v_cmp_eq_u32_e64 s0, 2, v5
	v_cmp_eq_u32_e64 s8, v0, v8
	v_mul_u32_u24_e32 v0, 3, v8
	v_cmp_eq_u32_e64 s1, 1, v5
	v_and_b32_e32 v21, 12, v3
	v_cmp_eq_u32_e64 s2, 0, v5
	v_or_b32_e32 v18, 16, v14
	v_cmp_gt_u32_e64 s9, 4, v8
	v_cmp_lt_u32_e64 s10, 31, v8
	v_lshlrev_b32_e32 v20, 2, v2
	v_cmp_eq_u32_e64 s12, 0, v8
	v_cmp_lt_u32_e64 s13, 1, v5
	v_add_nc_u32_e32 v22, -4, v21
	v_dual_mov_b32 v10, s15 :: v_dual_add_nc_u32 v23, v8, v0
	s_mov_b32 s16, 10
	s_branch .LBB252_2
.LBB252_1:                              ;   in Loop: Header=BB252_2 Depth=1
	s_or_b32 exec_lo, exec_lo, s14
	s_waitcnt lgkmcnt(0)
	v_add_nc_u32_e32 v3, v39, v3
	s_add_i32 s16, s16, -1
	s_delay_alu instid0(SALU_CYCLE_1) | instskip(SKIP_3) | instid1(VALU_DEP_1)
	s_cmp_eq_u32 s16, 0
	ds_bpermute_b32 v3, v20, v3
	s_waitcnt lgkmcnt(0)
	v_cndmask_b32_e64 v3, v3, v39, s11
	v_cndmask_b32_e64 v3, v3, 0, s12
	s_delay_alu instid0(VALU_DEP_1) | instskip(NEXT) | instid1(VALU_DEP_1)
	v_add_nc_u32_e32 v4, v3, v4
	v_add_nc_u32_e32 v5, v4, v5
	s_delay_alu instid0(VALU_DEP_1) | instskip(NEXT) | instid1(VALU_DEP_1)
	v_add_nc_u32_e32 v6, v5, v6
	v_add_nc_u32_e32 v39, v6, v7
	s_delay_alu instid0(VALU_DEP_1) | instskip(NEXT) | instid1(VALU_DEP_1)
	v_add_nc_u32_e32 v40, v39, v0
	v_add_nc_u32_e32 v0, v40, v1
	s_delay_alu instid0(VALU_DEP_1)
	v_add_nc_u32_e32 v1, v0, v2
	ds_store_2addr_b64 v14, v[3:4], v[5:6] offset0:2 offset1:3
	ds_store_2addr_b64 v18, v[39:40], v[0:1] offset0:2 offset1:3
	s_waitcnt lgkmcnt(0)
	s_barrier
	buffer_gl0_inv
	ds_load_b32 v0, v26
	ds_load_b32 v1, v30
	;; [unrolled: 1-line block ×4, first 2 shown]
	s_waitcnt lgkmcnt(0)
	s_barrier
	buffer_gl0_inv
	v_add_nc_u32_e32 v0, v0, v25
	v_add3_u32 v1, v29, v28, v1
	v_add3_u32 v2, v33, v32, v2
	;; [unrolled: 1-line block ×3, first 2 shown]
	ds_store_b8 v0, v24
	ds_store_b8 v1, v27
	;; [unrolled: 1-line block ×4, first 2 shown]
	s_waitcnt lgkmcnt(0)
	s_barrier
	buffer_gl0_inv
	ds_load_u8 v0, v8 offset:128
	ds_load_u8 v1, v8
	ds_load_u8 v2, v8 offset:384
	ds_load_u8 v4, v8 offset:256
	s_waitcnt lgkmcnt(3)
	v_xor_b32_e32 v0, 0xffffff80, v0
	s_waitcnt lgkmcnt(2)
	v_xor_b32_e32 v3, 0xffffff80, v1
	;; [unrolled: 2-line block ×4, first 2 shown]
	v_lshlrev_b16 v1, 8, v0
	v_and_b32_e32 v5, 0xff, v3
	v_lshlrev_b16 v6, 8, v2
	s_delay_alu instid0(VALU_DEP_4) | instskip(NEXT) | instid1(VALU_DEP_3)
	v_and_b32_e32 v7, 0xff, v4
	v_or_b32_e32 v1, v5, v1
	s_delay_alu instid0(VALU_DEP_2) | instskip(NEXT) | instid1(VALU_DEP_2)
	v_or_b32_e32 v5, v7, v6
	v_and_b32_e32 v1, 0xffff, v1
	s_delay_alu instid0(VALU_DEP_2) | instskip(NEXT) | instid1(VALU_DEP_1)
	v_lshlrev_b32_e32 v5, 16, v5
	v_or_b32_e32 v1, v1, v5
	s_cbranch_scc1 .LBB252_16
.LBB252_2:                              ; =>This Inner Loop Header: Depth=1
	s_waitcnt vmcnt(0)
	s_delay_alu instid0(VALU_DEP_1) | instskip(SKIP_3) | instid1(VALU_DEP_4)
	v_lshrrev_b32_e32 v0, 8, v1
	v_xor_b32_e32 v2, 0x80, v1
	v_lshrrev_b32_e32 v3, 16, v1
	v_lshrrev_b32_e32 v1, 24, v1
	v_xor_b32_e32 v0, 0x80, v0
	s_delay_alu instid0(VALU_DEP_4) | instskip(NEXT) | instid1(VALU_DEP_4)
	v_and_b32_e32 v2, 0xff, v2
	v_xor_b32_e32 v3, 0x80, v3
	s_delay_alu instid0(VALU_DEP_4)
	v_xor_b32_e32 v1, 0x80, v1
	s_barrier
	v_and_b32_e32 v0, 0xff, v0
	ds_bpermute_b32 v4, v13, v2
	v_and_b32_e32 v3, 0xff, v3
	v_and_b32_e32 v1, 0xffff, v1
	s_waitcnt lgkmcnt(0)
	buffer_gl0_inv
	ds_bpermute_b32 v5, v13, v0
	ds_store_2addr_b64 v14, v[9:10], v[11:12] offset0:2 offset1:3
	ds_store_2addr_b64 v18, v[9:10], v[11:12] offset0:2 offset1:3
	ds_bpermute_b32 v6, v13, v3
	ds_bpermute_b32 v7, v13, v1
	s_waitcnt lgkmcnt(0)
	s_barrier
	buffer_gl0_inv
	; wave barrier
	v_perm_b32 v5, v5, v4, 0x3020104
	s_delay_alu instid0(VALU_DEP_1) | instskip(SKIP_2) | instid1(VALU_DEP_1)
	v_cndmask_b32_e64 v4, v4, v5, s1
	ds_bpermute_b32 v5, v15, v2
	v_perm_b32 v6, v6, v4, 0x3020104
	v_cndmask_b32_e64 v4, v4, v6, s0
	s_delay_alu instid0(VALU_DEP_1) | instskip(SKIP_4) | instid1(VALU_DEP_2)
	v_perm_b32 v6, v7, v4, 0x3020104
	ds_bpermute_b32 v7, v15, v0
	v_cndmask_b32_e32 v4, v4, v6, vcc_lo
	s_waitcnt lgkmcnt(1)
	v_lshlrev_b16 v5, 8, v5
	v_and_b32_e32 v6, 0xff, v4
	s_delay_alu instid0(VALU_DEP_1) | instskip(NEXT) | instid1(VALU_DEP_1)
	v_or_b32_e32 v5, v6, v5
	v_and_b32_e32 v5, 0xffff, v5
	s_delay_alu instid0(VALU_DEP_1) | instskip(NEXT) | instid1(VALU_DEP_1)
	v_and_or_b32 v5, 0xffff0000, v4, v5
	v_cndmask_b32_e64 v4, v4, v5, s2
	s_waitcnt lgkmcnt(0)
	v_lshlrev_b16 v5, 8, v7
	ds_bpermute_b32 v7, v15, v3
	v_and_b32_e32 v6, 0xff, v4
	s_delay_alu instid0(VALU_DEP_1) | instskip(NEXT) | instid1(VALU_DEP_1)
	v_or_b32_e32 v5, v6, v5
	v_and_b32_e32 v5, 0xffff, v5
	s_delay_alu instid0(VALU_DEP_1) | instskip(NEXT) | instid1(VALU_DEP_1)
	v_and_or_b32 v5, 0xffff0000, v4, v5
	v_cndmask_b32_e64 v4, v4, v5, s1
	s_waitcnt lgkmcnt(0)
	v_lshlrev_b16 v5, 8, v7
	ds_bpermute_b32 v7, v15, v1
	v_and_b32_e32 v6, 0xff, v4
	s_delay_alu instid0(VALU_DEP_1) | instskip(NEXT) | instid1(VALU_DEP_1)
	v_or_b32_e32 v5, v6, v5
	v_and_b32_e32 v5, 0xffff, v5
	s_delay_alu instid0(VALU_DEP_1) | instskip(NEXT) | instid1(VALU_DEP_1)
	v_and_or_b32 v5, 0xffff0000, v4, v5
	v_cndmask_b32_e64 v4, v4, v5, s0
	s_waitcnt lgkmcnt(0)
	v_lshlrev_b16 v5, 8, v7
	s_delay_alu instid0(VALU_DEP_2) | instskip(NEXT) | instid1(VALU_DEP_1)
	v_and_b32_e32 v6, 0xff, v4
	v_or_b32_e32 v5, v6, v5
	ds_bpermute_b32 v6, v16, v2
	ds_bpermute_b32 v2, v17, v2
	v_and_b32_e32 v5, 0xffff, v5
	s_delay_alu instid0(VALU_DEP_1) | instskip(NEXT) | instid1(VALU_DEP_1)
	v_and_or_b32 v5, 0xffff0000, v4, v5
	v_cndmask_b32_e32 v4, v4, v5, vcc_lo
	s_delay_alu instid0(VALU_DEP_1)
	v_lshrrev_b32_e32 v5, 16, v4
	s_waitcnt lgkmcnt(1)
	v_and_b32_e32 v6, 0xff, v6
	s_waitcnt lgkmcnt(0)
	v_lshlrev_b16 v2, 8, v2
	v_and_b32_e32 v5, 0xffffff00, v5
	s_delay_alu instid0(VALU_DEP_1) | instskip(SKIP_3) | instid1(VALU_DEP_1)
	v_or_b32_e32 v5, v6, v5
	ds_bpermute_b32 v6, v16, v0
	ds_bpermute_b32 v0, v17, v0
	v_lshlrev_b32_e32 v5, 16, v5
	v_and_or_b32 v5, 0xffff, v4, v5
	s_delay_alu instid0(VALU_DEP_1) | instskip(NEXT) | instid1(VALU_DEP_1)
	v_cndmask_b32_e64 v4, v4, v5, s2
	v_lshrrev_b32_e32 v5, 16, v4
	s_waitcnt lgkmcnt(1)
	v_and_b32_e32 v6, 0xff, v6
	s_waitcnt lgkmcnt(0)
	v_lshlrev_b16 v0, 8, v0
	v_and_b32_e32 v5, 0xffffff00, v5
	s_delay_alu instid0(VALU_DEP_1) | instskip(SKIP_3) | instid1(VALU_DEP_1)
	v_or_b32_e32 v5, v6, v5
	ds_bpermute_b32 v6, v16, v3
	ds_bpermute_b32 v3, v17, v3
	v_lshlrev_b32_e32 v5, 16, v5
	v_and_or_b32 v5, 0xffff, v4, v5
	s_delay_alu instid0(VALU_DEP_1) | instskip(NEXT) | instid1(VALU_DEP_1)
	v_cndmask_b32_e64 v4, v4, v5, s1
	;; [unrolled: 14-line block ×3, first 2 shown]
	v_lshrrev_b32_e32 v5, 16, v4
	s_waitcnt lgkmcnt(1)
	v_and_b32_e32 v6, 0xff, v6
	s_waitcnt lgkmcnt(0)
	v_lshlrev_b16 v1, 8, v1
	v_and_b32_e32 v5, 0xffffff00, v5
	s_delay_alu instid0(VALU_DEP_1) | instskip(NEXT) | instid1(VALU_DEP_1)
	v_or_b32_e32 v5, v6, v5
	v_lshlrev_b32_e32 v5, 16, v5
	s_delay_alu instid0(VALU_DEP_1) | instskip(NEXT) | instid1(VALU_DEP_1)
	v_and_or_b32 v5, 0xffff, v4, v5
	v_cndmask_b32_e32 v4, v4, v5, vcc_lo
	s_delay_alu instid0(VALU_DEP_1) | instskip(NEXT) | instid1(VALU_DEP_1)
	v_lshrrev_b32_e32 v5, 16, v4
	v_and_b32_e32 v5, 0xff, v5
	s_delay_alu instid0(VALU_DEP_1) | instskip(NEXT) | instid1(VALU_DEP_1)
	v_or_b32_e32 v2, v5, v2
	v_lshlrev_b32_e32 v2, 16, v2
	s_delay_alu instid0(VALU_DEP_1) | instskip(NEXT) | instid1(VALU_DEP_1)
	v_and_or_b32 v2, 0xffff, v4, v2
	v_cndmask_b32_e64 v2, v4, v2, s2
	s_delay_alu instid0(VALU_DEP_1) | instskip(NEXT) | instid1(VALU_DEP_1)
	v_lshrrev_b32_e32 v4, 16, v2
	v_and_b32_e32 v4, 0xff, v4
	s_delay_alu instid0(VALU_DEP_1) | instskip(NEXT) | instid1(VALU_DEP_1)
	v_or_b32_e32 v0, v4, v0
	v_lshlrev_b32_e32 v0, 16, v0
	s_delay_alu instid0(VALU_DEP_1) | instskip(NEXT) | instid1(VALU_DEP_1)
	v_and_or_b32 v0, 0xffff, v2, v0
	v_cndmask_b32_e64 v0, v2, v0, s1
	;; [unrolled: 9-line block ×3, first 2 shown]
	s_delay_alu instid0(VALU_DEP_1) | instskip(NEXT) | instid1(VALU_DEP_1)
	v_lshrrev_b32_e32 v2, 16, v0
	v_and_b32_e32 v2, 0xff, v2
	s_delay_alu instid0(VALU_DEP_1) | instskip(NEXT) | instid1(VALU_DEP_1)
	v_or_b32_e32 v1, v2, v1
	v_lshlrev_b32_e32 v1, 16, v1
	s_delay_alu instid0(VALU_DEP_1) | instskip(NEXT) | instid1(VALU_DEP_1)
	v_and_or_b32 v1, 0xffff, v0, v1
	v_cndmask_b32_e32 v24, v0, v1, vcc_lo
	s_delay_alu instid0(VALU_DEP_1)
	v_lshlrev_b32_e32 v3, 28, v24
	v_and_b32_e32 v0, 1, v24
	v_lshlrev_b32_e32 v1, 30, v24
	v_lshlrev_b32_e32 v2, 29, v24
	v_lshlrev_b32_e32 v5, 27, v24
	v_lshlrev_b32_e32 v6, 26, v24
	v_add_co_u32 v0, s14, v0, -1
	s_delay_alu instid0(VALU_DEP_1)
	v_cndmask_b32_e64 v4, 0, 1, s14
	v_not_b32_e32 v25, v1
	v_cmp_gt_i32_e64 s15, 0, v1
	v_not_b32_e32 v1, v2
	v_lshlrev_b32_e32 v7, 25, v24
	v_cmp_ne_u32_e64 s14, 0, v4
	v_ashrrev_i32_e32 v25, 31, v25
	v_lshlrev_b32_e32 v4, 24, v24
	v_ashrrev_i32_e32 v1, 31, v1
	s_delay_alu instid0(VALU_DEP_4)
	v_xor_b32_e32 v0, s14, v0
	v_cmp_gt_i32_e64 s14, 0, v2
	v_not_b32_e32 v2, v3
	v_xor_b32_e32 v25, s15, v25
	v_cmp_gt_i32_e64 s15, 0, v3
	v_and_b32_e32 v0, exec_lo, v0
	v_not_b32_e32 v3, v5
	v_ashrrev_i32_e32 v2, 31, v2
	v_xor_b32_e32 v1, s14, v1
	v_cmp_gt_i32_e64 s14, 0, v5
	v_and_b32_e32 v0, v0, v25
	v_not_b32_e32 v5, v6
	v_ashrrev_i32_e32 v3, 31, v3
	v_xor_b32_e32 v2, s15, v2
	v_cmp_gt_i32_e64 s15, 0, v6
	v_and_b32_e32 v0, v0, v1
	;; [unrolled: 5-line block ×4, first 2 shown]
	v_ashrrev_i32_e32 v2, 31, v2
	v_xor_b32_e32 v1, s14, v1
	s_delay_alu instid0(VALU_DEP_3) | instskip(NEXT) | instid1(VALU_DEP_3)
	v_and_b32_e32 v0, v0, v5
	v_xor_b32_e32 v2, s15, v2
	s_delay_alu instid0(VALU_DEP_2) | instskip(SKIP_1) | instid1(VALU_DEP_2)
	v_and_b32_e32 v0, v0, v1
	v_and_b32_e32 v1, 0xff, v24
	;; [unrolled: 1-line block ×3, first 2 shown]
	s_delay_alu instid0(VALU_DEP_2) | instskip(NEXT) | instid1(VALU_DEP_2)
	v_lshl_add_u32 v1, v1, 2, v19
	v_mbcnt_lo_u32_b32 v25, v0, 0
	v_cmp_ne_u32_e64 s15, 0, v0
	s_delay_alu instid0(VALU_DEP_3) | instskip(NEXT) | instid1(VALU_DEP_3)
	v_lshl_add_u32 v26, v1, 2, 16
	v_cmp_eq_u32_e64 s14, 0, v25
	s_delay_alu instid0(VALU_DEP_1) | instskip(NEXT) | instid1(SALU_CYCLE_1)
	s_and_b32 s15, s14, s15
	s_and_saveexec_b32 s14, s15
	s_cbranch_execz .LBB252_4
; %bb.3:                                ;   in Loop: Header=BB252_2 Depth=1
	v_bcnt_u32_b32 v0, v0, 0
	ds_store_b32 v26, v0
.LBB252_4:                              ;   in Loop: Header=BB252_2 Depth=1
	s_or_b32 exec_lo, exec_lo, s14
	v_bfe_u32 v0, v24, 8, 1
	v_lshrrev_b32_e32 v27, 8, v24
	; wave barrier
	s_delay_alu instid0(VALU_DEP_2) | instskip(NEXT) | instid1(VALU_DEP_1)
	v_add_co_u32 v0, s14, v0, -1
	v_cndmask_b32_e64 v1, 0, 1, s14
	s_delay_alu instid0(VALU_DEP_3)
	v_lshlrev_b32_e32 v2, 30, v27
	v_lshlrev_b32_e32 v3, 29, v27
	;; [unrolled: 1-line block ×4, first 2 shown]
	v_cmp_ne_u32_e64 s14, 0, v1
	v_not_b32_e32 v1, v2
	v_cmp_gt_i32_e64 s15, 0, v2
	v_not_b32_e32 v2, v3
	v_lshlrev_b32_e32 v6, 26, v27
	v_xor_b32_e32 v0, s14, v0
	v_ashrrev_i32_e32 v1, 31, v1
	v_cmp_gt_i32_e64 s14, 0, v3
	v_not_b32_e32 v3, v4
	v_ashrrev_i32_e32 v2, 31, v2
	v_and_b32_e32 v0, exec_lo, v0
	v_xor_b32_e32 v1, s15, v1
	v_cmp_gt_i32_e64 s15, 0, v4
	v_not_b32_e32 v4, v5
	v_ashrrev_i32_e32 v3, 31, v3
	v_xor_b32_e32 v2, s14, v2
	v_and_b32_e32 v0, v0, v1
	v_cmp_gt_i32_e64 s14, 0, v5
	v_not_b32_e32 v1, v6
	v_ashrrev_i32_e32 v4, 31, v4
	v_xor_b32_e32 v3, s15, v3
	v_and_b32_e32 v0, v0, v2
	v_lshlrev_b32_e32 v2, 25, v27
	v_cmp_gt_i32_e64 s15, 0, v6
	v_ashrrev_i32_e32 v1, 31, v1
	v_xor_b32_e32 v4, s14, v4
	v_and_b32_e32 v0, v0, v3
	v_not_b32_e32 v5, v2
	v_lshlrev_b32_e32 v6, 24, v27
	v_lshrrev_b32_e32 v3, 6, v24
	v_xor_b32_e32 v1, s15, v1
	v_and_b32_e32 v0, v0, v4
	v_cmp_gt_i32_e64 s14, 0, v2
	v_ashrrev_i32_e32 v2, 31, v5
	v_not_b32_e32 v4, v6
	v_and_b32_e32 v3, 0x3fc, v3
	v_and_b32_e32 v0, v0, v1
	s_delay_alu instid0(VALU_DEP_4) | instskip(SKIP_3) | instid1(VALU_DEP_4)
	v_xor_b32_e32 v1, s14, v2
	v_cmp_gt_i32_e64 s14, 0, v6
	v_ashrrev_i32_e32 v2, 31, v4
	v_add_lshl_u32 v3, v3, v19, 2
	v_and_b32_e32 v0, v0, v1
	s_delay_alu instid0(VALU_DEP_3) | instskip(SKIP_3) | instid1(VALU_DEP_1)
	v_xor_b32_e32 v1, s14, v2
	ds_load_b32 v28, v3 offset:16
	v_add_nc_u32_e32 v30, 16, v3
	; wave barrier
	v_and_b32_e32 v0, v0, v1
	v_mbcnt_lo_u32_b32 v29, v0, 0
	v_cmp_ne_u32_e64 s15, 0, v0
	s_delay_alu instid0(VALU_DEP_2) | instskip(NEXT) | instid1(VALU_DEP_1)
	v_cmp_eq_u32_e64 s14, 0, v29
	s_and_b32 s15, s15, s14
	s_delay_alu instid0(SALU_CYCLE_1)
	s_and_saveexec_b32 s14, s15
	s_cbranch_execz .LBB252_6
; %bb.5:                                ;   in Loop: Header=BB252_2 Depth=1
	s_waitcnt lgkmcnt(0)
	v_bcnt_u32_b32 v0, v0, v28
	ds_store_b32 v30, v0
.LBB252_6:                              ;   in Loop: Header=BB252_2 Depth=1
	s_or_b32 exec_lo, exec_lo, s14
	v_bfe_u32 v0, v24, 16, 1
	v_lshrrev_b32_e32 v31, 16, v24
	; wave barrier
	s_delay_alu instid0(VALU_DEP_2) | instskip(NEXT) | instid1(VALU_DEP_1)
	v_add_co_u32 v0, s14, v0, -1
	v_cndmask_b32_e64 v1, 0, 1, s14
	s_delay_alu instid0(VALU_DEP_3)
	v_lshlrev_b32_e32 v2, 30, v31
	v_lshlrev_b32_e32 v3, 29, v31
	;; [unrolled: 1-line block ×4, first 2 shown]
	v_cmp_ne_u32_e64 s14, 0, v1
	v_not_b32_e32 v1, v2
	v_cmp_gt_i32_e64 s15, 0, v2
	v_not_b32_e32 v2, v3
	v_lshlrev_b32_e32 v6, 26, v31
	v_xor_b32_e32 v0, s14, v0
	v_ashrrev_i32_e32 v1, 31, v1
	v_cmp_gt_i32_e64 s14, 0, v3
	v_not_b32_e32 v3, v4
	v_ashrrev_i32_e32 v2, 31, v2
	v_and_b32_e32 v0, exec_lo, v0
	v_xor_b32_e32 v1, s15, v1
	v_cmp_gt_i32_e64 s15, 0, v4
	v_not_b32_e32 v4, v5
	v_ashrrev_i32_e32 v3, 31, v3
	v_xor_b32_e32 v2, s14, v2
	v_and_b32_e32 v0, v0, v1
	v_cmp_gt_i32_e64 s14, 0, v5
	v_not_b32_e32 v1, v6
	v_ashrrev_i32_e32 v4, 31, v4
	v_xor_b32_e32 v3, s15, v3
	v_and_b32_e32 v0, v0, v2
	v_lshlrev_b32_e32 v2, 25, v31
	v_cmp_gt_i32_e64 s15, 0, v6
	v_ashrrev_i32_e32 v1, 31, v1
	v_xor_b32_e32 v4, s14, v4
	v_and_b32_e32 v0, v0, v3
	v_not_b32_e32 v5, v2
	v_lshlrev_b32_e32 v6, 24, v31
	v_lshrrev_b32_e32 v3, 14, v24
	v_xor_b32_e32 v1, s15, v1
	v_and_b32_e32 v0, v0, v4
	v_cmp_gt_i32_e64 s14, 0, v2
	v_ashrrev_i32_e32 v2, 31, v5
	v_not_b32_e32 v4, v6
	v_and_b32_e32 v3, 0x3fc, v3
	v_and_b32_e32 v0, v0, v1
	s_delay_alu instid0(VALU_DEP_4) | instskip(SKIP_3) | instid1(VALU_DEP_4)
	v_xor_b32_e32 v1, s14, v2
	v_cmp_gt_i32_e64 s14, 0, v6
	v_ashrrev_i32_e32 v2, 31, v4
	v_add_lshl_u32 v3, v3, v19, 2
	v_and_b32_e32 v0, v0, v1
	s_delay_alu instid0(VALU_DEP_3) | instskip(SKIP_3) | instid1(VALU_DEP_1)
	v_xor_b32_e32 v1, s14, v2
	ds_load_b32 v32, v3 offset:16
	v_add_nc_u32_e32 v34, 16, v3
	; wave barrier
	v_and_b32_e32 v0, v0, v1
	v_mbcnt_lo_u32_b32 v33, v0, 0
	v_cmp_ne_u32_e64 s15, 0, v0
	s_delay_alu instid0(VALU_DEP_2) | instskip(NEXT) | instid1(VALU_DEP_1)
	v_cmp_eq_u32_e64 s14, 0, v33
	s_and_b32 s15, s15, s14
	s_delay_alu instid0(SALU_CYCLE_1)
	s_and_saveexec_b32 s14, s15
	s_cbranch_execz .LBB252_8
; %bb.7:                                ;   in Loop: Header=BB252_2 Depth=1
	s_waitcnt lgkmcnt(0)
	v_bcnt_u32_b32 v0, v0, v32
	ds_store_b32 v34, v0
.LBB252_8:                              ;   in Loop: Header=BB252_2 Depth=1
	s_or_b32 exec_lo, exec_lo, s14
	v_bfe_u32 v0, v24, 24, 1
	v_lshrrev_b32_e32 v35, 24, v24
	; wave barrier
	s_delay_alu instid0(VALU_DEP_2) | instskip(NEXT) | instid1(VALU_DEP_1)
	v_add_co_u32 v0, s14, v0, -1
	v_cndmask_b32_e64 v1, 0, 1, s14
	s_delay_alu instid0(VALU_DEP_3)
	v_lshlrev_b32_e32 v2, 30, v35
	v_lshlrev_b32_e32 v3, 29, v35
	;; [unrolled: 1-line block ×4, first 2 shown]
	v_cmp_ne_u32_e64 s14, 0, v1
	v_not_b32_e32 v1, v2
	v_cmp_gt_i32_e64 s15, 0, v2
	v_not_b32_e32 v2, v3
	v_lshlrev_b32_e32 v6, 26, v35
	v_xor_b32_e32 v0, s14, v0
	v_ashrrev_i32_e32 v1, 31, v1
	v_cmp_gt_i32_e64 s14, 0, v3
	v_not_b32_e32 v3, v4
	v_ashrrev_i32_e32 v2, 31, v2
	v_and_b32_e32 v0, exec_lo, v0
	v_xor_b32_e32 v1, s15, v1
	v_cmp_gt_i32_e64 s15, 0, v4
	v_not_b32_e32 v4, v5
	v_ashrrev_i32_e32 v3, 31, v3
	v_xor_b32_e32 v2, s14, v2
	v_and_b32_e32 v0, v0, v1
	v_lshlrev_b32_e32 v1, 25, v35
	v_cmp_gt_i32_e64 s14, 0, v5
	v_ashrrev_i32_e32 v4, 31, v4
	v_xor_b32_e32 v3, s15, v3
	v_and_b32_e32 v0, v0, v2
	v_not_b32_e32 v5, v6
	v_not_b32_e32 v7, v1
	v_xor_b32_e32 v4, s14, v4
	v_cmp_gt_i32_e64 s14, 0, v6
	v_and_b32_e32 v0, v0, v3
	v_ashrrev_i32_e32 v3, 31, v5
	v_and_b32_e32 v2, 0xff000000, v24
	v_cmp_gt_i32_e64 s15, 0, v1
	v_ashrrev_i32_e32 v1, 31, v7
	v_and_b32_e32 v0, v0, v4
	v_not_b32_e32 v4, v24
	v_xor_b32_e32 v3, s14, v3
	v_lshlrev_b32_e32 v5, 2, v35
	v_xor_b32_e32 v1, s15, v1
	v_cmp_gt_i32_e64 s14, 0, v2
	v_ashrrev_i32_e32 v2, 31, v4
	v_and_b32_e32 v0, v0, v3
	v_add_lshl_u32 v3, v5, v19, 2
	s_delay_alu instid0(VALU_DEP_3) | instskip(NEXT) | instid1(VALU_DEP_3)
	v_xor_b32_e32 v2, s14, v2
	v_and_b32_e32 v0, v0, v1
	ds_load_b32 v36, v3 offset:16
	v_add_nc_u32_e32 v38, 16, v3
	; wave barrier
	v_and_b32_e32 v0, v0, v2
	s_delay_alu instid0(VALU_DEP_1) | instskip(SKIP_1) | instid1(VALU_DEP_2)
	v_mbcnt_lo_u32_b32 v37, v0, 0
	v_cmp_ne_u32_e64 s15, 0, v0
	v_cmp_eq_u32_e64 s14, 0, v37
	s_delay_alu instid0(VALU_DEP_1) | instskip(NEXT) | instid1(SALU_CYCLE_1)
	s_and_b32 s15, s15, s14
	s_and_saveexec_b32 s14, s15
	s_cbranch_execz .LBB252_10
; %bb.9:                                ;   in Loop: Header=BB252_2 Depth=1
	s_waitcnt lgkmcnt(0)
	v_bcnt_u32_b32 v0, v0, v36
	ds_store_b32 v38, v0
.LBB252_10:                             ;   in Loop: Header=BB252_2 Depth=1
	s_or_b32 exec_lo, exec_lo, s14
	; wave barrier
	s_waitcnt lgkmcnt(0)
	s_barrier
	buffer_gl0_inv
	ds_load_2addr_b64 v[4:7], v14 offset0:2 offset1:3
	ds_load_2addr_b64 v[0:3], v18 offset0:2 offset1:3
	s_waitcnt lgkmcnt(1)
	v_add_nc_u32_e32 v39, v5, v4
	s_delay_alu instid0(VALU_DEP_1) | instskip(SKIP_1) | instid1(VALU_DEP_1)
	v_add3_u32 v39, v39, v6, v7
	s_waitcnt lgkmcnt(0)
	v_add3_u32 v39, v39, v0, v1
	s_delay_alu instid0(VALU_DEP_1) | instskip(NEXT) | instid1(VALU_DEP_1)
	v_add3_u32 v3, v39, v2, v3
	v_mov_b32_dpp v39, v3 row_shr:1 row_mask:0xf bank_mask:0xf
	s_delay_alu instid0(VALU_DEP_1) | instskip(NEXT) | instid1(VALU_DEP_1)
	v_cndmask_b32_e64 v39, v39, 0, s3
	v_add_nc_u32_e32 v3, v39, v3
	s_delay_alu instid0(VALU_DEP_1) | instskip(NEXT) | instid1(VALU_DEP_1)
	v_mov_b32_dpp v39, v3 row_shr:2 row_mask:0xf bank_mask:0xf
	v_cndmask_b32_e64 v39, 0, v39, s4
	s_delay_alu instid0(VALU_DEP_1) | instskip(NEXT) | instid1(VALU_DEP_1)
	v_add_nc_u32_e32 v3, v3, v39
	v_mov_b32_dpp v39, v3 row_shr:4 row_mask:0xf bank_mask:0xf
	s_delay_alu instid0(VALU_DEP_1) | instskip(NEXT) | instid1(VALU_DEP_1)
	v_cndmask_b32_e64 v39, 0, v39, s5
	v_add_nc_u32_e32 v3, v3, v39
	s_delay_alu instid0(VALU_DEP_1) | instskip(NEXT) | instid1(VALU_DEP_1)
	v_mov_b32_dpp v39, v3 row_shr:8 row_mask:0xf bank_mask:0xf
	v_cndmask_b32_e64 v39, 0, v39, s6
	s_delay_alu instid0(VALU_DEP_1) | instskip(SKIP_3) | instid1(VALU_DEP_1)
	v_add_nc_u32_e32 v3, v3, v39
	ds_swizzle_b32 v39, v3 offset:swizzle(BROADCAST,32,15)
	s_waitcnt lgkmcnt(0)
	v_cndmask_b32_e64 v39, v39, 0, s7
	v_add_nc_u32_e32 v3, v3, v39
	s_and_saveexec_b32 s14, s8
	s_cbranch_execz .LBB252_12
; %bb.11:                               ;   in Loop: Header=BB252_2 Depth=1
	ds_store_b32 v21, v3
.LBB252_12:                             ;   in Loop: Header=BB252_2 Depth=1
	s_or_b32 exec_lo, exec_lo, s14
	s_waitcnt lgkmcnt(0)
	s_barrier
	buffer_gl0_inv
	s_and_saveexec_b32 s14, s9
	s_cbranch_execz .LBB252_14
; %bb.13:                               ;   in Loop: Header=BB252_2 Depth=1
	ds_load_b32 v39, v23
	s_waitcnt lgkmcnt(0)
	v_mov_b32_dpp v40, v39 row_shr:1 row_mask:0xf bank_mask:0xf
	s_delay_alu instid0(VALU_DEP_1) | instskip(NEXT) | instid1(VALU_DEP_1)
	v_cndmask_b32_e64 v40, v40, 0, s2
	v_add_nc_u32_e32 v39, v40, v39
	s_delay_alu instid0(VALU_DEP_1) | instskip(NEXT) | instid1(VALU_DEP_1)
	v_mov_b32_dpp v40, v39 row_shr:2 row_mask:0xf bank_mask:0xf
	v_cndmask_b32_e64 v40, 0, v40, s13
	s_delay_alu instid0(VALU_DEP_1)
	v_add_nc_u32_e32 v39, v39, v40
	ds_store_b32 v23, v39
.LBB252_14:                             ;   in Loop: Header=BB252_2 Depth=1
	s_or_b32 exec_lo, exec_lo, s14
	v_mov_b32_e32 v39, 0
	s_waitcnt lgkmcnt(0)
	s_barrier
	buffer_gl0_inv
	s_and_saveexec_b32 s14, s10
	s_cbranch_execz .LBB252_1
; %bb.15:                               ;   in Loop: Header=BB252_2 Depth=1
	ds_load_b32 v39, v22
	s_branch .LBB252_1
.LBB252_16:
	s_add_u32 s0, s18, s20
	s_addc_u32 s1, s19, 0
	s_clause 0x3
	global_store_b8 v8, v3, s[0:1]
	global_store_b8 v8, v0, s[0:1] offset:128
	global_store_b8 v8, v4, s[0:1] offset:256
	;; [unrolled: 1-line block ×3, first 2 shown]
	s_nop 0
	s_sendmsg sendmsg(MSG_DEALLOC_VGPRS)
	s_endpgm
	.section	.rodata,"a",@progbits
	.p2align	6, 0x0
	.amdhsa_kernel _Z16sort_keys_kernelI22helper_blocked_stripedaLj128ELj4ELj10EEvPKT0_PS1_
		.amdhsa_group_segment_fixed_size 4112
		.amdhsa_private_segment_fixed_size 0
		.amdhsa_kernarg_size 272
		.amdhsa_user_sgpr_count 15
		.amdhsa_user_sgpr_dispatch_ptr 0
		.amdhsa_user_sgpr_queue_ptr 0
		.amdhsa_user_sgpr_kernarg_segment_ptr 1
		.amdhsa_user_sgpr_dispatch_id 0
		.amdhsa_user_sgpr_private_segment_size 0
		.amdhsa_wavefront_size32 1
		.amdhsa_uses_dynamic_stack 0
		.amdhsa_enable_private_segment 0
		.amdhsa_system_sgpr_workgroup_id_x 1
		.amdhsa_system_sgpr_workgroup_id_y 0
		.amdhsa_system_sgpr_workgroup_id_z 0
		.amdhsa_system_sgpr_workgroup_info 0
		.amdhsa_system_vgpr_workitem_id 2
		.amdhsa_next_free_vgpr 41
		.amdhsa_next_free_sgpr 21
		.amdhsa_reserve_vcc 1
		.amdhsa_float_round_mode_32 0
		.amdhsa_float_round_mode_16_64 0
		.amdhsa_float_denorm_mode_32 3
		.amdhsa_float_denorm_mode_16_64 3
		.amdhsa_dx10_clamp 1
		.amdhsa_ieee_mode 1
		.amdhsa_fp16_overflow 0
		.amdhsa_workgroup_processor_mode 1
		.amdhsa_memory_ordered 1
		.amdhsa_forward_progress 0
		.amdhsa_shared_vgpr_count 0
		.amdhsa_exception_fp_ieee_invalid_op 0
		.amdhsa_exception_fp_denorm_src 0
		.amdhsa_exception_fp_ieee_div_zero 0
		.amdhsa_exception_fp_ieee_overflow 0
		.amdhsa_exception_fp_ieee_underflow 0
		.amdhsa_exception_fp_ieee_inexact 0
		.amdhsa_exception_int_div_zero 0
	.end_amdhsa_kernel
	.section	.text._Z16sort_keys_kernelI22helper_blocked_stripedaLj128ELj4ELj10EEvPKT0_PS1_,"axG",@progbits,_Z16sort_keys_kernelI22helper_blocked_stripedaLj128ELj4ELj10EEvPKT0_PS1_,comdat
.Lfunc_end252:
	.size	_Z16sort_keys_kernelI22helper_blocked_stripedaLj128ELj4ELj10EEvPKT0_PS1_, .Lfunc_end252-_Z16sort_keys_kernelI22helper_blocked_stripedaLj128ELj4ELj10EEvPKT0_PS1_
                                        ; -- End function
	.section	.AMDGPU.csdata,"",@progbits
; Kernel info:
; codeLenInByte = 3656
; NumSgprs: 23
; NumVgprs: 41
; ScratchSize: 0
; MemoryBound: 0
; FloatMode: 240
; IeeeMode: 1
; LDSByteSize: 4112 bytes/workgroup (compile time only)
; SGPRBlocks: 2
; VGPRBlocks: 5
; NumSGPRsForWavesPerEU: 23
; NumVGPRsForWavesPerEU: 41
; Occupancy: 16
; WaveLimiterHint : 1
; COMPUTE_PGM_RSRC2:SCRATCH_EN: 0
; COMPUTE_PGM_RSRC2:USER_SGPR: 15
; COMPUTE_PGM_RSRC2:TRAP_HANDLER: 0
; COMPUTE_PGM_RSRC2:TGID_X_EN: 1
; COMPUTE_PGM_RSRC2:TGID_Y_EN: 0
; COMPUTE_PGM_RSRC2:TGID_Z_EN: 0
; COMPUTE_PGM_RSRC2:TIDIG_COMP_CNT: 2
	.section	.text._Z17sort_pairs_kernelI22helper_blocked_stripedaLj128ELj4ELj10EEvPKT0_PS1_,"axG",@progbits,_Z17sort_pairs_kernelI22helper_blocked_stripedaLj128ELj4ELj10EEvPKT0_PS1_,comdat
	.protected	_Z17sort_pairs_kernelI22helper_blocked_stripedaLj128ELj4ELj10EEvPKT0_PS1_ ; -- Begin function _Z17sort_pairs_kernelI22helper_blocked_stripedaLj128ELj4ELj10EEvPKT0_PS1_
	.globl	_Z17sort_pairs_kernelI22helper_blocked_stripedaLj128ELj4ELj10EEvPKT0_PS1_
	.p2align	8
	.type	_Z17sort_pairs_kernelI22helper_blocked_stripedaLj128ELj4ELj10EEvPKT0_PS1_,@function
_Z17sort_pairs_kernelI22helper_blocked_stripedaLj128ELj4ELj10EEvPKT0_PS1_: ; @_Z17sort_pairs_kernelI22helper_blocked_stripedaLj128ELj4ELj10EEvPKT0_PS1_
; %bb.0:
	s_clause 0x1
	s_load_b128 s[16:19], s[0:1], 0x0
	s_load_b32 s13, s[0:1], 0x1c
	v_and_b32_e32 v8, 0x3ff, v0
	s_lshl_b32 s20, s15, 9
	v_mbcnt_lo_u32_b32 v2, -1, 0
	v_bfe_u32 v4, v0, 10, 10
	v_bfe_u32 v0, v0, 20, 10
	v_lshlrev_b32_e32 v1, 2, v8
	s_delay_alu instid0(VALU_DEP_4)
	v_and_b32_e32 v6, 16, v2
	v_add_nc_u32_e32 v7, -1, v2
	v_and_b32_e32 v3, 3, v2
	v_and_b32_e32 v13, 28, v2
	;; [unrolled: 1-line block ×3, first 2 shown]
	v_cmp_eq_u32_e64 s8, 0, v6
	v_cmp_gt_i32_e64 s11, 0, v7
	v_cmp_eq_u32_e32 vcc_lo, 0, v2
	v_cmp_lt_u32_e64 s12, 1, v3
	v_cmp_eq_u32_e64 s4, 0, v5
	v_cmp_lt_u32_e64 s5, 1, v5
	s_waitcnt lgkmcnt(0)
	s_add_u32 s0, s16, s20
	s_addc_u32 s1, s17, 0
	v_cndmask_b32_e64 v7, v7, v2, s11
	global_load_b32 v1, v1, s[0:1]
	s_mov_b32 s0, 0
	s_lshr_b32 s14, s13, 16
	s_mov_b32 s1, s0
	v_mad_u32_u24 v0, v0, s14, v4
	v_dual_mov_b32 v10, s1 :: v_dual_mov_b32 v9, s0
	s_mov_b32 s2, s0
	s_mov_b32 s3, s0
	v_lshrrev_b32_e32 v20, 3, v8
	s_and_b32 s13, s13, 0xffff
	v_dual_mov_b32 v12, s3 :: v_dual_mov_b32 v11, s2
	v_cmp_eq_u32_e64 s0, 3, v3
	v_cmp_eq_u32_e64 s1, 2, v3
	;; [unrolled: 1-line block ×4, first 2 shown]
	v_lshlrev_b32_e32 v17, 5, v8
	v_cmp_lt_u32_e64 s6, 3, v5
	v_cmp_lt_u32_e64 s7, 7, v5
	v_or_b32_e32 v5, 31, v8
	v_mul_u32_u24_e32 v23, 3, v8
	v_or_b32_e32 v14, 32, v13
	v_or_b32_e32 v15, 64, v13
	;; [unrolled: 1-line block ×3, first 2 shown]
	v_cmp_gt_u32_e64 s9, 4, v8
	v_cmp_lt_u32_e64 s10, 31, v8
	v_cmp_eq_u32_e64 s11, 0, v8
	v_add_nc_u32_e32 v23, v8, v23
	s_mov_b32 s16, 10
	s_waitcnt vmcnt(0)
	v_lshrrev_b32_e32 v6, 16, v1
	v_lshrrev_b32_e32 v2, 8, v1
	;; [unrolled: 1-line block ×3, first 2 shown]
	v_add_nc_u16 v19, v1, 1
	s_delay_alu instid0(VALU_DEP_4) | instskip(NEXT) | instid1(VALU_DEP_4)
	v_add_nc_u16 v6, v6, 1
	v_lshlrev_b16 v2, 8, v2
	s_delay_alu instid0(VALU_DEP_4) | instskip(NEXT) | instid1(VALU_DEP_4)
	v_lshlrev_b16 v18, 8, v18
	v_and_b32_e32 v19, 0xff, v19
	s_delay_alu instid0(VALU_DEP_4) | instskip(NEXT) | instid1(VALU_DEP_2)
	v_and_b32_e32 v6, 0xff, v6
	v_or_b32_e32 v2, v2, v19
	v_and_b32_e32 v19, 12, v20
	s_delay_alu instid0(VALU_DEP_3)
	v_or_b32_e32 v6, v18, v6
	v_or_b32_e32 v18, 16, v17
	v_lshlrev_b32_e32 v20, 2, v7
	v_add_nc_u16 v4, v2, 0x100
	v_mad_u64_u32 v[2:3], null, v0, s13, v[8:9]
	v_add_nc_u16 v6, v6, 0x100
	v_cmp_eq_u32_e64 s13, v5, v8
	s_delay_alu instid0(VALU_DEP_4) | instskip(SKIP_1) | instid1(VALU_DEP_4)
	v_and_b32_e32 v0, 0xffff, v4
	v_add_nc_u32_e32 v21, -4, v19
	v_lshlrev_b32_e32 v3, 16, v6
	v_lshrrev_b32_e32 v22, 5, v2
	s_delay_alu instid0(VALU_DEP_2)
	v_or_b32_e32 v0, v0, v3
	s_branch .LBB253_2
.LBB253_1:                              ;   in Loop: Header=BB253_2 Depth=1
	s_or_b32 exec_lo, exec_lo, s14
	v_perm_b32 v35, v35, v30, 0x3020104
	s_waitcnt lgkmcnt(0)
	v_add_nc_u32_e32 v3, v55, v3
	v_and_b32_e32 v25, 0xff, v25
	s_add_i32 s16, s16, -1
	s_delay_alu instid0(SALU_CYCLE_1) | instskip(SKIP_3) | instid1(VALU_DEP_1)
	s_cmp_eq_u32 s16, 0
	v_cndmask_b32_e64 v30, v30, v35, s2
	ds_bpermute_b32 v3, v20, v3
	v_perm_b32 v34, v34, v30, 0x3020104
	v_cndmask_b32_e64 v30, v30, v34, s1
	s_delay_alu instid0(VALU_DEP_1) | instskip(NEXT) | instid1(VALU_DEP_1)
	v_perm_b32 v33, v33, v30, 0x3020104
	v_cndmask_b32_e64 v30, v30, v33, s0
	s_waitcnt lgkmcnt(0)
	v_cndmask_b32_e32 v3, v3, v55, vcc_lo
	s_delay_alu instid0(VALU_DEP_2) | instskip(NEXT) | instid1(VALU_DEP_2)
	v_perm_b32 v31, v30, v31, 0x7060004
	v_cndmask_b32_e64 v3, v3, 0, s11
	s_delay_alu instid0(VALU_DEP_2) | instskip(NEXT) | instid1(VALU_DEP_2)
	v_cndmask_b32_e64 v30, v30, v31, s3
	v_add_nc_u32_e32 v4, v3, v4
	s_delay_alu instid0(VALU_DEP_2) | instskip(NEXT) | instid1(VALU_DEP_2)
	v_perm_b32 v31, v30, v32, 0x7060004
	v_add_nc_u32_e32 v5, v4, v5
	s_delay_alu instid0(VALU_DEP_2) | instskip(NEXT) | instid1(VALU_DEP_2)
	v_cndmask_b32_e64 v30, v30, v31, s2
	v_add_nc_u32_e32 v6, v5, v6
	s_delay_alu instid0(VALU_DEP_2) | instskip(NEXT) | instid1(VALU_DEP_1)
	v_perm_b32 v28, v30, v28, 0x7060004
	v_cndmask_b32_e64 v28, v30, v28, s1
	v_lshlrev_b16 v30, 8, v37
	s_delay_alu instid0(VALU_DEP_2) | instskip(NEXT) | instid1(VALU_DEP_1)
	v_perm_b32 v27, v28, v27, 0x7060004
	v_cndmask_b32_e64 v27, v28, v27, s0
	s_delay_alu instid0(VALU_DEP_1) | instskip(NEXT) | instid1(VALU_DEP_1)
	v_lshrrev_b32_e32 v28, 16, v27
	v_and_b32_e32 v28, 0xffffff00, v28
	s_delay_alu instid0(VALU_DEP_1) | instskip(SKIP_1) | instid1(VALU_DEP_2)
	v_or_b32_e32 v25, v25, v28
	v_and_b32_e32 v28, 0xff, v43
	v_lshlrev_b32_e32 v25, 16, v25
	s_delay_alu instid0(VALU_DEP_1) | instskip(NEXT) | instid1(VALU_DEP_1)
	v_and_or_b32 v25, 0xffff, v27, v25
	v_cndmask_b32_e64 v25, v27, v25, s3
	s_delay_alu instid0(VALU_DEP_1) | instskip(NEXT) | instid1(VALU_DEP_1)
	v_lshrrev_b32_e32 v27, 16, v25
	v_and_b32_e32 v27, 0xffffff00, v27
	s_delay_alu instid0(VALU_DEP_1) | instskip(SKIP_1) | instid1(VALU_DEP_2)
	v_or_b32_e32 v27, v28, v27
	v_and_b32_e32 v28, 0xff, v42
	v_lshlrev_b32_e32 v27, 16, v27
	s_delay_alu instid0(VALU_DEP_1) | instskip(NEXT) | instid1(VALU_DEP_1)
	v_and_or_b32 v27, 0xffff, v25, v27
	;; [unrolled: 10-line block ×3, first 2 shown]
	v_cndmask_b32_e64 v25, v25, v27, s1
	s_delay_alu instid0(VALU_DEP_1) | instskip(NEXT) | instid1(VALU_DEP_1)
	v_lshrrev_b32_e32 v27, 16, v25
	v_and_b32_e32 v27, 0xffffff00, v27
	s_delay_alu instid0(VALU_DEP_1) | instskip(SKIP_1) | instid1(VALU_DEP_2)
	v_or_b32_e32 v27, v28, v27
	v_lshlrev_b16 v28, 8, v40
	v_lshlrev_b32_e32 v27, 16, v27
	s_delay_alu instid0(VALU_DEP_1) | instskip(NEXT) | instid1(VALU_DEP_1)
	v_and_or_b32 v27, 0xffff, v25, v27
	v_cndmask_b32_e64 v25, v25, v27, s0
	s_delay_alu instid0(VALU_DEP_1) | instskip(NEXT) | instid1(VALU_DEP_1)
	v_lshrrev_b32_e32 v27, 16, v25
	v_and_b32_e32 v27, 0xff, v27
	s_delay_alu instid0(VALU_DEP_1) | instskip(SKIP_1) | instid1(VALU_DEP_2)
	v_or_b32_e32 v27, v27, v28
	v_lshlrev_b16 v28, 8, v39
	v_lshlrev_b32_e32 v27, 16, v27
	s_delay_alu instid0(VALU_DEP_1) | instskip(NEXT) | instid1(VALU_DEP_1)
	v_and_or_b32 v27, 0xffff, v25, v27
	v_cndmask_b32_e64 v25, v25, v27, s3
	s_delay_alu instid0(VALU_DEP_1) | instskip(NEXT) | instid1(VALU_DEP_1)
	v_lshrrev_b32_e32 v27, 16, v25
	v_and_b32_e32 v27, 0xff, v27
	s_delay_alu instid0(VALU_DEP_1) | instskip(NEXT) | instid1(VALU_DEP_1)
	v_or_b32_e32 v27, v27, v28
	v_lshlrev_b32_e32 v27, 16, v27
	s_delay_alu instid0(VALU_DEP_1) | instskip(NEXT) | instid1(VALU_DEP_1)
	v_and_or_b32 v27, 0xffff, v25, v27
	v_cndmask_b32_e64 v25, v25, v27, s2
	v_add_nc_u32_e32 v27, v6, v7
	s_delay_alu instid0(VALU_DEP_2) | instskip(NEXT) | instid1(VALU_DEP_2)
	v_lshrrev_b32_e32 v7, 16, v25
	v_add_nc_u32_e32 v28, v27, v0
	s_delay_alu instid0(VALU_DEP_2) | instskip(NEXT) | instid1(VALU_DEP_2)
	v_and_b32_e32 v7, 0xff, v7
	v_add_nc_u32_e32 v0, v28, v1
	s_delay_alu instid0(VALU_DEP_2) | instskip(NEXT) | instid1(VALU_DEP_2)
	v_or_b32_e32 v7, v7, v30
	v_add_nc_u32_e32 v1, v0, v2
	ds_store_2addr_b64 v17, v[3:4], v[5:6] offset0:2 offset1:3
	ds_store_2addr_b64 v18, v[27:28], v[0:1] offset0:2 offset1:3
	v_lshlrev_b32_e32 v2, 16, v7
	s_waitcnt lgkmcnt(0)
	s_barrier
	buffer_gl0_inv
	v_lshlrev_b16 v6, 8, v26
	v_and_or_b32 v0, 0xffff, v25, v2
	ds_load_b32 v1, v36
	ds_load_b32 v2, v46
	;; [unrolled: 1-line block ×4, first 2 shown]
	s_waitcnt lgkmcnt(0)
	s_barrier
	v_cndmask_b32_e64 v0, v25, v0, s1
	buffer_gl0_inv
	v_lshrrev_b32_e32 v5, 16, v0
	s_delay_alu instid0(VALU_DEP_1) | instskip(SKIP_1) | instid1(VALU_DEP_2)
	v_and_b32_e32 v5, 0xff, v5
	v_add_nc_u32_e32 v1, v1, v29
	v_or_b32_e32 v5, v5, v6
	v_add3_u32 v2, v45, v44, v2
	v_add3_u32 v4, v53, v52, v4
	;; [unrolled: 1-line block ×3, first 2 shown]
	ds_store_b8 v1, v24
	ds_store_b8 v2, v38
	;; [unrolled: 1-line block ×3, first 2 shown]
	v_lshlrev_b32_e32 v5, 16, v5
	ds_store_b8 v4, v51
	s_waitcnt lgkmcnt(0)
	s_barrier
	buffer_gl0_inv
	v_and_or_b32 v5, 0xffff, v0, v5
	ds_load_u8 v7, v8
	ds_load_u8 v6, v8 offset:128
	ds_load_u8 v25, v8 offset:256
	;; [unrolled: 1-line block ×3, first 2 shown]
	s_waitcnt lgkmcnt(0)
	s_barrier
	buffer_gl0_inv
	v_cndmask_b32_e64 v0, v0, v5, s0
	s_delay_alu instid0(VALU_DEP_1)
	v_lshrrev_b32_e32 v5, 8, v0
	v_lshrrev_b32_e32 v24, 24, v0
	ds_store_b8 v1, v0
	ds_store_b8 v2, v5
	ds_store_b8_d16_hi v3, v0
	ds_store_b8 v4, v24
	s_waitcnt lgkmcnt(0)
	s_barrier
	buffer_gl0_inv
	ds_load_u8 v2, v8 offset:128
	ds_load_u8 v3, v8 offset:384
	ds_load_u8 v5, v8
	ds_load_u8 v4, v8 offset:256
	v_xor_b32_e32 v6, 0xffffff80, v6
	v_xor_b32_e32 v24, 0xffffff80, v7
	;; [unrolled: 1-line block ×4, first 2 shown]
	s_delay_alu instid0(VALU_DEP_4) | instskip(NEXT) | instid1(VALU_DEP_4)
	v_lshlrev_b16 v0, 8, v6
	v_and_b32_e32 v1, 0xff, v24
	s_delay_alu instid0(VALU_DEP_4) | instskip(NEXT) | instid1(VALU_DEP_4)
	v_lshlrev_b16 v26, 8, v7
	v_and_b32_e32 v27, 0xff, v25
	s_delay_alu instid0(VALU_DEP_3) | instskip(NEXT) | instid1(VALU_DEP_2)
	v_or_b32_e32 v0, v1, v0
	v_or_b32_e32 v1, v27, v26
	s_waitcnt lgkmcnt(3)
	v_lshlrev_b16 v28, 8, v2
	s_waitcnt lgkmcnt(2)
	v_lshlrev_b16 v29, 8, v3
	v_and_b32_e32 v0, 0xffff, v0
	v_lshlrev_b32_e32 v1, 16, v1
	s_waitcnt lgkmcnt(1)
	v_or_b32_e32 v26, v5, v28
	s_waitcnt lgkmcnt(0)
	v_or_b32_e32 v27, v4, v29
	v_or_b32_e32 v1, v0, v1
	s_delay_alu instid0(VALU_DEP_3) | instskip(NEXT) | instid1(VALU_DEP_3)
	v_and_b32_e32 v26, 0xffff, v26
	v_lshlrev_b32_e32 v27, 16, v27
	s_delay_alu instid0(VALU_DEP_1)
	v_or_b32_e32 v0, v26, v27
	s_cbranch_scc1 .LBB253_16
.LBB253_2:                              ; =>This Inner Loop Header: Depth=1
	v_lshrrev_b32_e32 v2, 8, v1
	v_xor_b32_e32 v3, 0x80, v1
	v_lshrrev_b32_e32 v4, 16, v1
	v_lshrrev_b32_e32 v1, 24, v1
	s_delay_alu instid0(VALU_DEP_4) | instskip(NEXT) | instid1(VALU_DEP_4)
	v_xor_b32_e32 v2, 0x80, v2
	v_and_b32_e32 v3, 0xff, v3
	s_delay_alu instid0(VALU_DEP_4) | instskip(NEXT) | instid1(VALU_DEP_4)
	v_xor_b32_e32 v4, 0x80, v4
	v_xor_b32_e32 v1, 0x80, v1
	s_barrier
	v_and_b32_e32 v2, 0xff, v2
	ds_bpermute_b32 v5, v13, v3
	v_and_b32_e32 v4, 0xff, v4
	v_and_b32_e32 v1, 0xffff, v1
	s_waitcnt lgkmcnt(0)
	buffer_gl0_inv
	ds_bpermute_b32 v6, v13, v2
	ds_store_2addr_b64 v17, v[9:10], v[11:12] offset0:2 offset1:3
	ds_store_2addr_b64 v18, v[9:10], v[11:12] offset0:2 offset1:3
	ds_bpermute_b32 v7, v13, v4
	ds_bpermute_b32 v24, v13, v1
	s_waitcnt lgkmcnt(0)
	s_barrier
	buffer_gl0_inv
	; wave barrier
	v_perm_b32 v6, v6, v5, 0x3020104
	s_delay_alu instid0(VALU_DEP_1) | instskip(SKIP_2) | instid1(VALU_DEP_1)
	v_cndmask_b32_e64 v5, v5, v6, s2
	ds_bpermute_b32 v6, v14, v3
	v_perm_b32 v7, v7, v5, 0x3020104
	v_cndmask_b32_e64 v5, v5, v7, s1
	s_delay_alu instid0(VALU_DEP_1) | instskip(SKIP_4) | instid1(VALU_DEP_2)
	v_perm_b32 v7, v24, v5, 0x3020104
	ds_bpermute_b32 v24, v14, v2
	v_cndmask_b32_e64 v5, v5, v7, s0
	s_waitcnt lgkmcnt(1)
	v_lshlrev_b16 v6, 8, v6
	v_and_b32_e32 v7, 0xff, v5
	s_delay_alu instid0(VALU_DEP_1) | instskip(NEXT) | instid1(VALU_DEP_1)
	v_or_b32_e32 v6, v7, v6
	v_and_b32_e32 v6, 0xffff, v6
	s_delay_alu instid0(VALU_DEP_1) | instskip(NEXT) | instid1(VALU_DEP_1)
	v_and_or_b32 v6, 0xffff0000, v5, v6
	v_cndmask_b32_e64 v5, v5, v6, s3
	s_waitcnt lgkmcnt(0)
	v_lshlrev_b16 v6, 8, v24
	ds_bpermute_b32 v24, v14, v4
	v_and_b32_e32 v7, 0xff, v5
	s_delay_alu instid0(VALU_DEP_1) | instskip(NEXT) | instid1(VALU_DEP_1)
	v_or_b32_e32 v6, v7, v6
	v_and_b32_e32 v6, 0xffff, v6
	s_delay_alu instid0(VALU_DEP_1) | instskip(NEXT) | instid1(VALU_DEP_1)
	v_and_or_b32 v6, 0xffff0000, v5, v6
	v_cndmask_b32_e64 v5, v5, v6, s2
	s_waitcnt lgkmcnt(0)
	v_lshlrev_b16 v6, 8, v24
	ds_bpermute_b32 v24, v14, v1
	v_and_b32_e32 v7, 0xff, v5
	s_delay_alu instid0(VALU_DEP_1) | instskip(NEXT) | instid1(VALU_DEP_1)
	v_or_b32_e32 v6, v7, v6
	v_and_b32_e32 v6, 0xffff, v6
	s_delay_alu instid0(VALU_DEP_1) | instskip(NEXT) | instid1(VALU_DEP_1)
	v_and_or_b32 v6, 0xffff0000, v5, v6
	v_cndmask_b32_e64 v5, v5, v6, s1
	s_waitcnt lgkmcnt(0)
	v_lshlrev_b16 v6, 8, v24
	s_delay_alu instid0(VALU_DEP_2) | instskip(NEXT) | instid1(VALU_DEP_1)
	v_and_b32_e32 v7, 0xff, v5
	v_or_b32_e32 v6, v7, v6
	ds_bpermute_b32 v7, v15, v3
	ds_bpermute_b32 v3, v16, v3
	v_and_b32_e32 v6, 0xffff, v6
	s_delay_alu instid0(VALU_DEP_1) | instskip(NEXT) | instid1(VALU_DEP_1)
	v_and_or_b32 v6, 0xffff0000, v5, v6
	v_cndmask_b32_e64 v5, v5, v6, s0
	s_delay_alu instid0(VALU_DEP_1)
	v_lshrrev_b32_e32 v6, 16, v5
	s_waitcnt lgkmcnt(1)
	v_and_b32_e32 v7, 0xff, v7
	s_waitcnt lgkmcnt(0)
	v_lshlrev_b16 v3, 8, v3
	v_and_b32_e32 v6, 0xffffff00, v6
	s_delay_alu instid0(VALU_DEP_1) | instskip(SKIP_3) | instid1(VALU_DEP_1)
	v_or_b32_e32 v6, v7, v6
	ds_bpermute_b32 v7, v15, v2
	ds_bpermute_b32 v2, v16, v2
	v_lshlrev_b32_e32 v6, 16, v6
	v_and_or_b32 v6, 0xffff, v5, v6
	s_delay_alu instid0(VALU_DEP_1) | instskip(NEXT) | instid1(VALU_DEP_1)
	v_cndmask_b32_e64 v5, v5, v6, s3
	v_lshrrev_b32_e32 v6, 16, v5
	s_waitcnt lgkmcnt(1)
	v_and_b32_e32 v7, 0xff, v7
	s_waitcnt lgkmcnt(0)
	v_lshlrev_b16 v2, 8, v2
	v_and_b32_e32 v6, 0xffffff00, v6
	s_delay_alu instid0(VALU_DEP_1) | instskip(SKIP_3) | instid1(VALU_DEP_1)
	v_or_b32_e32 v6, v7, v6
	ds_bpermute_b32 v7, v15, v4
	ds_bpermute_b32 v4, v16, v4
	v_lshlrev_b32_e32 v6, 16, v6
	v_and_or_b32 v6, 0xffff, v5, v6
	s_delay_alu instid0(VALU_DEP_1) | instskip(NEXT) | instid1(VALU_DEP_1)
	v_cndmask_b32_e64 v5, v5, v6, s2
	;; [unrolled: 14-line block ×3, first 2 shown]
	v_lshrrev_b32_e32 v6, 16, v5
	s_waitcnt lgkmcnt(1)
	v_and_b32_e32 v7, 0xff, v7
	s_waitcnt lgkmcnt(0)
	v_lshlrev_b16 v1, 8, v1
	v_and_b32_e32 v6, 0xffffff00, v6
	s_delay_alu instid0(VALU_DEP_1) | instskip(NEXT) | instid1(VALU_DEP_1)
	v_or_b32_e32 v6, v7, v6
	v_lshlrev_b32_e32 v6, 16, v6
	s_delay_alu instid0(VALU_DEP_1) | instskip(NEXT) | instid1(VALU_DEP_1)
	v_and_or_b32 v6, 0xffff, v5, v6
	v_cndmask_b32_e64 v5, v5, v6, s0
	s_delay_alu instid0(VALU_DEP_1) | instskip(NEXT) | instid1(VALU_DEP_1)
	v_lshrrev_b32_e32 v6, 16, v5
	v_and_b32_e32 v6, 0xff, v6
	s_delay_alu instid0(VALU_DEP_1) | instskip(NEXT) | instid1(VALU_DEP_1)
	v_or_b32_e32 v3, v6, v3
	v_lshlrev_b32_e32 v3, 16, v3
	s_delay_alu instid0(VALU_DEP_1) | instskip(NEXT) | instid1(VALU_DEP_1)
	v_and_or_b32 v3, 0xffff, v5, v3
	v_cndmask_b32_e64 v3, v5, v3, s3
	s_delay_alu instid0(VALU_DEP_1) | instskip(NEXT) | instid1(VALU_DEP_1)
	v_lshrrev_b32_e32 v5, 16, v3
	v_and_b32_e32 v5, 0xff, v5
	s_delay_alu instid0(VALU_DEP_1) | instskip(SKIP_1) | instid1(VALU_DEP_2)
	v_or_b32_e32 v2, v5, v2
	v_bfe_u32 v5, v0, 16, 8
	v_lshlrev_b32_e32 v2, 16, v2
	ds_bpermute_b32 v34, v13, v5
	ds_bpermute_b32 v28, v14, v5
	;; [unrolled: 1-line block ×3, first 2 shown]
	v_and_or_b32 v2, 0xffff, v3, v2
	s_delay_alu instid0(VALU_DEP_1) | instskip(NEXT) | instid1(VALU_DEP_1)
	v_cndmask_b32_e64 v2, v3, v2, s2
	v_lshrrev_b32_e32 v3, 16, v2
	s_delay_alu instid0(VALU_DEP_1) | instskip(NEXT) | instid1(VALU_DEP_1)
	v_and_b32_e32 v3, 0xff, v3
	v_or_b32_e32 v3, v3, v4
	v_bfe_u32 v4, v0, 8, 8
	s_delay_alu instid0(VALU_DEP_2)
	v_lshlrev_b32_e32 v3, 16, v3
	ds_bpermute_b32 v35, v13, v4
	ds_bpermute_b32 v32, v14, v4
	;; [unrolled: 1-line block ×4, first 2 shown]
	v_and_or_b32 v3, 0xffff, v2, v3
	s_delay_alu instid0(VALU_DEP_1) | instskip(NEXT) | instid1(VALU_DEP_1)
	v_cndmask_b32_e64 v2, v2, v3, s1
	v_lshrrev_b32_e32 v3, 16, v2
	s_delay_alu instid0(VALU_DEP_1) | instskip(NEXT) | instid1(VALU_DEP_1)
	v_and_b32_e32 v3, 0xff, v3
	v_or_b32_e32 v1, v3, v1
	v_and_b32_e32 v3, 0xff, v0
	v_lshrrev_b32_e32 v0, 24, v0
	s_delay_alu instid0(VALU_DEP_3)
	v_lshlrev_b32_e32 v1, 16, v1
	ds_bpermute_b32 v30, v13, v3
	ds_bpermute_b32 v31, v14, v3
	;; [unrolled: 1-line block ×4, first 2 shown]
	v_and_or_b32 v1, 0xffff, v2, v1
	ds_bpermute_b32 v33, v13, v0
	ds_bpermute_b32 v27, v14, v0
	;; [unrolled: 1-line block ×3, first 2 shown]
	v_cndmask_b32_e64 v24, v2, v1, s0
	s_delay_alu instid0(VALU_DEP_1)
	v_and_b32_e32 v1, 1, v24
	v_lshlrev_b32_e32 v2, 30, v24
	v_lshlrev_b32_e32 v6, 29, v24
	;; [unrolled: 1-line block ×4, first 2 shown]
	v_add_co_u32 v1, s14, v1, -1
	s_delay_alu instid0(VALU_DEP_1)
	v_cndmask_b32_e64 v26, 0, 1, s14
	v_not_b32_e32 v38, v2
	v_cmp_gt_i32_e64 s15, 0, v2
	v_not_b32_e32 v2, v6
	v_lshlrev_b32_e32 v36, 26, v24
	v_cmp_ne_u32_e64 s14, 0, v26
	v_ashrrev_i32_e32 v38, 31, v38
	v_lshlrev_b32_e32 v37, 25, v24
	v_ashrrev_i32_e32 v2, 31, v2
	v_lshlrev_b32_e32 v26, 24, v24
	v_xor_b32_e32 v1, s14, v1
	v_cmp_gt_i32_e64 s14, 0, v6
	v_not_b32_e32 v6, v7
	v_xor_b32_e32 v38, s15, v38
	v_cmp_gt_i32_e64 s15, 0, v7
	v_and_b32_e32 v1, exec_lo, v1
	v_not_b32_e32 v7, v29
	v_ashrrev_i32_e32 v6, 31, v6
	v_xor_b32_e32 v2, s14, v2
	v_cmp_gt_i32_e64 s14, 0, v29
	v_and_b32_e32 v1, v1, v38
	v_not_b32_e32 v29, v36
	v_ashrrev_i32_e32 v7, 31, v7
	v_xor_b32_e32 v6, s15, v6
	v_cmp_gt_i32_e64 s15, 0, v36
	v_and_b32_e32 v1, v1, v2
	;; [unrolled: 5-line block ×4, first 2 shown]
	v_ashrrev_i32_e32 v6, 31, v6
	v_xor_b32_e32 v2, s14, v2
	ds_bpermute_b32 v37, v16, v5
	ds_bpermute_b32 v26, v16, v0
	v_and_b32_e32 v1, v1, v29
	v_xor_b32_e32 v3, s15, v6
	s_delay_alu instid0(VALU_DEP_2) | instskip(NEXT) | instid1(VALU_DEP_1)
	v_and_b32_e32 v1, v1, v2
	v_and_b32_e32 v0, v1, v3
	;; [unrolled: 1-line block ×3, first 2 shown]
	s_delay_alu instid0(VALU_DEP_2) | instskip(NEXT) | instid1(VALU_DEP_2)
	v_mbcnt_lo_u32_b32 v29, v0, 0
	v_lshl_add_u32 v1, v1, 2, v22
	v_cmp_ne_u32_e64 s15, 0, v0
	s_delay_alu instid0(VALU_DEP_3) | instskip(NEXT) | instid1(VALU_DEP_3)
	v_cmp_eq_u32_e64 s14, 0, v29
	v_lshl_add_u32 v36, v1, 2, 16
	s_delay_alu instid0(VALU_DEP_2) | instskip(NEXT) | instid1(SALU_CYCLE_1)
	s_and_b32 s15, s15, s14
	s_and_saveexec_b32 s14, s15
	s_cbranch_execz .LBB253_4
; %bb.3:                                ;   in Loop: Header=BB253_2 Depth=1
	v_bcnt_u32_b32 v0, v0, 0
	ds_store_b32 v36, v0
.LBB253_4:                              ;   in Loop: Header=BB253_2 Depth=1
	s_or_b32 exec_lo, exec_lo, s14
	v_bfe_u32 v0, v24, 8, 1
	v_lshrrev_b32_e32 v38, 8, v24
	; wave barrier
	s_delay_alu instid0(VALU_DEP_2) | instskip(NEXT) | instid1(VALU_DEP_1)
	v_add_co_u32 v0, s14, v0, -1
	v_cndmask_b32_e64 v1, 0, 1, s14
	s_delay_alu instid0(VALU_DEP_3)
	v_lshlrev_b32_e32 v2, 30, v38
	v_lshlrev_b32_e32 v3, 29, v38
	;; [unrolled: 1-line block ×4, first 2 shown]
	v_cmp_ne_u32_e64 s14, 0, v1
	v_not_b32_e32 v1, v2
	v_cmp_gt_i32_e64 s15, 0, v2
	v_not_b32_e32 v2, v3
	v_lshlrev_b32_e32 v6, 26, v38
	v_xor_b32_e32 v0, s14, v0
	v_ashrrev_i32_e32 v1, 31, v1
	v_cmp_gt_i32_e64 s14, 0, v3
	v_not_b32_e32 v3, v4
	v_ashrrev_i32_e32 v2, 31, v2
	v_and_b32_e32 v0, exec_lo, v0
	v_xor_b32_e32 v1, s15, v1
	v_cmp_gt_i32_e64 s15, 0, v4
	v_not_b32_e32 v4, v5
	v_ashrrev_i32_e32 v3, 31, v3
	v_xor_b32_e32 v2, s14, v2
	v_and_b32_e32 v0, v0, v1
	v_cmp_gt_i32_e64 s14, 0, v5
	v_not_b32_e32 v1, v6
	v_ashrrev_i32_e32 v4, 31, v4
	v_xor_b32_e32 v3, s15, v3
	v_and_b32_e32 v0, v0, v2
	v_lshlrev_b32_e32 v2, 25, v38
	v_cmp_gt_i32_e64 s15, 0, v6
	v_ashrrev_i32_e32 v1, 31, v1
	v_xor_b32_e32 v4, s14, v4
	v_and_b32_e32 v0, v0, v3
	v_not_b32_e32 v5, v2
	v_lshlrev_b32_e32 v6, 24, v38
	v_lshrrev_b32_e32 v3, 6, v24
	v_xor_b32_e32 v1, s15, v1
	v_and_b32_e32 v0, v0, v4
	v_cmp_gt_i32_e64 s14, 0, v2
	v_ashrrev_i32_e32 v2, 31, v5
	v_not_b32_e32 v4, v6
	v_and_b32_e32 v3, 0x3fc, v3
	v_and_b32_e32 v0, v0, v1
	s_delay_alu instid0(VALU_DEP_4) | instskip(SKIP_3) | instid1(VALU_DEP_4)
	v_xor_b32_e32 v1, s14, v2
	v_cmp_gt_i32_e64 s14, 0, v6
	v_ashrrev_i32_e32 v2, 31, v4
	v_add_lshl_u32 v3, v22, v3, 2
	v_and_b32_e32 v0, v0, v1
	s_delay_alu instid0(VALU_DEP_3) | instskip(SKIP_3) | instid1(VALU_DEP_1)
	v_xor_b32_e32 v1, s14, v2
	ds_load_b32 v44, v3 offset:16
	v_add_nc_u32_e32 v46, 16, v3
	; wave barrier
	v_and_b32_e32 v0, v0, v1
	v_mbcnt_lo_u32_b32 v45, v0, 0
	v_cmp_ne_u32_e64 s15, 0, v0
	s_delay_alu instid0(VALU_DEP_2) | instskip(NEXT) | instid1(VALU_DEP_1)
	v_cmp_eq_u32_e64 s14, 0, v45
	s_and_b32 s15, s15, s14
	s_delay_alu instid0(SALU_CYCLE_1)
	s_and_saveexec_b32 s14, s15
	s_cbranch_execz .LBB253_6
; %bb.5:                                ;   in Loop: Header=BB253_2 Depth=1
	s_waitcnt lgkmcnt(0)
	v_bcnt_u32_b32 v0, v0, v44
	ds_store_b32 v46, v0
.LBB253_6:                              ;   in Loop: Header=BB253_2 Depth=1
	s_or_b32 exec_lo, exec_lo, s14
	v_bfe_u32 v0, v24, 16, 1
	v_lshrrev_b32_e32 v47, 16, v24
	; wave barrier
	s_delay_alu instid0(VALU_DEP_2) | instskip(NEXT) | instid1(VALU_DEP_1)
	v_add_co_u32 v0, s14, v0, -1
	v_cndmask_b32_e64 v1, 0, 1, s14
	s_delay_alu instid0(VALU_DEP_3)
	v_lshlrev_b32_e32 v2, 30, v47
	v_lshlrev_b32_e32 v3, 29, v47
	;; [unrolled: 1-line block ×4, first 2 shown]
	v_cmp_ne_u32_e64 s14, 0, v1
	v_not_b32_e32 v1, v2
	v_cmp_gt_i32_e64 s15, 0, v2
	v_not_b32_e32 v2, v3
	v_lshlrev_b32_e32 v6, 26, v47
	v_xor_b32_e32 v0, s14, v0
	v_ashrrev_i32_e32 v1, 31, v1
	v_cmp_gt_i32_e64 s14, 0, v3
	v_not_b32_e32 v3, v4
	v_ashrrev_i32_e32 v2, 31, v2
	v_and_b32_e32 v0, exec_lo, v0
	v_xor_b32_e32 v1, s15, v1
	v_cmp_gt_i32_e64 s15, 0, v4
	v_not_b32_e32 v4, v5
	v_ashrrev_i32_e32 v3, 31, v3
	v_xor_b32_e32 v2, s14, v2
	v_and_b32_e32 v0, v0, v1
	v_cmp_gt_i32_e64 s14, 0, v5
	v_not_b32_e32 v1, v6
	v_ashrrev_i32_e32 v4, 31, v4
	v_xor_b32_e32 v3, s15, v3
	v_and_b32_e32 v0, v0, v2
	v_lshlrev_b32_e32 v2, 25, v47
	v_cmp_gt_i32_e64 s15, 0, v6
	v_ashrrev_i32_e32 v1, 31, v1
	v_xor_b32_e32 v4, s14, v4
	v_and_b32_e32 v0, v0, v3
	v_not_b32_e32 v5, v2
	v_lshlrev_b32_e32 v6, 24, v47
	v_lshrrev_b32_e32 v3, 14, v24
	v_xor_b32_e32 v1, s15, v1
	v_and_b32_e32 v0, v0, v4
	v_cmp_gt_i32_e64 s14, 0, v2
	v_ashrrev_i32_e32 v2, 31, v5
	v_not_b32_e32 v4, v6
	v_and_b32_e32 v3, 0x3fc, v3
	v_and_b32_e32 v0, v0, v1
	s_delay_alu instid0(VALU_DEP_4) | instskip(SKIP_3) | instid1(VALU_DEP_4)
	v_xor_b32_e32 v1, s14, v2
	v_cmp_gt_i32_e64 s14, 0, v6
	v_ashrrev_i32_e32 v2, 31, v4
	v_add_lshl_u32 v3, v22, v3, 2
	v_and_b32_e32 v0, v0, v1
	s_delay_alu instid0(VALU_DEP_3) | instskip(SKIP_3) | instid1(VALU_DEP_1)
	v_xor_b32_e32 v1, s14, v2
	ds_load_b32 v48, v3 offset:16
	v_add_nc_u32_e32 v50, 16, v3
	; wave barrier
	v_and_b32_e32 v0, v0, v1
	v_mbcnt_lo_u32_b32 v49, v0, 0
	v_cmp_ne_u32_e64 s15, 0, v0
	s_delay_alu instid0(VALU_DEP_2) | instskip(NEXT) | instid1(VALU_DEP_1)
	v_cmp_eq_u32_e64 s14, 0, v49
	s_and_b32 s15, s15, s14
	s_delay_alu instid0(SALU_CYCLE_1)
	s_and_saveexec_b32 s14, s15
	s_cbranch_execz .LBB253_8
; %bb.7:                                ;   in Loop: Header=BB253_2 Depth=1
	s_waitcnt lgkmcnt(0)
	v_bcnt_u32_b32 v0, v0, v48
	ds_store_b32 v50, v0
.LBB253_8:                              ;   in Loop: Header=BB253_2 Depth=1
	s_or_b32 exec_lo, exec_lo, s14
	v_bfe_u32 v0, v24, 24, 1
	v_lshrrev_b32_e32 v51, 24, v24
	; wave barrier
	s_delay_alu instid0(VALU_DEP_2) | instskip(NEXT) | instid1(VALU_DEP_1)
	v_add_co_u32 v0, s14, v0, -1
	v_cndmask_b32_e64 v1, 0, 1, s14
	s_delay_alu instid0(VALU_DEP_3)
	v_lshlrev_b32_e32 v2, 30, v51
	v_lshlrev_b32_e32 v3, 29, v51
	;; [unrolled: 1-line block ×4, first 2 shown]
	v_cmp_ne_u32_e64 s14, 0, v1
	v_not_b32_e32 v1, v2
	v_cmp_gt_i32_e64 s15, 0, v2
	v_not_b32_e32 v2, v3
	v_lshlrev_b32_e32 v6, 26, v51
	v_xor_b32_e32 v0, s14, v0
	v_ashrrev_i32_e32 v1, 31, v1
	v_cmp_gt_i32_e64 s14, 0, v3
	v_not_b32_e32 v3, v4
	v_ashrrev_i32_e32 v2, 31, v2
	v_and_b32_e32 v0, exec_lo, v0
	v_xor_b32_e32 v1, s15, v1
	v_cmp_gt_i32_e64 s15, 0, v4
	v_not_b32_e32 v4, v5
	v_ashrrev_i32_e32 v3, 31, v3
	v_xor_b32_e32 v2, s14, v2
	v_and_b32_e32 v0, v0, v1
	v_lshlrev_b32_e32 v1, 25, v51
	v_cmp_gt_i32_e64 s14, 0, v5
	v_ashrrev_i32_e32 v4, 31, v4
	v_xor_b32_e32 v3, s15, v3
	v_and_b32_e32 v0, v0, v2
	v_not_b32_e32 v5, v6
	v_not_b32_e32 v7, v1
	v_xor_b32_e32 v4, s14, v4
	v_cmp_gt_i32_e64 s14, 0, v6
	v_and_b32_e32 v0, v0, v3
	v_ashrrev_i32_e32 v3, 31, v5
	v_and_b32_e32 v2, 0xff000000, v24
	v_cmp_gt_i32_e64 s15, 0, v1
	v_ashrrev_i32_e32 v1, 31, v7
	v_and_b32_e32 v0, v0, v4
	v_not_b32_e32 v4, v24
	v_xor_b32_e32 v3, s14, v3
	v_lshlrev_b32_e32 v5, 2, v51
	v_xor_b32_e32 v1, s15, v1
	v_cmp_gt_i32_e64 s14, 0, v2
	v_ashrrev_i32_e32 v2, 31, v4
	v_and_b32_e32 v0, v0, v3
	v_add_lshl_u32 v3, v22, v5, 2
	s_delay_alu instid0(VALU_DEP_3) | instskip(NEXT) | instid1(VALU_DEP_3)
	v_xor_b32_e32 v2, s14, v2
	v_and_b32_e32 v0, v0, v1
	ds_load_b32 v52, v3 offset:16
	v_add_nc_u32_e32 v54, 16, v3
	; wave barrier
	v_and_b32_e32 v0, v0, v2
	s_delay_alu instid0(VALU_DEP_1) | instskip(SKIP_1) | instid1(VALU_DEP_2)
	v_mbcnt_lo_u32_b32 v53, v0, 0
	v_cmp_ne_u32_e64 s15, 0, v0
	v_cmp_eq_u32_e64 s14, 0, v53
	s_delay_alu instid0(VALU_DEP_1) | instskip(NEXT) | instid1(SALU_CYCLE_1)
	s_and_b32 s15, s15, s14
	s_and_saveexec_b32 s14, s15
	s_cbranch_execz .LBB253_10
; %bb.9:                                ;   in Loop: Header=BB253_2 Depth=1
	s_waitcnt lgkmcnt(0)
	v_bcnt_u32_b32 v0, v0, v52
	ds_store_b32 v54, v0
.LBB253_10:                             ;   in Loop: Header=BB253_2 Depth=1
	s_or_b32 exec_lo, exec_lo, s14
	; wave barrier
	s_waitcnt lgkmcnt(0)
	s_barrier
	buffer_gl0_inv
	ds_load_2addr_b64 v[4:7], v17 offset0:2 offset1:3
	ds_load_2addr_b64 v[0:3], v18 offset0:2 offset1:3
	s_waitcnt lgkmcnt(1)
	v_add_nc_u32_e32 v55, v5, v4
	s_delay_alu instid0(VALU_DEP_1) | instskip(SKIP_1) | instid1(VALU_DEP_1)
	v_add3_u32 v55, v55, v6, v7
	s_waitcnt lgkmcnt(0)
	v_add3_u32 v55, v55, v0, v1
	s_delay_alu instid0(VALU_DEP_1) | instskip(NEXT) | instid1(VALU_DEP_1)
	v_add3_u32 v3, v55, v2, v3
	v_mov_b32_dpp v55, v3 row_shr:1 row_mask:0xf bank_mask:0xf
	s_delay_alu instid0(VALU_DEP_1) | instskip(NEXT) | instid1(VALU_DEP_1)
	v_cndmask_b32_e64 v55, v55, 0, s4
	v_add_nc_u32_e32 v3, v55, v3
	s_delay_alu instid0(VALU_DEP_1) | instskip(NEXT) | instid1(VALU_DEP_1)
	v_mov_b32_dpp v55, v3 row_shr:2 row_mask:0xf bank_mask:0xf
	v_cndmask_b32_e64 v55, 0, v55, s5
	s_delay_alu instid0(VALU_DEP_1) | instskip(NEXT) | instid1(VALU_DEP_1)
	v_add_nc_u32_e32 v3, v3, v55
	v_mov_b32_dpp v55, v3 row_shr:4 row_mask:0xf bank_mask:0xf
	s_delay_alu instid0(VALU_DEP_1) | instskip(NEXT) | instid1(VALU_DEP_1)
	v_cndmask_b32_e64 v55, 0, v55, s6
	v_add_nc_u32_e32 v3, v3, v55
	s_delay_alu instid0(VALU_DEP_1) | instskip(NEXT) | instid1(VALU_DEP_1)
	v_mov_b32_dpp v55, v3 row_shr:8 row_mask:0xf bank_mask:0xf
	v_cndmask_b32_e64 v55, 0, v55, s7
	s_delay_alu instid0(VALU_DEP_1) | instskip(SKIP_3) | instid1(VALU_DEP_1)
	v_add_nc_u32_e32 v3, v3, v55
	ds_swizzle_b32 v55, v3 offset:swizzle(BROADCAST,32,15)
	s_waitcnt lgkmcnt(0)
	v_cndmask_b32_e64 v55, v55, 0, s8
	v_add_nc_u32_e32 v3, v3, v55
	s_and_saveexec_b32 s14, s13
	s_cbranch_execz .LBB253_12
; %bb.11:                               ;   in Loop: Header=BB253_2 Depth=1
	ds_store_b32 v19, v3
.LBB253_12:                             ;   in Loop: Header=BB253_2 Depth=1
	s_or_b32 exec_lo, exec_lo, s14
	s_waitcnt lgkmcnt(0)
	s_barrier
	buffer_gl0_inv
	s_and_saveexec_b32 s14, s9
	s_cbranch_execz .LBB253_14
; %bb.13:                               ;   in Loop: Header=BB253_2 Depth=1
	ds_load_b32 v55, v23
	s_waitcnt lgkmcnt(0)
	v_mov_b32_dpp v56, v55 row_shr:1 row_mask:0xf bank_mask:0xf
	s_delay_alu instid0(VALU_DEP_1) | instskip(NEXT) | instid1(VALU_DEP_1)
	v_cndmask_b32_e64 v56, v56, 0, s3
	v_add_nc_u32_e32 v55, v56, v55
	s_delay_alu instid0(VALU_DEP_1) | instskip(NEXT) | instid1(VALU_DEP_1)
	v_mov_b32_dpp v56, v55 row_shr:2 row_mask:0xf bank_mask:0xf
	v_cndmask_b32_e64 v56, 0, v56, s12
	s_delay_alu instid0(VALU_DEP_1)
	v_add_nc_u32_e32 v55, v55, v56
	ds_store_b32 v23, v55
.LBB253_14:                             ;   in Loop: Header=BB253_2 Depth=1
	s_or_b32 exec_lo, exec_lo, s14
	v_mov_b32_e32 v55, 0
	s_waitcnt lgkmcnt(0)
	s_barrier
	buffer_gl0_inv
	s_and_saveexec_b32 s14, s10
	s_cbranch_execz .LBB253_1
; %bb.15:                               ;   in Loop: Header=BB253_2 Depth=1
	ds_load_b32 v55, v21
	s_branch .LBB253_1
.LBB253_16:
	v_add_nc_u16 v0, v24, v5
	v_add_nc_u16 v1, v6, v2
	;; [unrolled: 1-line block ×3, first 2 shown]
	s_add_u32 s0, s18, s20
	v_add_nc_u16 v3, v7, v3
	s_addc_u32 s1, s19, 0
	s_clause 0x3
	global_store_b8 v8, v0, s[0:1]
	global_store_b8 v8, v1, s[0:1] offset:128
	global_store_b8 v8, v2, s[0:1] offset:256
	;; [unrolled: 1-line block ×3, first 2 shown]
	s_nop 0
	s_sendmsg sendmsg(MSG_DEALLOC_VGPRS)
	s_endpgm
	.section	.rodata,"a",@progbits
	.p2align	6, 0x0
	.amdhsa_kernel _Z17sort_pairs_kernelI22helper_blocked_stripedaLj128ELj4ELj10EEvPKT0_PS1_
		.amdhsa_group_segment_fixed_size 4112
		.amdhsa_private_segment_fixed_size 0
		.amdhsa_kernarg_size 272
		.amdhsa_user_sgpr_count 15
		.amdhsa_user_sgpr_dispatch_ptr 0
		.amdhsa_user_sgpr_queue_ptr 0
		.amdhsa_user_sgpr_kernarg_segment_ptr 1
		.amdhsa_user_sgpr_dispatch_id 0
		.amdhsa_user_sgpr_private_segment_size 0
		.amdhsa_wavefront_size32 1
		.amdhsa_uses_dynamic_stack 0
		.amdhsa_enable_private_segment 0
		.amdhsa_system_sgpr_workgroup_id_x 1
		.amdhsa_system_sgpr_workgroup_id_y 0
		.amdhsa_system_sgpr_workgroup_id_z 0
		.amdhsa_system_sgpr_workgroup_info 0
		.amdhsa_system_vgpr_workitem_id 2
		.amdhsa_next_free_vgpr 57
		.amdhsa_next_free_sgpr 21
		.amdhsa_reserve_vcc 1
		.amdhsa_float_round_mode_32 0
		.amdhsa_float_round_mode_16_64 0
		.amdhsa_float_denorm_mode_32 3
		.amdhsa_float_denorm_mode_16_64 3
		.amdhsa_dx10_clamp 1
		.amdhsa_ieee_mode 1
		.amdhsa_fp16_overflow 0
		.amdhsa_workgroup_processor_mode 1
		.amdhsa_memory_ordered 1
		.amdhsa_forward_progress 0
		.amdhsa_shared_vgpr_count 0
		.amdhsa_exception_fp_ieee_invalid_op 0
		.amdhsa_exception_fp_denorm_src 0
		.amdhsa_exception_fp_ieee_div_zero 0
		.amdhsa_exception_fp_ieee_overflow 0
		.amdhsa_exception_fp_ieee_underflow 0
		.amdhsa_exception_fp_ieee_inexact 0
		.amdhsa_exception_int_div_zero 0
	.end_amdhsa_kernel
	.section	.text._Z17sort_pairs_kernelI22helper_blocked_stripedaLj128ELj4ELj10EEvPKT0_PS1_,"axG",@progbits,_Z17sort_pairs_kernelI22helper_blocked_stripedaLj128ELj4ELj10EEvPKT0_PS1_,comdat
.Lfunc_end253:
	.size	_Z17sort_pairs_kernelI22helper_blocked_stripedaLj128ELj4ELj10EEvPKT0_PS1_, .Lfunc_end253-_Z17sort_pairs_kernelI22helper_blocked_stripedaLj128ELj4ELj10EEvPKT0_PS1_
                                        ; -- End function
	.section	.AMDGPU.csdata,"",@progbits
; Kernel info:
; codeLenInByte = 4744
; NumSgprs: 23
; NumVgprs: 57
; ScratchSize: 0
; MemoryBound: 0
; FloatMode: 240
; IeeeMode: 1
; LDSByteSize: 4112 bytes/workgroup (compile time only)
; SGPRBlocks: 2
; VGPRBlocks: 7
; NumSGPRsForWavesPerEU: 23
; NumVGPRsForWavesPerEU: 57
; Occupancy: 16
; WaveLimiterHint : 1
; COMPUTE_PGM_RSRC2:SCRATCH_EN: 0
; COMPUTE_PGM_RSRC2:USER_SGPR: 15
; COMPUTE_PGM_RSRC2:TRAP_HANDLER: 0
; COMPUTE_PGM_RSRC2:TGID_X_EN: 1
; COMPUTE_PGM_RSRC2:TGID_Y_EN: 0
; COMPUTE_PGM_RSRC2:TGID_Z_EN: 0
; COMPUTE_PGM_RSRC2:TIDIG_COMP_CNT: 2
	.section	.text._Z16sort_keys_kernelI22helper_blocked_stripedaLj128ELj8ELj10EEvPKT0_PS1_,"axG",@progbits,_Z16sort_keys_kernelI22helper_blocked_stripedaLj128ELj8ELj10EEvPKT0_PS1_,comdat
	.protected	_Z16sort_keys_kernelI22helper_blocked_stripedaLj128ELj8ELj10EEvPKT0_PS1_ ; -- Begin function _Z16sort_keys_kernelI22helper_blocked_stripedaLj128ELj8ELj10EEvPKT0_PS1_
	.globl	_Z16sort_keys_kernelI22helper_blocked_stripedaLj128ELj8ELj10EEvPKT0_PS1_
	.p2align	8
	.type	_Z16sort_keys_kernelI22helper_blocked_stripedaLj128ELj8ELj10EEvPKT0_PS1_,@function
_Z16sort_keys_kernelI22helper_blocked_stripedaLj128ELj8ELj10EEvPKT0_PS1_: ; @_Z16sort_keys_kernelI22helper_blocked_stripedaLj128ELj8ELj10EEvPKT0_PS1_
; %bb.0:
	s_clause 0x1
	s_load_b128 s[16:19], s[0:1], 0x0
	s_load_b32 s2, s[0:1], 0x1c
	s_mov_b32 s14, 0
	s_lshl_b32 s13, s15, 10
	s_mov_b32 s15, s14
	v_and_b32_e32 v8, 0x3ff, v0
	v_bfe_u32 v3, v0, 10, 10
	v_bfe_u32 v0, v0, 20, 10
	v_mbcnt_lo_u32_b32 v6, -1, 0
	s_delay_alu instid0(VALU_DEP_4) | instskip(NEXT) | instid1(VALU_DEP_2)
	v_lshlrev_b32_e32 v5, 3, v8
	v_cmp_eq_u32_e64 s7, 0, v6
	s_waitcnt lgkmcnt(0)
	s_add_u32 s0, s16, s13
	s_addc_u32 s1, s17, 0
	s_mov_b32 s16, s14
	global_load_b64 v[1:2], v5, s[0:1]
	s_mov_b32 s17, s14
	v_and_b32_e32 v7, 0x60, v8
	s_lshr_b32 s0, s2, 16
	v_dual_mov_b32 v11, s16 :: v_dual_mov_b32 v12, s17
	v_mad_u32_u24 v0, v0, s0, v3
	s_delay_alu instid0(VALU_DEP_3)
	v_or_b32_e32 v9, v6, v7
	s_and_b32 s0, s2, 0xffff
	s_delay_alu instid0(VALU_DEP_1) | instid1(SALU_CYCLE_1)
	v_mad_u64_u32 v[3:4], null, v0, s0, v[8:9]
	v_add_nc_u32_e32 v4, -1, v6
	v_and_b32_e32 v0, 15, v6
	v_dual_mov_b32 v9, s14 :: v_dual_lshlrev_b32 v14, 3, v9
	v_lshlrev_b32_e32 v13, 5, v8
	s_delay_alu instid0(VALU_DEP_4)
	v_cmp_gt_i32_e64 s4, 0, v4
	v_lshrrev_b32_e32 v17, 5, v3
	v_and_b32_e32 v3, 16, v6
	v_cmp_eq_u32_e32 vcc_lo, 0, v0
	v_cmp_lt_u32_e64 s0, 1, v0
	v_cmp_lt_u32_e64 s1, 3, v0
	;; [unrolled: 1-line block ×3, first 2 shown]
	v_cmp_eq_u32_e64 s3, 0, v3
	v_cndmask_b32_e64 v0, v4, v6, s4
	v_lshrrev_b32_e32 v3, 3, v8
	v_mov_b32_e32 v10, s15
	v_and_or_b32 v15, 0x300, v5, v6
	v_or_b32_e32 v5, 31, v7
	v_lshlrev_b32_e32 v18, 2, v0
	v_and_b32_e32 v0, 3, v6
	v_and_b32_e32 v19, 12, v3
	v_mul_u32_u24_e32 v3, 3, v8
	v_or_b32_e32 v16, 16, v13
	v_cmp_eq_u32_e64 s4, v5, v8
	v_cmp_gt_u32_e64 s5, 4, v8
	v_cmp_lt_u32_e64 s6, 31, v8
	v_cmp_eq_u32_e64 s8, 0, v8
	v_cmp_eq_u32_e64 s9, 0, v0
	v_cmp_lt_u32_e64 s10, 1, v0
	v_add_nc_u32_e32 v20, -4, v19
	v_add_nc_u32_e32 v21, v8, v3
	s_mov_b32 s14, 10
	s_branch .LBB254_2
.LBB254_1:                              ;   in Loop: Header=BB254_2 Depth=1
	s_or_b32 exec_lo, exec_lo, s11
	s_waitcnt lgkmcnt(0)
	v_add_nc_u32_e32 v3, v53, v3
	s_add_i32 s14, s14, -1
	s_delay_alu instid0(SALU_CYCLE_1) | instskip(SKIP_3) | instid1(VALU_DEP_1)
	s_cmp_eq_u32 s14, 0
	ds_bpermute_b32 v3, v18, v3
	s_waitcnt lgkmcnt(0)
	v_cndmask_b32_e64 v3, v3, v53, s7
	v_cndmask_b32_e64 v3, v3, 0, s8
	s_delay_alu instid0(VALU_DEP_1) | instskip(NEXT) | instid1(VALU_DEP_1)
	v_add_nc_u32_e32 v4, v3, v4
	v_add_nc_u32_e32 v5, v4, v5
	s_delay_alu instid0(VALU_DEP_1) | instskip(NEXT) | instid1(VALU_DEP_1)
	v_add_nc_u32_e32 v6, v5, v6
	v_add_nc_u32_e32 v53, v6, v7
	;; [unrolled: 3-line block ×3, first 2 shown]
	s_delay_alu instid0(VALU_DEP_1)
	v_add_nc_u32_e32 v1, v0, v2
	ds_store_2addr_b64 v13, v[3:4], v[5:6] offset0:2 offset1:3
	ds_store_2addr_b64 v16, v[53:54], v[0:1] offset0:2 offset1:3
	s_waitcnt lgkmcnt(0)
	s_barrier
	buffer_gl0_inv
	ds_load_b32 v0, v31
	ds_load_b32 v1, v34
	;; [unrolled: 1-line block ×8, first 2 shown]
	s_waitcnt lgkmcnt(0)
	s_barrier
	buffer_gl0_inv
	v_add_nc_u32_e32 v0, v0, v30
	v_add3_u32 v1, v33, v32, v1
	v_add3_u32 v2, v36, v35, v2
	;; [unrolled: 1-line block ×7, first 2 shown]
	ds_store_b8 v0, v22
	ds_store_b8 v1, v23
	ds_store_b8 v2, v24
	ds_store_b8 v3, v25
	ds_store_b8 v4, v26
	ds_store_b8 v5, v27
	ds_store_b8 v6, v28
	ds_store_b8 v7, v29
	s_waitcnt lgkmcnt(0)
	s_barrier
	buffer_gl0_inv
	ds_load_u8 v0, v8
	ds_load_u8 v1, v8 offset:128
	ds_load_u8 v2, v8 offset:256
	;; [unrolled: 1-line block ×7, first 2 shown]
	s_waitcnt lgkmcnt(7)
	v_xor_b32_e32 v0, 0xffffff80, v0
	s_waitcnt lgkmcnt(6)
	v_xor_b32_e32 v3, 0xffffff80, v1
	;; [unrolled: 2-line block ×8, first 2 shown]
	v_lshlrev_b16 v1, 8, v3
	v_and_b32_e32 v2, 0xff, v0
	v_lshlrev_b16 v24, 8, v5
	v_and_b32_e32 v25, 0xff, v4
	;; [unrolled: 2-line block ×4, first 2 shown]
	v_or_b32_e32 v1, v2, v1
	v_or_b32_e32 v2, v25, v24
	v_or_b32_e32 v24, v27, v26
	s_delay_alu instid0(VALU_DEP_4) | instskip(NEXT) | instid1(VALU_DEP_4)
	v_or_b32_e32 v25, v29, v28
	v_and_b32_e32 v1, 0xffff, v1
	s_delay_alu instid0(VALU_DEP_4) | instskip(NEXT) | instid1(VALU_DEP_4)
	v_lshlrev_b32_e32 v2, 16, v2
	v_and_b32_e32 v24, 0xffff, v24
	s_delay_alu instid0(VALU_DEP_4) | instskip(NEXT) | instid1(VALU_DEP_3)
	v_lshlrev_b32_e32 v25, 16, v25
	v_or_b32_e32 v1, v1, v2
	s_delay_alu instid0(VALU_DEP_2)
	v_or_b32_e32 v2, v24, v25
	s_cbranch_scc1 .LBB254_24
.LBB254_2:                              ; =>This Inner Loop Header: Depth=1
	s_waitcnt vmcnt(0)
	s_delay_alu instid0(VALU_DEP_1)
	v_lshrrev_b32_e32 v0, 16, v2
	v_lshrrev_b32_e32 v3, 16, v1
	v_xor_b32_e32 v4, 0x80, v2
	v_and_b32_e32 v5, 0xffffff00, v1
	v_xor_b32_e32 v1, 0x80, v1
	v_xor_b32_e32 v6, 0x80, v0
	;; [unrolled: 1-line block ×3, first 2 shown]
	v_and_b32_e32 v2, 0xffffff00, v2
	v_and_b32_e32 v4, 0xff, v4
	;; [unrolled: 1-line block ×7, first 2 shown]
	v_or_b32_e32 v2, v4, v2
	v_or_b32_e32 v0, v6, v0
	;; [unrolled: 1-line block ×3, first 2 shown]
	s_delay_alu instid0(VALU_DEP_4) | instskip(NEXT) | instid1(VALU_DEP_4)
	v_or_b32_e32 v3, v7, v3
	v_add_nc_u16 v2, v2, 0x8000
	s_delay_alu instid0(VALU_DEP_4) | instskip(NEXT) | instid1(VALU_DEP_4)
	v_add_nc_u16 v0, v0, 0x8000
	v_add_nc_u16 v1, v1, 0x8000
	s_delay_alu instid0(VALU_DEP_4) | instskip(NEXT) | instid1(VALU_DEP_4)
	v_add_nc_u16 v3, v3, 0x8000
	v_and_b32_e32 v2, 0xffff, v2
	s_delay_alu instid0(VALU_DEP_4) | instskip(NEXT) | instid1(VALU_DEP_4)
	v_lshlrev_b32_e32 v0, 16, v0
	v_and_b32_e32 v4, 0xffff, v1
	s_delay_alu instid0(VALU_DEP_4) | instskip(NEXT) | instid1(VALU_DEP_3)
	v_lshlrev_b32_e32 v3, 16, v3
	v_or_b32_e32 v1, v2, v0
	s_delay_alu instid0(VALU_DEP_2)
	v_or_b32_e32 v0, v4, v3
	ds_store_b64 v14, v[0:1]
	; wave barrier
	ds_load_u8 v22, v15
	ds_load_u8 v23, v15 offset:32
	ds_load_u8 v24, v15 offset:64
	;; [unrolled: 1-line block ×7, first 2 shown]
	; wave barrier
	; wave barrier
	s_waitcnt lgkmcnt(0)
	s_barrier
	buffer_gl0_inv
	ds_store_2addr_b64 v13, v[9:10], v[11:12] offset0:2 offset1:3
	ds_store_2addr_b64 v16, v[9:10], v[11:12] offset0:2 offset1:3
	s_waitcnt lgkmcnt(0)
	s_barrier
	buffer_gl0_inv
	v_and_b32_e32 v0, 1, v22
	v_lshlrev_b32_e32 v1, 30, v22
	v_lshlrev_b32_e32 v2, 29, v22
	;; [unrolled: 1-line block ×4, first 2 shown]
	v_add_co_u32 v0, s11, v0, -1
	s_delay_alu instid0(VALU_DEP_1)
	v_cndmask_b32_e64 v4, 0, 1, s11
	v_not_b32_e32 v30, v1
	v_cmp_gt_i32_e64 s12, 0, v1
	v_not_b32_e32 v1, v2
	v_lshlrev_b32_e32 v6, 26, v22
	v_cmp_ne_u32_e64 s11, 0, v4
	v_ashrrev_i32_e32 v30, 31, v30
	v_lshlrev_b32_e32 v7, 25, v22
	v_ashrrev_i32_e32 v1, 31, v1
	v_lshlrev_b32_e32 v4, 24, v22
	v_xor_b32_e32 v0, s11, v0
	v_cmp_gt_i32_e64 s11, 0, v2
	v_not_b32_e32 v2, v3
	v_xor_b32_e32 v30, s12, v30
	v_cmp_gt_i32_e64 s12, 0, v3
	v_and_b32_e32 v0, exec_lo, v0
	v_not_b32_e32 v3, v5
	v_ashrrev_i32_e32 v2, 31, v2
	v_xor_b32_e32 v1, s11, v1
	v_cmp_gt_i32_e64 s11, 0, v5
	v_and_b32_e32 v0, v0, v30
	v_not_b32_e32 v5, v6
	v_ashrrev_i32_e32 v3, 31, v3
	v_xor_b32_e32 v2, s12, v2
	v_cmp_gt_i32_e64 s12, 0, v6
	v_and_b32_e32 v0, v0, v1
	v_not_b32_e32 v1, v7
	v_ashrrev_i32_e32 v5, 31, v5
	v_xor_b32_e32 v3, s11, v3
	v_cmp_gt_i32_e64 s11, 0, v7
	v_and_b32_e32 v0, v0, v2
	v_not_b32_e32 v2, v4
	v_ashrrev_i32_e32 v1, 31, v1
	v_xor_b32_e32 v5, s12, v5
	v_cmp_gt_i32_e64 s12, 0, v4
	v_and_b32_e32 v0, v0, v3
	v_ashrrev_i32_e32 v2, 31, v2
	v_xor_b32_e32 v1, s11, v1
	; wave barrier
	s_delay_alu instid0(VALU_DEP_3) | instskip(NEXT) | instid1(VALU_DEP_3)
	v_and_b32_e32 v0, v0, v5
	v_xor_b32_e32 v2, s12, v2
	s_delay_alu instid0(VALU_DEP_2) | instskip(SKIP_1) | instid1(VALU_DEP_2)
	v_and_b32_e32 v0, v0, v1
	v_and_b32_e32 v1, 0xff, v22
	;; [unrolled: 1-line block ×3, first 2 shown]
	s_delay_alu instid0(VALU_DEP_2) | instskip(NEXT) | instid1(VALU_DEP_2)
	v_lshl_add_u32 v1, v1, 2, v17
	v_mbcnt_lo_u32_b32 v30, v0, 0
	v_cmp_ne_u32_e64 s12, 0, v0
	s_delay_alu instid0(VALU_DEP_3) | instskip(NEXT) | instid1(VALU_DEP_3)
	v_lshl_add_u32 v31, v1, 2, 16
	v_cmp_eq_u32_e64 s11, 0, v30
	s_delay_alu instid0(VALU_DEP_1) | instskip(NEXT) | instid1(SALU_CYCLE_1)
	s_and_b32 s12, s12, s11
	s_and_saveexec_b32 s11, s12
	s_cbranch_execz .LBB254_4
; %bb.3:                                ;   in Loop: Header=BB254_2 Depth=1
	v_bcnt_u32_b32 v0, v0, 0
	ds_store_b32 v31, v0
.LBB254_4:                              ;   in Loop: Header=BB254_2 Depth=1
	s_or_b32 exec_lo, exec_lo, s11
	v_and_b32_e32 v0, 1, v23
	v_lshlrev_b32_e32 v2, 30, v23
	v_lshlrev_b32_e32 v4, 29, v23
	;; [unrolled: 1-line block ×4, first 2 shown]
	v_add_co_u32 v0, s11, v0, -1
	s_delay_alu instid0(VALU_DEP_1)
	v_cndmask_b32_e64 v3, 0, 1, s11
	v_not_b32_e32 v7, v2
	v_cmp_gt_i32_e64 s12, 0, v2
	v_not_b32_e32 v2, v4
	v_and_b32_e32 v1, 0xff, v23
	v_cmp_ne_u32_e64 s11, 0, v3
	v_ashrrev_i32_e32 v7, 31, v7
	v_lshlrev_b32_e32 v3, 26, v23
	v_ashrrev_i32_e32 v2, 31, v2
	v_lshlrev_b32_e32 v1, 2, v1
	v_xor_b32_e32 v0, s11, v0
	v_cmp_gt_i32_e64 s11, 0, v4
	v_not_b32_e32 v4, v5
	v_xor_b32_e32 v7, s12, v7
	v_cmp_gt_i32_e64 s12, 0, v5
	v_and_b32_e32 v0, exec_lo, v0
	v_not_b32_e32 v5, v6
	v_ashrrev_i32_e32 v4, 31, v4
	v_xor_b32_e32 v2, s11, v2
	v_cmp_gt_i32_e64 s11, 0, v6
	v_and_b32_e32 v0, v0, v7
	v_lshlrev_b32_e32 v7, 25, v23
	v_ashrrev_i32_e32 v5, 31, v5
	v_xor_b32_e32 v4, s12, v4
	v_not_b32_e32 v6, v3
	v_and_b32_e32 v0, v0, v2
	v_lshlrev_b32_e32 v2, 24, v23
	v_not_b32_e32 v32, v7
	v_xor_b32_e32 v5, s11, v5
	v_cmp_gt_i32_e64 s11, 0, v3
	v_and_b32_e32 v0, v0, v4
	v_ashrrev_i32_e32 v3, 31, v6
	v_cmp_gt_i32_e64 s12, 0, v7
	v_ashrrev_i32_e32 v4, 31, v32
	v_add_lshl_u32 v1, v17, v1, 2
	v_and_b32_e32 v0, v0, v5
	v_not_b32_e32 v5, v2
	v_xor_b32_e32 v3, s11, v3
	v_xor_b32_e32 v4, s12, v4
	v_cmp_gt_i32_e64 s11, 0, v2
	s_delay_alu instid0(VALU_DEP_4) | instskip(NEXT) | instid1(VALU_DEP_4)
	v_ashrrev_i32_e32 v2, 31, v5
	v_and_b32_e32 v0, v0, v3
	; wave barrier
	ds_load_b32 v32, v1 offset:16
	v_add_nc_u32_e32 v34, 16, v1
	v_xor_b32_e32 v2, s11, v2
	v_and_b32_e32 v0, v0, v4
	; wave barrier
	s_delay_alu instid0(VALU_DEP_1) | instskip(NEXT) | instid1(VALU_DEP_1)
	v_and_b32_e32 v0, v0, v2
	v_mbcnt_lo_u32_b32 v33, v0, 0
	v_cmp_ne_u32_e64 s12, 0, v0
	s_delay_alu instid0(VALU_DEP_2) | instskip(NEXT) | instid1(VALU_DEP_1)
	v_cmp_eq_u32_e64 s11, 0, v33
	s_and_b32 s12, s12, s11
	s_delay_alu instid0(SALU_CYCLE_1)
	s_and_saveexec_b32 s11, s12
	s_cbranch_execz .LBB254_6
; %bb.5:                                ;   in Loop: Header=BB254_2 Depth=1
	s_waitcnt lgkmcnt(0)
	v_bcnt_u32_b32 v0, v0, v32
	ds_store_b32 v34, v0
.LBB254_6:                              ;   in Loop: Header=BB254_2 Depth=1
	s_or_b32 exec_lo, exec_lo, s11
	v_and_b32_e32 v0, 1, v24
	v_lshlrev_b32_e32 v2, 30, v24
	v_lshlrev_b32_e32 v4, 29, v24
	;; [unrolled: 1-line block ×4, first 2 shown]
	v_add_co_u32 v0, s11, v0, -1
	s_delay_alu instid0(VALU_DEP_1)
	v_cndmask_b32_e64 v3, 0, 1, s11
	v_not_b32_e32 v7, v2
	v_cmp_gt_i32_e64 s12, 0, v2
	v_not_b32_e32 v2, v4
	v_and_b32_e32 v1, 0xff, v24
	v_cmp_ne_u32_e64 s11, 0, v3
	v_ashrrev_i32_e32 v7, 31, v7
	v_lshlrev_b32_e32 v3, 26, v24
	v_ashrrev_i32_e32 v2, 31, v2
	v_lshlrev_b32_e32 v1, 2, v1
	v_xor_b32_e32 v0, s11, v0
	v_cmp_gt_i32_e64 s11, 0, v4
	v_not_b32_e32 v4, v5
	v_xor_b32_e32 v7, s12, v7
	v_cmp_gt_i32_e64 s12, 0, v5
	v_and_b32_e32 v0, exec_lo, v0
	v_not_b32_e32 v5, v6
	v_ashrrev_i32_e32 v4, 31, v4
	v_xor_b32_e32 v2, s11, v2
	v_cmp_gt_i32_e64 s11, 0, v6
	v_and_b32_e32 v0, v0, v7
	v_lshlrev_b32_e32 v7, 25, v24
	v_ashrrev_i32_e32 v5, 31, v5
	v_xor_b32_e32 v4, s12, v4
	v_not_b32_e32 v6, v3
	v_and_b32_e32 v0, v0, v2
	v_lshlrev_b32_e32 v2, 24, v24
	v_not_b32_e32 v35, v7
	v_xor_b32_e32 v5, s11, v5
	v_cmp_gt_i32_e64 s11, 0, v3
	v_and_b32_e32 v0, v0, v4
	v_ashrrev_i32_e32 v3, 31, v6
	v_cmp_gt_i32_e64 s12, 0, v7
	v_ashrrev_i32_e32 v4, 31, v35
	v_add_lshl_u32 v1, v17, v1, 2
	v_and_b32_e32 v0, v0, v5
	v_not_b32_e32 v5, v2
	v_xor_b32_e32 v3, s11, v3
	v_xor_b32_e32 v4, s12, v4
	v_cmp_gt_i32_e64 s11, 0, v2
	s_delay_alu instid0(VALU_DEP_4) | instskip(NEXT) | instid1(VALU_DEP_4)
	v_ashrrev_i32_e32 v2, 31, v5
	v_and_b32_e32 v0, v0, v3
	; wave barrier
	ds_load_b32 v35, v1 offset:16
	v_add_nc_u32_e32 v37, 16, v1
	v_xor_b32_e32 v2, s11, v2
	v_and_b32_e32 v0, v0, v4
	; wave barrier
	s_delay_alu instid0(VALU_DEP_1) | instskip(NEXT) | instid1(VALU_DEP_1)
	v_and_b32_e32 v0, v0, v2
	v_mbcnt_lo_u32_b32 v36, v0, 0
	v_cmp_ne_u32_e64 s12, 0, v0
	s_delay_alu instid0(VALU_DEP_2) | instskip(NEXT) | instid1(VALU_DEP_1)
	v_cmp_eq_u32_e64 s11, 0, v36
	s_and_b32 s12, s12, s11
	s_delay_alu instid0(SALU_CYCLE_1)
	s_and_saveexec_b32 s11, s12
	s_cbranch_execz .LBB254_8
; %bb.7:                                ;   in Loop: Header=BB254_2 Depth=1
	s_waitcnt lgkmcnt(0)
	v_bcnt_u32_b32 v0, v0, v35
	ds_store_b32 v37, v0
.LBB254_8:                              ;   in Loop: Header=BB254_2 Depth=1
	s_or_b32 exec_lo, exec_lo, s11
	v_and_b32_e32 v0, 1, v25
	v_lshlrev_b32_e32 v2, 30, v25
	v_lshlrev_b32_e32 v4, 29, v25
	;; [unrolled: 1-line block ×4, first 2 shown]
	v_add_co_u32 v0, s11, v0, -1
	s_delay_alu instid0(VALU_DEP_1)
	v_cndmask_b32_e64 v3, 0, 1, s11
	v_not_b32_e32 v7, v2
	v_cmp_gt_i32_e64 s12, 0, v2
	v_not_b32_e32 v2, v4
	v_and_b32_e32 v1, 0xff, v25
	v_cmp_ne_u32_e64 s11, 0, v3
	v_ashrrev_i32_e32 v7, 31, v7
	v_lshlrev_b32_e32 v3, 26, v25
	v_ashrrev_i32_e32 v2, 31, v2
	v_lshlrev_b32_e32 v1, 2, v1
	v_xor_b32_e32 v0, s11, v0
	v_cmp_gt_i32_e64 s11, 0, v4
	v_not_b32_e32 v4, v5
	v_xor_b32_e32 v7, s12, v7
	v_cmp_gt_i32_e64 s12, 0, v5
	v_and_b32_e32 v0, exec_lo, v0
	v_not_b32_e32 v5, v6
	v_ashrrev_i32_e32 v4, 31, v4
	v_xor_b32_e32 v2, s11, v2
	v_cmp_gt_i32_e64 s11, 0, v6
	v_and_b32_e32 v0, v0, v7
	v_lshlrev_b32_e32 v7, 25, v25
	v_ashrrev_i32_e32 v5, 31, v5
	v_xor_b32_e32 v4, s12, v4
	v_not_b32_e32 v6, v3
	v_and_b32_e32 v0, v0, v2
	v_lshlrev_b32_e32 v2, 24, v25
	v_not_b32_e32 v38, v7
	v_xor_b32_e32 v5, s11, v5
	v_cmp_gt_i32_e64 s11, 0, v3
	v_and_b32_e32 v0, v0, v4
	v_ashrrev_i32_e32 v3, 31, v6
	v_cmp_gt_i32_e64 s12, 0, v7
	v_ashrrev_i32_e32 v4, 31, v38
	v_add_lshl_u32 v1, v17, v1, 2
	v_and_b32_e32 v0, v0, v5
	v_not_b32_e32 v5, v2
	v_xor_b32_e32 v3, s11, v3
	v_xor_b32_e32 v4, s12, v4
	v_cmp_gt_i32_e64 s11, 0, v2
	s_delay_alu instid0(VALU_DEP_4) | instskip(NEXT) | instid1(VALU_DEP_4)
	v_ashrrev_i32_e32 v2, 31, v5
	v_and_b32_e32 v0, v0, v3
	; wave barrier
	ds_load_b32 v38, v1 offset:16
	v_add_nc_u32_e32 v40, 16, v1
	v_xor_b32_e32 v2, s11, v2
	v_and_b32_e32 v0, v0, v4
	; wave barrier
	s_delay_alu instid0(VALU_DEP_1) | instskip(NEXT) | instid1(VALU_DEP_1)
	v_and_b32_e32 v0, v0, v2
	v_mbcnt_lo_u32_b32 v39, v0, 0
	v_cmp_ne_u32_e64 s12, 0, v0
	s_delay_alu instid0(VALU_DEP_2) | instskip(NEXT) | instid1(VALU_DEP_1)
	v_cmp_eq_u32_e64 s11, 0, v39
	s_and_b32 s12, s12, s11
	s_delay_alu instid0(SALU_CYCLE_1)
	s_and_saveexec_b32 s11, s12
	s_cbranch_execz .LBB254_10
; %bb.9:                                ;   in Loop: Header=BB254_2 Depth=1
	s_waitcnt lgkmcnt(0)
	v_bcnt_u32_b32 v0, v0, v38
	ds_store_b32 v40, v0
.LBB254_10:                             ;   in Loop: Header=BB254_2 Depth=1
	s_or_b32 exec_lo, exec_lo, s11
	v_and_b32_e32 v0, 1, v26
	v_lshlrev_b32_e32 v2, 30, v26
	v_lshlrev_b32_e32 v4, 29, v26
	;; [unrolled: 1-line block ×4, first 2 shown]
	v_add_co_u32 v0, s11, v0, -1
	s_delay_alu instid0(VALU_DEP_1)
	v_cndmask_b32_e64 v3, 0, 1, s11
	v_not_b32_e32 v7, v2
	v_cmp_gt_i32_e64 s12, 0, v2
	v_not_b32_e32 v2, v4
	v_and_b32_e32 v1, 0xff, v26
	v_cmp_ne_u32_e64 s11, 0, v3
	v_ashrrev_i32_e32 v7, 31, v7
	v_lshlrev_b32_e32 v3, 26, v26
	v_ashrrev_i32_e32 v2, 31, v2
	v_lshlrev_b32_e32 v1, 2, v1
	v_xor_b32_e32 v0, s11, v0
	v_cmp_gt_i32_e64 s11, 0, v4
	v_not_b32_e32 v4, v5
	v_xor_b32_e32 v7, s12, v7
	v_cmp_gt_i32_e64 s12, 0, v5
	v_and_b32_e32 v0, exec_lo, v0
	v_not_b32_e32 v5, v6
	v_ashrrev_i32_e32 v4, 31, v4
	v_xor_b32_e32 v2, s11, v2
	v_cmp_gt_i32_e64 s11, 0, v6
	v_and_b32_e32 v0, v0, v7
	v_lshlrev_b32_e32 v7, 25, v26
	v_ashrrev_i32_e32 v5, 31, v5
	v_xor_b32_e32 v4, s12, v4
	v_not_b32_e32 v6, v3
	v_and_b32_e32 v0, v0, v2
	v_lshlrev_b32_e32 v2, 24, v26
	v_not_b32_e32 v41, v7
	v_xor_b32_e32 v5, s11, v5
	v_cmp_gt_i32_e64 s11, 0, v3
	v_and_b32_e32 v0, v0, v4
	v_ashrrev_i32_e32 v3, 31, v6
	v_cmp_gt_i32_e64 s12, 0, v7
	v_ashrrev_i32_e32 v4, 31, v41
	v_add_lshl_u32 v1, v17, v1, 2
	v_and_b32_e32 v0, v0, v5
	v_not_b32_e32 v5, v2
	v_xor_b32_e32 v3, s11, v3
	v_xor_b32_e32 v4, s12, v4
	v_cmp_gt_i32_e64 s11, 0, v2
	s_delay_alu instid0(VALU_DEP_4) | instskip(NEXT) | instid1(VALU_DEP_4)
	v_ashrrev_i32_e32 v2, 31, v5
	v_and_b32_e32 v0, v0, v3
	; wave barrier
	ds_load_b32 v41, v1 offset:16
	v_add_nc_u32_e32 v43, 16, v1
	v_xor_b32_e32 v2, s11, v2
	v_and_b32_e32 v0, v0, v4
	; wave barrier
	s_delay_alu instid0(VALU_DEP_1) | instskip(NEXT) | instid1(VALU_DEP_1)
	v_and_b32_e32 v0, v0, v2
	v_mbcnt_lo_u32_b32 v42, v0, 0
	v_cmp_ne_u32_e64 s12, 0, v0
	s_delay_alu instid0(VALU_DEP_2) | instskip(NEXT) | instid1(VALU_DEP_1)
	v_cmp_eq_u32_e64 s11, 0, v42
	s_and_b32 s12, s12, s11
	s_delay_alu instid0(SALU_CYCLE_1)
	s_and_saveexec_b32 s11, s12
	s_cbranch_execz .LBB254_12
; %bb.11:                               ;   in Loop: Header=BB254_2 Depth=1
	s_waitcnt lgkmcnt(0)
	v_bcnt_u32_b32 v0, v0, v41
	ds_store_b32 v43, v0
.LBB254_12:                             ;   in Loop: Header=BB254_2 Depth=1
	s_or_b32 exec_lo, exec_lo, s11
	v_and_b32_e32 v0, 1, v27
	v_lshlrev_b32_e32 v2, 30, v27
	v_lshlrev_b32_e32 v4, 29, v27
	;; [unrolled: 1-line block ×4, first 2 shown]
	v_add_co_u32 v0, s11, v0, -1
	s_delay_alu instid0(VALU_DEP_1)
	v_cndmask_b32_e64 v3, 0, 1, s11
	v_not_b32_e32 v7, v2
	v_cmp_gt_i32_e64 s12, 0, v2
	v_not_b32_e32 v2, v4
	v_and_b32_e32 v1, 0xff, v27
	v_cmp_ne_u32_e64 s11, 0, v3
	v_ashrrev_i32_e32 v7, 31, v7
	v_lshlrev_b32_e32 v3, 26, v27
	v_ashrrev_i32_e32 v2, 31, v2
	v_lshlrev_b32_e32 v1, 2, v1
	v_xor_b32_e32 v0, s11, v0
	v_cmp_gt_i32_e64 s11, 0, v4
	v_not_b32_e32 v4, v5
	v_xor_b32_e32 v7, s12, v7
	v_cmp_gt_i32_e64 s12, 0, v5
	v_and_b32_e32 v0, exec_lo, v0
	v_not_b32_e32 v5, v6
	v_ashrrev_i32_e32 v4, 31, v4
	v_xor_b32_e32 v2, s11, v2
	v_cmp_gt_i32_e64 s11, 0, v6
	v_and_b32_e32 v0, v0, v7
	v_lshlrev_b32_e32 v7, 25, v27
	v_ashrrev_i32_e32 v5, 31, v5
	v_xor_b32_e32 v4, s12, v4
	v_not_b32_e32 v6, v3
	v_and_b32_e32 v0, v0, v2
	v_lshlrev_b32_e32 v2, 24, v27
	v_not_b32_e32 v44, v7
	v_xor_b32_e32 v5, s11, v5
	v_cmp_gt_i32_e64 s11, 0, v3
	v_and_b32_e32 v0, v0, v4
	v_ashrrev_i32_e32 v3, 31, v6
	v_cmp_gt_i32_e64 s12, 0, v7
	v_ashrrev_i32_e32 v4, 31, v44
	v_add_lshl_u32 v1, v17, v1, 2
	v_and_b32_e32 v0, v0, v5
	v_not_b32_e32 v5, v2
	v_xor_b32_e32 v3, s11, v3
	v_xor_b32_e32 v4, s12, v4
	v_cmp_gt_i32_e64 s11, 0, v2
	s_delay_alu instid0(VALU_DEP_4) | instskip(NEXT) | instid1(VALU_DEP_4)
	v_ashrrev_i32_e32 v2, 31, v5
	v_and_b32_e32 v0, v0, v3
	; wave barrier
	ds_load_b32 v44, v1 offset:16
	v_add_nc_u32_e32 v46, 16, v1
	v_xor_b32_e32 v2, s11, v2
	v_and_b32_e32 v0, v0, v4
	; wave barrier
	s_delay_alu instid0(VALU_DEP_1) | instskip(NEXT) | instid1(VALU_DEP_1)
	v_and_b32_e32 v0, v0, v2
	v_mbcnt_lo_u32_b32 v45, v0, 0
	v_cmp_ne_u32_e64 s12, 0, v0
	s_delay_alu instid0(VALU_DEP_2) | instskip(NEXT) | instid1(VALU_DEP_1)
	v_cmp_eq_u32_e64 s11, 0, v45
	s_and_b32 s12, s12, s11
	s_delay_alu instid0(SALU_CYCLE_1)
	s_and_saveexec_b32 s11, s12
	s_cbranch_execz .LBB254_14
; %bb.13:                               ;   in Loop: Header=BB254_2 Depth=1
	s_waitcnt lgkmcnt(0)
	v_bcnt_u32_b32 v0, v0, v44
	ds_store_b32 v46, v0
.LBB254_14:                             ;   in Loop: Header=BB254_2 Depth=1
	s_or_b32 exec_lo, exec_lo, s11
	v_and_b32_e32 v0, 1, v28
	v_lshlrev_b32_e32 v2, 30, v28
	v_lshlrev_b32_e32 v4, 29, v28
	v_lshlrev_b32_e32 v5, 28, v28
	v_lshlrev_b32_e32 v6, 27, v28
	v_add_co_u32 v0, s11, v0, -1
	s_delay_alu instid0(VALU_DEP_1)
	v_cndmask_b32_e64 v3, 0, 1, s11
	v_not_b32_e32 v7, v2
	v_cmp_gt_i32_e64 s12, 0, v2
	v_not_b32_e32 v2, v4
	v_and_b32_e32 v1, 0xff, v28
	v_cmp_ne_u32_e64 s11, 0, v3
	v_ashrrev_i32_e32 v7, 31, v7
	v_lshlrev_b32_e32 v3, 26, v28
	v_ashrrev_i32_e32 v2, 31, v2
	v_lshlrev_b32_e32 v1, 2, v1
	v_xor_b32_e32 v0, s11, v0
	v_cmp_gt_i32_e64 s11, 0, v4
	v_not_b32_e32 v4, v5
	v_xor_b32_e32 v7, s12, v7
	v_cmp_gt_i32_e64 s12, 0, v5
	v_and_b32_e32 v0, exec_lo, v0
	v_not_b32_e32 v5, v6
	v_ashrrev_i32_e32 v4, 31, v4
	v_xor_b32_e32 v2, s11, v2
	v_cmp_gt_i32_e64 s11, 0, v6
	v_and_b32_e32 v0, v0, v7
	v_lshlrev_b32_e32 v7, 25, v28
	v_ashrrev_i32_e32 v5, 31, v5
	v_xor_b32_e32 v4, s12, v4
	v_not_b32_e32 v6, v3
	v_and_b32_e32 v0, v0, v2
	v_lshlrev_b32_e32 v2, 24, v28
	v_not_b32_e32 v47, v7
	v_xor_b32_e32 v5, s11, v5
	v_cmp_gt_i32_e64 s11, 0, v3
	v_and_b32_e32 v0, v0, v4
	v_ashrrev_i32_e32 v3, 31, v6
	v_cmp_gt_i32_e64 s12, 0, v7
	v_ashrrev_i32_e32 v4, 31, v47
	v_add_lshl_u32 v1, v17, v1, 2
	v_and_b32_e32 v0, v0, v5
	v_not_b32_e32 v5, v2
	v_xor_b32_e32 v3, s11, v3
	v_xor_b32_e32 v4, s12, v4
	v_cmp_gt_i32_e64 s11, 0, v2
	s_delay_alu instid0(VALU_DEP_4) | instskip(NEXT) | instid1(VALU_DEP_4)
	v_ashrrev_i32_e32 v2, 31, v5
	v_and_b32_e32 v0, v0, v3
	; wave barrier
	ds_load_b32 v47, v1 offset:16
	v_add_nc_u32_e32 v49, 16, v1
	v_xor_b32_e32 v2, s11, v2
	v_and_b32_e32 v0, v0, v4
	; wave barrier
	s_delay_alu instid0(VALU_DEP_1) | instskip(NEXT) | instid1(VALU_DEP_1)
	v_and_b32_e32 v0, v0, v2
	v_mbcnt_lo_u32_b32 v48, v0, 0
	v_cmp_ne_u32_e64 s12, 0, v0
	s_delay_alu instid0(VALU_DEP_2) | instskip(NEXT) | instid1(VALU_DEP_1)
	v_cmp_eq_u32_e64 s11, 0, v48
	s_and_b32 s12, s12, s11
	s_delay_alu instid0(SALU_CYCLE_1)
	s_and_saveexec_b32 s11, s12
	s_cbranch_execz .LBB254_16
; %bb.15:                               ;   in Loop: Header=BB254_2 Depth=1
	s_waitcnt lgkmcnt(0)
	v_bcnt_u32_b32 v0, v0, v47
	ds_store_b32 v49, v0
.LBB254_16:                             ;   in Loop: Header=BB254_2 Depth=1
	s_or_b32 exec_lo, exec_lo, s11
	v_and_b32_e32 v0, 1, v29
	v_lshlrev_b32_e32 v2, 30, v29
	v_lshlrev_b32_e32 v4, 29, v29
	;; [unrolled: 1-line block ×4, first 2 shown]
	v_add_co_u32 v0, s11, v0, -1
	s_delay_alu instid0(VALU_DEP_1)
	v_cndmask_b32_e64 v3, 0, 1, s11
	v_not_b32_e32 v7, v2
	v_cmp_gt_i32_e64 s12, 0, v2
	v_not_b32_e32 v2, v4
	v_and_b32_e32 v1, 0xff, v29
	v_cmp_ne_u32_e64 s11, 0, v3
	v_ashrrev_i32_e32 v7, 31, v7
	v_lshlrev_b32_e32 v3, 26, v29
	v_ashrrev_i32_e32 v2, 31, v2
	v_lshlrev_b32_e32 v1, 2, v1
	v_xor_b32_e32 v0, s11, v0
	v_cmp_gt_i32_e64 s11, 0, v4
	v_not_b32_e32 v4, v5
	v_xor_b32_e32 v7, s12, v7
	v_cmp_gt_i32_e64 s12, 0, v5
	v_and_b32_e32 v0, exec_lo, v0
	v_not_b32_e32 v5, v6
	v_ashrrev_i32_e32 v4, 31, v4
	v_xor_b32_e32 v2, s11, v2
	v_cmp_gt_i32_e64 s11, 0, v6
	v_and_b32_e32 v0, v0, v7
	v_lshlrev_b32_e32 v7, 25, v29
	v_ashrrev_i32_e32 v5, 31, v5
	v_xor_b32_e32 v4, s12, v4
	v_not_b32_e32 v6, v3
	v_and_b32_e32 v0, v0, v2
	v_lshlrev_b32_e32 v2, 24, v29
	v_not_b32_e32 v50, v7
	v_xor_b32_e32 v5, s11, v5
	v_cmp_gt_i32_e64 s11, 0, v3
	v_and_b32_e32 v0, v0, v4
	v_ashrrev_i32_e32 v3, 31, v6
	v_cmp_gt_i32_e64 s12, 0, v7
	v_ashrrev_i32_e32 v4, 31, v50
	v_add_lshl_u32 v1, v17, v1, 2
	v_and_b32_e32 v0, v0, v5
	v_not_b32_e32 v5, v2
	v_xor_b32_e32 v3, s11, v3
	v_xor_b32_e32 v4, s12, v4
	v_cmp_gt_i32_e64 s11, 0, v2
	s_delay_alu instid0(VALU_DEP_4) | instskip(NEXT) | instid1(VALU_DEP_4)
	v_ashrrev_i32_e32 v2, 31, v5
	v_and_b32_e32 v0, v0, v3
	; wave barrier
	ds_load_b32 v50, v1 offset:16
	v_add_nc_u32_e32 v52, 16, v1
	v_xor_b32_e32 v2, s11, v2
	v_and_b32_e32 v0, v0, v4
	; wave barrier
	s_delay_alu instid0(VALU_DEP_1) | instskip(NEXT) | instid1(VALU_DEP_1)
	v_and_b32_e32 v0, v0, v2
	v_mbcnt_lo_u32_b32 v51, v0, 0
	v_cmp_ne_u32_e64 s12, 0, v0
	s_delay_alu instid0(VALU_DEP_2) | instskip(NEXT) | instid1(VALU_DEP_1)
	v_cmp_eq_u32_e64 s11, 0, v51
	s_and_b32 s12, s12, s11
	s_delay_alu instid0(SALU_CYCLE_1)
	s_and_saveexec_b32 s11, s12
	s_cbranch_execz .LBB254_18
; %bb.17:                               ;   in Loop: Header=BB254_2 Depth=1
	s_waitcnt lgkmcnt(0)
	v_bcnt_u32_b32 v0, v0, v50
	ds_store_b32 v52, v0
.LBB254_18:                             ;   in Loop: Header=BB254_2 Depth=1
	s_or_b32 exec_lo, exec_lo, s11
	; wave barrier
	s_waitcnt lgkmcnt(0)
	s_barrier
	buffer_gl0_inv
	ds_load_2addr_b64 v[4:7], v13 offset0:2 offset1:3
	ds_load_2addr_b64 v[0:3], v16 offset0:2 offset1:3
	s_waitcnt lgkmcnt(1)
	v_add_nc_u32_e32 v53, v5, v4
	s_delay_alu instid0(VALU_DEP_1) | instskip(SKIP_1) | instid1(VALU_DEP_1)
	v_add3_u32 v53, v53, v6, v7
	s_waitcnt lgkmcnt(0)
	v_add3_u32 v53, v53, v0, v1
	s_delay_alu instid0(VALU_DEP_1) | instskip(NEXT) | instid1(VALU_DEP_1)
	v_add3_u32 v3, v53, v2, v3
	v_mov_b32_dpp v53, v3 row_shr:1 row_mask:0xf bank_mask:0xf
	s_delay_alu instid0(VALU_DEP_1) | instskip(NEXT) | instid1(VALU_DEP_1)
	v_cndmask_b32_e64 v53, v53, 0, vcc_lo
	v_add_nc_u32_e32 v3, v53, v3
	s_delay_alu instid0(VALU_DEP_1) | instskip(NEXT) | instid1(VALU_DEP_1)
	v_mov_b32_dpp v53, v3 row_shr:2 row_mask:0xf bank_mask:0xf
	v_cndmask_b32_e64 v53, 0, v53, s0
	s_delay_alu instid0(VALU_DEP_1) | instskip(NEXT) | instid1(VALU_DEP_1)
	v_add_nc_u32_e32 v3, v3, v53
	v_mov_b32_dpp v53, v3 row_shr:4 row_mask:0xf bank_mask:0xf
	s_delay_alu instid0(VALU_DEP_1) | instskip(NEXT) | instid1(VALU_DEP_1)
	v_cndmask_b32_e64 v53, 0, v53, s1
	v_add_nc_u32_e32 v3, v3, v53
	s_delay_alu instid0(VALU_DEP_1) | instskip(NEXT) | instid1(VALU_DEP_1)
	v_mov_b32_dpp v53, v3 row_shr:8 row_mask:0xf bank_mask:0xf
	v_cndmask_b32_e64 v53, 0, v53, s2
	s_delay_alu instid0(VALU_DEP_1) | instskip(SKIP_3) | instid1(VALU_DEP_1)
	v_add_nc_u32_e32 v3, v3, v53
	ds_swizzle_b32 v53, v3 offset:swizzle(BROADCAST,32,15)
	s_waitcnt lgkmcnt(0)
	v_cndmask_b32_e64 v53, v53, 0, s3
	v_add_nc_u32_e32 v3, v3, v53
	s_and_saveexec_b32 s11, s4
	s_cbranch_execz .LBB254_20
; %bb.19:                               ;   in Loop: Header=BB254_2 Depth=1
	ds_store_b32 v19, v3
.LBB254_20:                             ;   in Loop: Header=BB254_2 Depth=1
	s_or_b32 exec_lo, exec_lo, s11
	s_waitcnt lgkmcnt(0)
	s_barrier
	buffer_gl0_inv
	s_and_saveexec_b32 s11, s5
	s_cbranch_execz .LBB254_22
; %bb.21:                               ;   in Loop: Header=BB254_2 Depth=1
	ds_load_b32 v53, v21
	s_waitcnt lgkmcnt(0)
	v_mov_b32_dpp v54, v53 row_shr:1 row_mask:0xf bank_mask:0xf
	s_delay_alu instid0(VALU_DEP_1) | instskip(NEXT) | instid1(VALU_DEP_1)
	v_cndmask_b32_e64 v54, v54, 0, s9
	v_add_nc_u32_e32 v53, v54, v53
	s_delay_alu instid0(VALU_DEP_1) | instskip(NEXT) | instid1(VALU_DEP_1)
	v_mov_b32_dpp v54, v53 row_shr:2 row_mask:0xf bank_mask:0xf
	v_cndmask_b32_e64 v54, 0, v54, s10
	s_delay_alu instid0(VALU_DEP_1)
	v_add_nc_u32_e32 v53, v53, v54
	ds_store_b32 v21, v53
.LBB254_22:                             ;   in Loop: Header=BB254_2 Depth=1
	s_or_b32 exec_lo, exec_lo, s11
	v_mov_b32_e32 v53, 0
	s_waitcnt lgkmcnt(0)
	s_barrier
	buffer_gl0_inv
	s_and_saveexec_b32 s11, s6
	s_cbranch_execz .LBB254_1
; %bb.23:                               ;   in Loop: Header=BB254_2 Depth=1
	ds_load_b32 v53, v20
	s_branch .LBB254_1
.LBB254_24:
	s_add_u32 s0, s18, s13
	s_addc_u32 s1, s19, 0
	s_clause 0x7
	global_store_b8 v8, v0, s[0:1]
	global_store_b8 v8, v3, s[0:1] offset:128
	global_store_b8 v8, v4, s[0:1] offset:256
	;; [unrolled: 1-line block ×7, first 2 shown]
	s_nop 0
	s_sendmsg sendmsg(MSG_DEALLOC_VGPRS)
	s_endpgm
	.section	.rodata,"a",@progbits
	.p2align	6, 0x0
	.amdhsa_kernel _Z16sort_keys_kernelI22helper_blocked_stripedaLj128ELj8ELj10EEvPKT0_PS1_
		.amdhsa_group_segment_fixed_size 4112
		.amdhsa_private_segment_fixed_size 0
		.amdhsa_kernarg_size 272
		.amdhsa_user_sgpr_count 15
		.amdhsa_user_sgpr_dispatch_ptr 0
		.amdhsa_user_sgpr_queue_ptr 0
		.amdhsa_user_sgpr_kernarg_segment_ptr 1
		.amdhsa_user_sgpr_dispatch_id 0
		.amdhsa_user_sgpr_private_segment_size 0
		.amdhsa_wavefront_size32 1
		.amdhsa_uses_dynamic_stack 0
		.amdhsa_enable_private_segment 0
		.amdhsa_system_sgpr_workgroup_id_x 1
		.amdhsa_system_sgpr_workgroup_id_y 0
		.amdhsa_system_sgpr_workgroup_id_z 0
		.amdhsa_system_sgpr_workgroup_info 0
		.amdhsa_system_vgpr_workitem_id 2
		.amdhsa_next_free_vgpr 55
		.amdhsa_next_free_sgpr 20
		.amdhsa_reserve_vcc 1
		.amdhsa_float_round_mode_32 0
		.amdhsa_float_round_mode_16_64 0
		.amdhsa_float_denorm_mode_32 3
		.amdhsa_float_denorm_mode_16_64 3
		.amdhsa_dx10_clamp 1
		.amdhsa_ieee_mode 1
		.amdhsa_fp16_overflow 0
		.amdhsa_workgroup_processor_mode 1
		.amdhsa_memory_ordered 1
		.amdhsa_forward_progress 0
		.amdhsa_shared_vgpr_count 0
		.amdhsa_exception_fp_ieee_invalid_op 0
		.amdhsa_exception_fp_denorm_src 0
		.amdhsa_exception_fp_ieee_div_zero 0
		.amdhsa_exception_fp_ieee_overflow 0
		.amdhsa_exception_fp_ieee_underflow 0
		.amdhsa_exception_fp_ieee_inexact 0
		.amdhsa_exception_int_div_zero 0
	.end_amdhsa_kernel
	.section	.text._Z16sort_keys_kernelI22helper_blocked_stripedaLj128ELj8ELj10EEvPKT0_PS1_,"axG",@progbits,_Z16sort_keys_kernelI22helper_blocked_stripedaLj128ELj8ELj10EEvPKT0_PS1_,comdat
.Lfunc_end254:
	.size	_Z16sort_keys_kernelI22helper_blocked_stripedaLj128ELj8ELj10EEvPKT0_PS1_, .Lfunc_end254-_Z16sort_keys_kernelI22helper_blocked_stripedaLj128ELj8ELj10EEvPKT0_PS1_
                                        ; -- End function
	.section	.AMDGPU.csdata,"",@progbits
; Kernel info:
; codeLenInByte = 4544
; NumSgprs: 22
; NumVgprs: 55
; ScratchSize: 0
; MemoryBound: 0
; FloatMode: 240
; IeeeMode: 1
; LDSByteSize: 4112 bytes/workgroup (compile time only)
; SGPRBlocks: 2
; VGPRBlocks: 6
; NumSGPRsForWavesPerEU: 22
; NumVGPRsForWavesPerEU: 55
; Occupancy: 16
; WaveLimiterHint : 1
; COMPUTE_PGM_RSRC2:SCRATCH_EN: 0
; COMPUTE_PGM_RSRC2:USER_SGPR: 15
; COMPUTE_PGM_RSRC2:TRAP_HANDLER: 0
; COMPUTE_PGM_RSRC2:TGID_X_EN: 1
; COMPUTE_PGM_RSRC2:TGID_Y_EN: 0
; COMPUTE_PGM_RSRC2:TGID_Z_EN: 0
; COMPUTE_PGM_RSRC2:TIDIG_COMP_CNT: 2
	.section	.text._Z17sort_pairs_kernelI22helper_blocked_stripedaLj128ELj8ELj10EEvPKT0_PS1_,"axG",@progbits,_Z17sort_pairs_kernelI22helper_blocked_stripedaLj128ELj8ELj10EEvPKT0_PS1_,comdat
	.protected	_Z17sort_pairs_kernelI22helper_blocked_stripedaLj128ELj8ELj10EEvPKT0_PS1_ ; -- Begin function _Z17sort_pairs_kernelI22helper_blocked_stripedaLj128ELj8ELj10EEvPKT0_PS1_
	.globl	_Z17sort_pairs_kernelI22helper_blocked_stripedaLj128ELj8ELj10EEvPKT0_PS1_
	.p2align	8
	.type	_Z17sort_pairs_kernelI22helper_blocked_stripedaLj128ELj8ELj10EEvPKT0_PS1_,@function
_Z17sort_pairs_kernelI22helper_blocked_stripedaLj128ELj8ELj10EEvPKT0_PS1_: ; @_Z17sort_pairs_kernelI22helper_blocked_stripedaLj128ELj8ELj10EEvPKT0_PS1_
; %bb.0:
	s_clause 0x1
	s_load_b128 s[16:19], s[0:1], 0x0
	s_load_b32 s10, s[0:1], 0x1c
	v_and_b32_e32 v8, 0x3ff, v0
	s_lshl_b32 s13, s15, 10
	v_mbcnt_lo_u32_b32 v4, -1, 0
	v_bfe_u32 v5, v0, 10, 10
	v_bfe_u32 v0, v0, 20, 10
	v_lshlrev_b32_e32 v1, 3, v8
	s_mov_b32 s14, 10
	v_add_nc_u32_e32 v14, -1, v4
	v_and_b32_e32 v6, 15, v4
	v_and_b32_e32 v7, 16, v4
	v_cmp_eq_u32_e32 vcc_lo, 0, v4
	v_and_b32_e32 v15, 3, v4
	v_cmp_gt_i32_e64 s7, 0, v14
	s_delay_alu instid0(VALU_DEP_4) | instskip(NEXT) | instid1(VALU_DEP_3)
	v_cmp_eq_u32_e64 s4, 0, v7
	v_cmp_eq_u32_e64 s8, 0, v15
	v_cmp_lt_u32_e64 s9, 1, v15
	s_waitcnt lgkmcnt(0)
	s_add_u32 s0, s16, s13
	s_addc_u32 s1, s17, 0
	s_lshr_b32 s11, s10, 16
	global_load_b64 v[2:3], v1, s[0:1]
	s_mov_b32 s0, 0
	v_mad_u32_u24 v5, v0, s11, v5
	s_mov_b32 s1, s0
	s_mov_b32 s2, s0
	v_mov_b32_e32 v10, s1
	s_mov_b32 s3, s0
	s_delay_alu instid0(SALU_CYCLE_1)
	v_dual_mov_b32 v9, s0 :: v_dual_mov_b32 v12, s3
	v_dual_mov_b32 v11, s2 :: v_dual_and_b32 v16, 0x60, v8
	v_cmp_eq_u32_e64 s0, 0, v6
	v_cmp_lt_u32_e64 s1, 1, v6
	v_cmp_lt_u32_e64 s2, 3, v6
	;; [unrolled: 1-line block ×3, first 2 shown]
	v_cndmask_b32_e64 v6, v14, v4, s7
	v_lshrrev_b32_e32 v7, 3, v8
	v_or_b32_e32 v18, v4, v16
	v_and_or_b32 v14, 0x300, v1, v4
	v_or_b32_e32 v4, 31, v16
	v_lshlrev_b32_e32 v16, 2, v6
	v_and_b32_e32 v17, 12, v7
	s_and_b32 s10, s10, 0xffff
	v_lshlrev_b32_e32 v13, 5, v8
	v_mul_u32_u24_e32 v21, 3, v8
	v_cmp_gt_u32_e64 s5, 4, v8
	v_cmp_lt_u32_e64 s6, 31, v8
	v_cmp_eq_u32_e64 s7, 0, v8
	v_or_b32_e32 v15, 16, v13
	v_lshlrev_b32_e32 v18, 3, v18
	v_add_nc_u32_e32 v21, v8, v21
	s_waitcnt vmcnt(0)
	v_lshrrev_b32_e32 v6, 16, v2
	v_lshrrev_b32_e32 v20, 16, v3
	;; [unrolled: 1-line block ×6, first 2 shown]
	v_add_nc_u16 v23, v2, 1
	v_add_nc_u16 v24, v3, 1
	;; [unrolled: 1-line block ×4, first 2 shown]
	v_lshlrev_b16 v1, 8, v1
	v_lshlrev_b16 v7, 8, v7
	;; [unrolled: 1-line block ×4, first 2 shown]
	v_and_b32_e32 v23, 0xff, v23
	v_and_b32_e32 v24, 0xff, v24
	;; [unrolled: 1-line block ×4, first 2 shown]
	s_delay_alu instid0(VALU_DEP_4) | instskip(NEXT) | instid1(VALU_DEP_4)
	v_or_b32_e32 v23, v1, v23
	v_or_b32_e32 v19, v19, v24
	s_delay_alu instid0(VALU_DEP_4) | instskip(NEXT) | instid1(VALU_DEP_4)
	v_or_b32_e32 v6, v7, v6
	v_or_b32_e32 v7, v22, v20
	v_mad_u64_u32 v[0:1], null, v5, s10, v[8:9]
	v_add_nc_u16 v1, v23, 0x100
	v_add_nc_u16 v5, v19, 0x100
	;; [unrolled: 1-line block ×4, first 2 shown]
	v_cmp_eq_u32_e64 s10, v4, v8
	v_and_b32_e32 v1, 0xffff, v1
	v_and_b32_e32 v5, 0xffff, v5
	v_lshlrev_b32_e32 v6, 16, v6
	v_lshlrev_b32_e32 v7, 16, v7
	v_add_nc_u32_e32 v19, -4, v17
	v_lshrrev_b32_e32 v20, 5, v0
	s_delay_alu instid0(VALU_DEP_4) | instskip(NEXT) | instid1(VALU_DEP_4)
	v_or_b32_e32 v0, v1, v6
	v_or_b32_e32 v1, v5, v7
	s_branch .LBB255_2
.LBB255_1:                              ;   in Loop: Header=BB255_2 Depth=1
	s_or_b32 exec_lo, exec_lo, s11
	s_waitcnt lgkmcnt(0)
	v_add_nc_u32_e32 v3, v61, v3
	s_add_i32 s14, s14, -1
	s_delay_alu instid0(SALU_CYCLE_1) | instskip(SKIP_3) | instid1(VALU_DEP_1)
	s_cmp_eq_u32 s14, 0
	ds_bpermute_b32 v3, v16, v3
	s_waitcnt lgkmcnt(0)
	v_cndmask_b32_e32 v3, v3, v61, vcc_lo
	v_cndmask_b32_e64 v3, v3, 0, s7
	s_delay_alu instid0(VALU_DEP_1) | instskip(NEXT) | instid1(VALU_DEP_1)
	v_add_nc_u32_e32 v4, v3, v4
	v_add_nc_u32_e32 v5, v4, v5
	s_delay_alu instid0(VALU_DEP_1) | instskip(NEXT) | instid1(VALU_DEP_1)
	v_add_nc_u32_e32 v6, v5, v6
	v_add_nc_u32_e32 v61, v6, v7
	;; [unrolled: 3-line block ×3, first 2 shown]
	s_delay_alu instid0(VALU_DEP_1)
	v_add_nc_u32_e32 v1, v0, v2
	ds_store_2addr_b64 v13, v[3:4], v[5:6] offset0:2 offset1:3
	ds_store_2addr_b64 v15, v[61:62], v[0:1] offset0:2 offset1:3
	s_waitcnt lgkmcnt(0)
	s_barrier
	buffer_gl0_inv
	ds_load_b32 v0, v39
	ds_load_b32 v1, v42
	;; [unrolled: 1-line block ×8, first 2 shown]
	s_waitcnt lgkmcnt(0)
	s_barrier
	buffer_gl0_inv
	v_add_nc_u32_e32 v0, v0, v38
	v_add3_u32 v1, v41, v40, v1
	v_add3_u32 v2, v44, v43, v2
	;; [unrolled: 1-line block ×7, first 2 shown]
	ds_store_b8 v0, v22
	ds_store_b8 v1, v23
	;; [unrolled: 1-line block ×8, first 2 shown]
	s_waitcnt lgkmcnt(0)
	s_barrier
	buffer_gl0_inv
	ds_load_u8 v26, v8
	ds_load_u8 v28, v8 offset:128
	ds_load_u8 v29, v8 offset:256
	;; [unrolled: 1-line block ×7, first 2 shown]
	s_waitcnt lgkmcnt(0)
	s_barrier
	buffer_gl0_inv
	ds_store_b8 v0, v30
	ds_store_b8 v1, v31
	;; [unrolled: 1-line block ×8, first 2 shown]
	s_waitcnt lgkmcnt(0)
	s_barrier
	buffer_gl0_inv
	ds_load_u8 v5, v8 offset:128
	ds_load_u8 v6, v8 offset:384
	;; [unrolled: 1-line block ×4, first 2 shown]
	ds_load_u8 v25, v8
	ds_load_u8 v24, v8 offset:256
	ds_load_u8 v23, v8 offset:512
	;; [unrolled: 1-line block ×3, first 2 shown]
	v_xor_b32_e32 v27, 0xffffff80, v26
	v_xor_b32_e32 v28, 0xffffff80, v28
	;; [unrolled: 1-line block ×8, first 2 shown]
	s_waitcnt lgkmcnt(7)
	v_lshlrev_b16 v0, 8, v5
	s_waitcnt lgkmcnt(6)
	v_lshlrev_b16 v1, 8, v6
	s_waitcnt lgkmcnt(5)
	v_lshlrev_b16 v2, 8, v7
	s_waitcnt lgkmcnt(4)
	v_lshlrev_b16 v3, 8, v4
	v_lshlrev_b16 v34, 8, v28
	v_and_b32_e32 v35, 0xff, v27
	v_lshlrev_b16 v36, 8, v30
	v_and_b32_e32 v37, 0xff, v29
	;; [unrolled: 2-line block ×4, first 2 shown]
	s_waitcnt lgkmcnt(3)
	v_or_b32_e32 v0, v25, v0
	s_waitcnt lgkmcnt(2)
	v_or_b32_e32 v1, v24, v1
	;; [unrolled: 2-line block ×4, first 2 shown]
	v_or_b32_e32 v34, v35, v34
	v_or_b32_e32 v35, v37, v36
	;; [unrolled: 1-line block ×4, first 2 shown]
	v_and_b32_e32 v0, 0xffff, v0
	v_lshlrev_b32_e32 v1, 16, v1
	v_and_b32_e32 v2, 0xffff, v2
	v_lshlrev_b32_e32 v3, 16, v3
	;; [unrolled: 2-line block ×4, first 2 shown]
	v_or_b32_e32 v0, v0, v1
	v_or_b32_e32 v1, v2, v3
	;; [unrolled: 1-line block ×3, first 2 shown]
	s_delay_alu instid0(VALU_DEP_4)
	v_or_b32_e32 v3, v36, v37
	s_cbranch_scc1 .LBB255_24
.LBB255_2:                              ; =>This Inner Loop Header: Depth=1
	s_delay_alu instid0(VALU_DEP_1) | instskip(NEXT) | instid1(VALU_DEP_3)
	v_lshrrev_b32_e32 v4, 16, v3
	v_lshrrev_b32_e32 v5, 16, v2
	v_xor_b32_e32 v6, 0x80, v3
	v_and_b32_e32 v7, 0xffffff00, v2
	v_xor_b32_e32 v2, 0x80, v2
	v_xor_b32_e32 v22, 0x80, v4
	;; [unrolled: 1-line block ×3, first 2 shown]
	v_and_b32_e32 v3, 0xffffff00, v3
	v_and_b32_e32 v6, 0xff, v6
	;; [unrolled: 1-line block ×7, first 2 shown]
	v_or_b32_e32 v3, v6, v3
	v_or_b32_e32 v4, v22, v4
	;; [unrolled: 1-line block ×3, first 2 shown]
	s_delay_alu instid0(VALU_DEP_4) | instskip(NEXT) | instid1(VALU_DEP_4)
	v_or_b32_e32 v5, v23, v5
	v_add_nc_u16 v3, v3, 0x8000
	s_delay_alu instid0(VALU_DEP_4) | instskip(NEXT) | instid1(VALU_DEP_4)
	v_add_nc_u16 v4, v4, 0x8000
	v_add_nc_u16 v2, v2, 0x8000
	s_delay_alu instid0(VALU_DEP_4) | instskip(NEXT) | instid1(VALU_DEP_4)
	v_add_nc_u16 v5, v5, 0x8000
	v_and_b32_e32 v3, 0xffff, v3
	s_delay_alu instid0(VALU_DEP_4) | instskip(NEXT) | instid1(VALU_DEP_4)
	v_lshlrev_b32_e32 v4, 16, v4
	v_and_b32_e32 v2, 0xffff, v2
	s_delay_alu instid0(VALU_DEP_4) | instskip(NEXT) | instid1(VALU_DEP_3)
	v_lshlrev_b32_e32 v5, 16, v5
	v_or_b32_e32 v3, v3, v4
	s_delay_alu instid0(VALU_DEP_2)
	v_or_b32_e32 v2, v2, v5
	ds_store_b64 v18, v[2:3]
	; wave barrier
	ds_load_u8 v22, v14
	ds_load_u8 v23, v14 offset:32
	ds_load_u8 v24, v14 offset:64
	;; [unrolled: 1-line block ×7, first 2 shown]
	; wave barrier
	ds_store_b64 v18, v[0:1]
	; wave barrier
	s_waitcnt lgkmcnt(8)
	v_and_b32_e32 v2, 1, v22
	v_lshlrev_b32_e32 v3, 30, v22
	v_lshlrev_b32_e32 v4, 29, v22
	;; [unrolled: 1-line block ×4, first 2 shown]
	v_add_co_u32 v2, s11, v2, -1
	s_delay_alu instid0(VALU_DEP_1)
	v_cndmask_b32_e64 v6, 0, 1, s11
	v_not_b32_e32 v32, v3
	v_cmp_gt_i32_e64 s12, 0, v3
	v_not_b32_e32 v3, v4
	v_lshlrev_b32_e32 v30, 26, v22
	v_cmp_ne_u32_e64 s11, 0, v6
	v_ashrrev_i32_e32 v32, 31, v32
	v_lshlrev_b32_e32 v31, 25, v22
	v_ashrrev_i32_e32 v3, 31, v3
	v_lshlrev_b32_e32 v6, 24, v22
	v_xor_b32_e32 v2, s11, v2
	v_cmp_gt_i32_e64 s11, 0, v4
	v_not_b32_e32 v4, v5
	v_xor_b32_e32 v32, s12, v32
	v_cmp_gt_i32_e64 s12, 0, v5
	v_and_b32_e32 v2, exec_lo, v2
	v_not_b32_e32 v5, v7
	v_ashrrev_i32_e32 v4, 31, v4
	v_xor_b32_e32 v3, s11, v3
	v_cmp_gt_i32_e64 s11, 0, v7
	v_and_b32_e32 v2, v2, v32
	v_not_b32_e32 v7, v30
	v_ashrrev_i32_e32 v5, 31, v5
	v_xor_b32_e32 v4, s12, v4
	v_cmp_gt_i32_e64 s12, 0, v30
	v_and_b32_e32 v2, v2, v3
	;; [unrolled: 5-line block ×4, first 2 shown]
	v_ashrrev_i32_e32 v4, 31, v4
	v_xor_b32_e32 v3, s11, v3
	ds_load_u8 v30, v14
	ds_load_u8 v31, v14 offset:32
	ds_load_u8 v32, v14 offset:64
	ds_load_u8 v33, v14 offset:96
	ds_load_u8 v34, v14 offset:128
	ds_load_u8 v35, v14 offset:160
	ds_load_u8 v36, v14 offset:192
	ds_load_u8 v37, v14 offset:224
	s_waitcnt lgkmcnt(0)
	v_and_b32_e32 v2, v2, v7
	v_xor_b32_e32 v0, s12, v4
	s_barrier
	buffer_gl0_inv
	ds_store_2addr_b64 v13, v[9:10], v[11:12] offset0:2 offset1:3
	ds_store_2addr_b64 v15, v[9:10], v[11:12] offset0:2 offset1:3
	v_and_b32_e32 v1, v2, v3
	s_waitcnt lgkmcnt(0)
	s_barrier
	buffer_gl0_inv
	v_and_b32_e32 v0, v1, v0
	v_and_b32_e32 v1, 0xff, v22
	; wave barrier
	s_delay_alu instid0(VALU_DEP_2) | instskip(NEXT) | instid1(VALU_DEP_2)
	v_mbcnt_lo_u32_b32 v38, v0, 0
	v_lshl_add_u32 v1, v1, 2, v20
	v_cmp_ne_u32_e64 s12, 0, v0
	s_delay_alu instid0(VALU_DEP_3) | instskip(NEXT) | instid1(VALU_DEP_3)
	v_cmp_eq_u32_e64 s11, 0, v38
	v_lshl_add_u32 v39, v1, 2, 16
	s_delay_alu instid0(VALU_DEP_2) | instskip(NEXT) | instid1(SALU_CYCLE_1)
	s_and_b32 s12, s12, s11
	s_and_saveexec_b32 s11, s12
	s_cbranch_execz .LBB255_4
; %bb.3:                                ;   in Loop: Header=BB255_2 Depth=1
	v_bcnt_u32_b32 v0, v0, 0
	ds_store_b32 v39, v0
.LBB255_4:                              ;   in Loop: Header=BB255_2 Depth=1
	s_or_b32 exec_lo, exec_lo, s11
	v_and_b32_e32 v0, 1, v23
	v_lshlrev_b32_e32 v2, 30, v23
	v_lshlrev_b32_e32 v4, 29, v23
	;; [unrolled: 1-line block ×4, first 2 shown]
	v_add_co_u32 v0, s11, v0, -1
	s_delay_alu instid0(VALU_DEP_1)
	v_cndmask_b32_e64 v3, 0, 1, s11
	v_not_b32_e32 v7, v2
	v_cmp_gt_i32_e64 s12, 0, v2
	v_not_b32_e32 v2, v4
	v_and_b32_e32 v1, 0xff, v23
	v_cmp_ne_u32_e64 s11, 0, v3
	v_ashrrev_i32_e32 v7, 31, v7
	v_lshlrev_b32_e32 v3, 26, v23
	v_ashrrev_i32_e32 v2, 31, v2
	v_lshlrev_b32_e32 v1, 2, v1
	v_xor_b32_e32 v0, s11, v0
	v_cmp_gt_i32_e64 s11, 0, v4
	v_not_b32_e32 v4, v5
	v_xor_b32_e32 v7, s12, v7
	v_cmp_gt_i32_e64 s12, 0, v5
	v_and_b32_e32 v0, exec_lo, v0
	v_not_b32_e32 v5, v6
	v_ashrrev_i32_e32 v4, 31, v4
	v_xor_b32_e32 v2, s11, v2
	v_cmp_gt_i32_e64 s11, 0, v6
	v_and_b32_e32 v0, v0, v7
	v_lshlrev_b32_e32 v7, 25, v23
	v_ashrrev_i32_e32 v5, 31, v5
	v_xor_b32_e32 v4, s12, v4
	v_not_b32_e32 v6, v3
	v_and_b32_e32 v0, v0, v2
	v_lshlrev_b32_e32 v2, 24, v23
	v_not_b32_e32 v40, v7
	v_xor_b32_e32 v5, s11, v5
	v_cmp_gt_i32_e64 s11, 0, v3
	v_and_b32_e32 v0, v0, v4
	v_ashrrev_i32_e32 v3, 31, v6
	v_cmp_gt_i32_e64 s12, 0, v7
	v_ashrrev_i32_e32 v4, 31, v40
	v_add_lshl_u32 v1, v20, v1, 2
	v_and_b32_e32 v0, v0, v5
	v_not_b32_e32 v5, v2
	v_xor_b32_e32 v3, s11, v3
	v_xor_b32_e32 v4, s12, v4
	v_cmp_gt_i32_e64 s11, 0, v2
	s_delay_alu instid0(VALU_DEP_4) | instskip(NEXT) | instid1(VALU_DEP_4)
	v_ashrrev_i32_e32 v2, 31, v5
	v_and_b32_e32 v0, v0, v3
	; wave barrier
	ds_load_b32 v40, v1 offset:16
	v_add_nc_u32_e32 v42, 16, v1
	v_xor_b32_e32 v2, s11, v2
	v_and_b32_e32 v0, v0, v4
	; wave barrier
	s_delay_alu instid0(VALU_DEP_1) | instskip(NEXT) | instid1(VALU_DEP_1)
	v_and_b32_e32 v0, v0, v2
	v_mbcnt_lo_u32_b32 v41, v0, 0
	v_cmp_ne_u32_e64 s12, 0, v0
	s_delay_alu instid0(VALU_DEP_2) | instskip(NEXT) | instid1(VALU_DEP_1)
	v_cmp_eq_u32_e64 s11, 0, v41
	s_and_b32 s12, s12, s11
	s_delay_alu instid0(SALU_CYCLE_1)
	s_and_saveexec_b32 s11, s12
	s_cbranch_execz .LBB255_6
; %bb.5:                                ;   in Loop: Header=BB255_2 Depth=1
	s_waitcnt lgkmcnt(0)
	v_bcnt_u32_b32 v0, v0, v40
	ds_store_b32 v42, v0
.LBB255_6:                              ;   in Loop: Header=BB255_2 Depth=1
	s_or_b32 exec_lo, exec_lo, s11
	v_and_b32_e32 v0, 1, v24
	v_lshlrev_b32_e32 v2, 30, v24
	v_lshlrev_b32_e32 v4, 29, v24
	;; [unrolled: 1-line block ×4, first 2 shown]
	v_add_co_u32 v0, s11, v0, -1
	s_delay_alu instid0(VALU_DEP_1)
	v_cndmask_b32_e64 v3, 0, 1, s11
	v_not_b32_e32 v7, v2
	v_cmp_gt_i32_e64 s12, 0, v2
	v_not_b32_e32 v2, v4
	v_and_b32_e32 v1, 0xff, v24
	v_cmp_ne_u32_e64 s11, 0, v3
	v_ashrrev_i32_e32 v7, 31, v7
	v_lshlrev_b32_e32 v3, 26, v24
	v_ashrrev_i32_e32 v2, 31, v2
	v_lshlrev_b32_e32 v1, 2, v1
	v_xor_b32_e32 v0, s11, v0
	v_cmp_gt_i32_e64 s11, 0, v4
	v_not_b32_e32 v4, v5
	v_xor_b32_e32 v7, s12, v7
	v_cmp_gt_i32_e64 s12, 0, v5
	v_and_b32_e32 v0, exec_lo, v0
	v_not_b32_e32 v5, v6
	v_ashrrev_i32_e32 v4, 31, v4
	v_xor_b32_e32 v2, s11, v2
	v_cmp_gt_i32_e64 s11, 0, v6
	v_and_b32_e32 v0, v0, v7
	v_lshlrev_b32_e32 v7, 25, v24
	v_ashrrev_i32_e32 v5, 31, v5
	v_xor_b32_e32 v4, s12, v4
	v_not_b32_e32 v6, v3
	v_and_b32_e32 v0, v0, v2
	v_lshlrev_b32_e32 v2, 24, v24
	v_not_b32_e32 v43, v7
	v_xor_b32_e32 v5, s11, v5
	v_cmp_gt_i32_e64 s11, 0, v3
	v_and_b32_e32 v0, v0, v4
	v_ashrrev_i32_e32 v3, 31, v6
	v_cmp_gt_i32_e64 s12, 0, v7
	v_ashrrev_i32_e32 v4, 31, v43
	v_add_lshl_u32 v1, v20, v1, 2
	v_and_b32_e32 v0, v0, v5
	v_not_b32_e32 v5, v2
	v_xor_b32_e32 v3, s11, v3
	v_xor_b32_e32 v4, s12, v4
	v_cmp_gt_i32_e64 s11, 0, v2
	s_delay_alu instid0(VALU_DEP_4) | instskip(NEXT) | instid1(VALU_DEP_4)
	v_ashrrev_i32_e32 v2, 31, v5
	v_and_b32_e32 v0, v0, v3
	; wave barrier
	ds_load_b32 v43, v1 offset:16
	v_add_nc_u32_e32 v45, 16, v1
	v_xor_b32_e32 v2, s11, v2
	v_and_b32_e32 v0, v0, v4
	; wave barrier
	s_delay_alu instid0(VALU_DEP_1) | instskip(NEXT) | instid1(VALU_DEP_1)
	v_and_b32_e32 v0, v0, v2
	v_mbcnt_lo_u32_b32 v44, v0, 0
	v_cmp_ne_u32_e64 s12, 0, v0
	s_delay_alu instid0(VALU_DEP_2) | instskip(NEXT) | instid1(VALU_DEP_1)
	v_cmp_eq_u32_e64 s11, 0, v44
	s_and_b32 s12, s12, s11
	s_delay_alu instid0(SALU_CYCLE_1)
	s_and_saveexec_b32 s11, s12
	s_cbranch_execz .LBB255_8
; %bb.7:                                ;   in Loop: Header=BB255_2 Depth=1
	s_waitcnt lgkmcnt(0)
	v_bcnt_u32_b32 v0, v0, v43
	ds_store_b32 v45, v0
.LBB255_8:                              ;   in Loop: Header=BB255_2 Depth=1
	s_or_b32 exec_lo, exec_lo, s11
	v_and_b32_e32 v0, 1, v25
	v_lshlrev_b32_e32 v2, 30, v25
	v_lshlrev_b32_e32 v4, 29, v25
	;; [unrolled: 1-line block ×4, first 2 shown]
	v_add_co_u32 v0, s11, v0, -1
	s_delay_alu instid0(VALU_DEP_1)
	v_cndmask_b32_e64 v3, 0, 1, s11
	v_not_b32_e32 v7, v2
	v_cmp_gt_i32_e64 s12, 0, v2
	v_not_b32_e32 v2, v4
	v_and_b32_e32 v1, 0xff, v25
	v_cmp_ne_u32_e64 s11, 0, v3
	v_ashrrev_i32_e32 v7, 31, v7
	v_lshlrev_b32_e32 v3, 26, v25
	v_ashrrev_i32_e32 v2, 31, v2
	v_lshlrev_b32_e32 v1, 2, v1
	v_xor_b32_e32 v0, s11, v0
	v_cmp_gt_i32_e64 s11, 0, v4
	v_not_b32_e32 v4, v5
	v_xor_b32_e32 v7, s12, v7
	v_cmp_gt_i32_e64 s12, 0, v5
	v_and_b32_e32 v0, exec_lo, v0
	v_not_b32_e32 v5, v6
	v_ashrrev_i32_e32 v4, 31, v4
	v_xor_b32_e32 v2, s11, v2
	v_cmp_gt_i32_e64 s11, 0, v6
	v_and_b32_e32 v0, v0, v7
	v_lshlrev_b32_e32 v7, 25, v25
	v_ashrrev_i32_e32 v5, 31, v5
	v_xor_b32_e32 v4, s12, v4
	v_not_b32_e32 v6, v3
	v_and_b32_e32 v0, v0, v2
	v_lshlrev_b32_e32 v2, 24, v25
	v_not_b32_e32 v46, v7
	v_xor_b32_e32 v5, s11, v5
	v_cmp_gt_i32_e64 s11, 0, v3
	v_and_b32_e32 v0, v0, v4
	v_ashrrev_i32_e32 v3, 31, v6
	v_cmp_gt_i32_e64 s12, 0, v7
	v_ashrrev_i32_e32 v4, 31, v46
	v_add_lshl_u32 v1, v20, v1, 2
	v_and_b32_e32 v0, v0, v5
	v_not_b32_e32 v5, v2
	v_xor_b32_e32 v3, s11, v3
	v_xor_b32_e32 v4, s12, v4
	v_cmp_gt_i32_e64 s11, 0, v2
	s_delay_alu instid0(VALU_DEP_4) | instskip(NEXT) | instid1(VALU_DEP_4)
	v_ashrrev_i32_e32 v2, 31, v5
	v_and_b32_e32 v0, v0, v3
	; wave barrier
	ds_load_b32 v46, v1 offset:16
	v_add_nc_u32_e32 v48, 16, v1
	v_xor_b32_e32 v2, s11, v2
	v_and_b32_e32 v0, v0, v4
	; wave barrier
	s_delay_alu instid0(VALU_DEP_1) | instskip(NEXT) | instid1(VALU_DEP_1)
	v_and_b32_e32 v0, v0, v2
	v_mbcnt_lo_u32_b32 v47, v0, 0
	v_cmp_ne_u32_e64 s12, 0, v0
	s_delay_alu instid0(VALU_DEP_2) | instskip(NEXT) | instid1(VALU_DEP_1)
	v_cmp_eq_u32_e64 s11, 0, v47
	s_and_b32 s12, s12, s11
	s_delay_alu instid0(SALU_CYCLE_1)
	s_and_saveexec_b32 s11, s12
	s_cbranch_execz .LBB255_10
; %bb.9:                                ;   in Loop: Header=BB255_2 Depth=1
	s_waitcnt lgkmcnt(0)
	v_bcnt_u32_b32 v0, v0, v46
	ds_store_b32 v48, v0
.LBB255_10:                             ;   in Loop: Header=BB255_2 Depth=1
	s_or_b32 exec_lo, exec_lo, s11
	v_and_b32_e32 v0, 1, v26
	v_lshlrev_b32_e32 v2, 30, v26
	v_lshlrev_b32_e32 v4, 29, v26
	;; [unrolled: 1-line block ×4, first 2 shown]
	v_add_co_u32 v0, s11, v0, -1
	s_delay_alu instid0(VALU_DEP_1)
	v_cndmask_b32_e64 v3, 0, 1, s11
	v_not_b32_e32 v7, v2
	v_cmp_gt_i32_e64 s12, 0, v2
	v_not_b32_e32 v2, v4
	v_and_b32_e32 v1, 0xff, v26
	v_cmp_ne_u32_e64 s11, 0, v3
	v_ashrrev_i32_e32 v7, 31, v7
	v_lshlrev_b32_e32 v3, 26, v26
	v_ashrrev_i32_e32 v2, 31, v2
	v_lshlrev_b32_e32 v1, 2, v1
	v_xor_b32_e32 v0, s11, v0
	v_cmp_gt_i32_e64 s11, 0, v4
	v_not_b32_e32 v4, v5
	v_xor_b32_e32 v7, s12, v7
	v_cmp_gt_i32_e64 s12, 0, v5
	v_and_b32_e32 v0, exec_lo, v0
	v_not_b32_e32 v5, v6
	v_ashrrev_i32_e32 v4, 31, v4
	v_xor_b32_e32 v2, s11, v2
	v_cmp_gt_i32_e64 s11, 0, v6
	v_and_b32_e32 v0, v0, v7
	v_lshlrev_b32_e32 v7, 25, v26
	v_ashrrev_i32_e32 v5, 31, v5
	v_xor_b32_e32 v4, s12, v4
	v_not_b32_e32 v6, v3
	v_and_b32_e32 v0, v0, v2
	v_lshlrev_b32_e32 v2, 24, v26
	v_not_b32_e32 v49, v7
	v_xor_b32_e32 v5, s11, v5
	v_cmp_gt_i32_e64 s11, 0, v3
	v_and_b32_e32 v0, v0, v4
	v_ashrrev_i32_e32 v3, 31, v6
	v_cmp_gt_i32_e64 s12, 0, v7
	v_ashrrev_i32_e32 v4, 31, v49
	v_add_lshl_u32 v1, v20, v1, 2
	v_and_b32_e32 v0, v0, v5
	v_not_b32_e32 v5, v2
	v_xor_b32_e32 v3, s11, v3
	v_xor_b32_e32 v4, s12, v4
	v_cmp_gt_i32_e64 s11, 0, v2
	s_delay_alu instid0(VALU_DEP_4) | instskip(NEXT) | instid1(VALU_DEP_4)
	v_ashrrev_i32_e32 v2, 31, v5
	v_and_b32_e32 v0, v0, v3
	; wave barrier
	ds_load_b32 v49, v1 offset:16
	v_add_nc_u32_e32 v51, 16, v1
	v_xor_b32_e32 v2, s11, v2
	v_and_b32_e32 v0, v0, v4
	; wave barrier
	s_delay_alu instid0(VALU_DEP_1) | instskip(NEXT) | instid1(VALU_DEP_1)
	v_and_b32_e32 v0, v0, v2
	v_mbcnt_lo_u32_b32 v50, v0, 0
	v_cmp_ne_u32_e64 s12, 0, v0
	s_delay_alu instid0(VALU_DEP_2) | instskip(NEXT) | instid1(VALU_DEP_1)
	v_cmp_eq_u32_e64 s11, 0, v50
	s_and_b32 s12, s12, s11
	s_delay_alu instid0(SALU_CYCLE_1)
	s_and_saveexec_b32 s11, s12
	s_cbranch_execz .LBB255_12
; %bb.11:                               ;   in Loop: Header=BB255_2 Depth=1
	s_waitcnt lgkmcnt(0)
	v_bcnt_u32_b32 v0, v0, v49
	ds_store_b32 v51, v0
.LBB255_12:                             ;   in Loop: Header=BB255_2 Depth=1
	s_or_b32 exec_lo, exec_lo, s11
	v_and_b32_e32 v0, 1, v27
	v_lshlrev_b32_e32 v2, 30, v27
	v_lshlrev_b32_e32 v4, 29, v27
	;; [unrolled: 1-line block ×4, first 2 shown]
	v_add_co_u32 v0, s11, v0, -1
	s_delay_alu instid0(VALU_DEP_1)
	v_cndmask_b32_e64 v3, 0, 1, s11
	v_not_b32_e32 v7, v2
	v_cmp_gt_i32_e64 s12, 0, v2
	v_not_b32_e32 v2, v4
	v_and_b32_e32 v1, 0xff, v27
	v_cmp_ne_u32_e64 s11, 0, v3
	v_ashrrev_i32_e32 v7, 31, v7
	v_lshlrev_b32_e32 v3, 26, v27
	v_ashrrev_i32_e32 v2, 31, v2
	v_lshlrev_b32_e32 v1, 2, v1
	v_xor_b32_e32 v0, s11, v0
	v_cmp_gt_i32_e64 s11, 0, v4
	v_not_b32_e32 v4, v5
	v_xor_b32_e32 v7, s12, v7
	v_cmp_gt_i32_e64 s12, 0, v5
	v_and_b32_e32 v0, exec_lo, v0
	v_not_b32_e32 v5, v6
	v_ashrrev_i32_e32 v4, 31, v4
	v_xor_b32_e32 v2, s11, v2
	v_cmp_gt_i32_e64 s11, 0, v6
	v_and_b32_e32 v0, v0, v7
	v_lshlrev_b32_e32 v7, 25, v27
	v_ashrrev_i32_e32 v5, 31, v5
	v_xor_b32_e32 v4, s12, v4
	v_not_b32_e32 v6, v3
	v_and_b32_e32 v0, v0, v2
	v_lshlrev_b32_e32 v2, 24, v27
	v_not_b32_e32 v52, v7
	v_xor_b32_e32 v5, s11, v5
	v_cmp_gt_i32_e64 s11, 0, v3
	v_and_b32_e32 v0, v0, v4
	v_ashrrev_i32_e32 v3, 31, v6
	v_cmp_gt_i32_e64 s12, 0, v7
	v_ashrrev_i32_e32 v4, 31, v52
	v_add_lshl_u32 v1, v20, v1, 2
	v_and_b32_e32 v0, v0, v5
	v_not_b32_e32 v5, v2
	v_xor_b32_e32 v3, s11, v3
	v_xor_b32_e32 v4, s12, v4
	v_cmp_gt_i32_e64 s11, 0, v2
	s_delay_alu instid0(VALU_DEP_4) | instskip(NEXT) | instid1(VALU_DEP_4)
	v_ashrrev_i32_e32 v2, 31, v5
	v_and_b32_e32 v0, v0, v3
	; wave barrier
	ds_load_b32 v52, v1 offset:16
	v_add_nc_u32_e32 v54, 16, v1
	v_xor_b32_e32 v2, s11, v2
	v_and_b32_e32 v0, v0, v4
	; wave barrier
	s_delay_alu instid0(VALU_DEP_1) | instskip(NEXT) | instid1(VALU_DEP_1)
	v_and_b32_e32 v0, v0, v2
	v_mbcnt_lo_u32_b32 v53, v0, 0
	v_cmp_ne_u32_e64 s12, 0, v0
	s_delay_alu instid0(VALU_DEP_2) | instskip(NEXT) | instid1(VALU_DEP_1)
	v_cmp_eq_u32_e64 s11, 0, v53
	s_and_b32 s12, s12, s11
	s_delay_alu instid0(SALU_CYCLE_1)
	s_and_saveexec_b32 s11, s12
	s_cbranch_execz .LBB255_14
; %bb.13:                               ;   in Loop: Header=BB255_2 Depth=1
	s_waitcnt lgkmcnt(0)
	v_bcnt_u32_b32 v0, v0, v52
	ds_store_b32 v54, v0
.LBB255_14:                             ;   in Loop: Header=BB255_2 Depth=1
	s_or_b32 exec_lo, exec_lo, s11
	v_and_b32_e32 v0, 1, v28
	v_lshlrev_b32_e32 v2, 30, v28
	v_lshlrev_b32_e32 v4, 29, v28
	;; [unrolled: 1-line block ×4, first 2 shown]
	v_add_co_u32 v0, s11, v0, -1
	s_delay_alu instid0(VALU_DEP_1)
	v_cndmask_b32_e64 v3, 0, 1, s11
	v_not_b32_e32 v7, v2
	v_cmp_gt_i32_e64 s12, 0, v2
	v_not_b32_e32 v2, v4
	v_and_b32_e32 v1, 0xff, v28
	v_cmp_ne_u32_e64 s11, 0, v3
	v_ashrrev_i32_e32 v7, 31, v7
	v_lshlrev_b32_e32 v3, 26, v28
	v_ashrrev_i32_e32 v2, 31, v2
	v_lshlrev_b32_e32 v1, 2, v1
	v_xor_b32_e32 v0, s11, v0
	v_cmp_gt_i32_e64 s11, 0, v4
	v_not_b32_e32 v4, v5
	v_xor_b32_e32 v7, s12, v7
	v_cmp_gt_i32_e64 s12, 0, v5
	v_and_b32_e32 v0, exec_lo, v0
	v_not_b32_e32 v5, v6
	v_ashrrev_i32_e32 v4, 31, v4
	v_xor_b32_e32 v2, s11, v2
	v_cmp_gt_i32_e64 s11, 0, v6
	v_and_b32_e32 v0, v0, v7
	v_lshlrev_b32_e32 v7, 25, v28
	v_ashrrev_i32_e32 v5, 31, v5
	v_xor_b32_e32 v4, s12, v4
	v_not_b32_e32 v6, v3
	v_and_b32_e32 v0, v0, v2
	v_lshlrev_b32_e32 v2, 24, v28
	v_not_b32_e32 v55, v7
	v_xor_b32_e32 v5, s11, v5
	v_cmp_gt_i32_e64 s11, 0, v3
	v_and_b32_e32 v0, v0, v4
	v_ashrrev_i32_e32 v3, 31, v6
	v_cmp_gt_i32_e64 s12, 0, v7
	v_ashrrev_i32_e32 v4, 31, v55
	v_add_lshl_u32 v1, v20, v1, 2
	v_and_b32_e32 v0, v0, v5
	v_not_b32_e32 v5, v2
	v_xor_b32_e32 v3, s11, v3
	v_xor_b32_e32 v4, s12, v4
	v_cmp_gt_i32_e64 s11, 0, v2
	s_delay_alu instid0(VALU_DEP_4) | instskip(NEXT) | instid1(VALU_DEP_4)
	v_ashrrev_i32_e32 v2, 31, v5
	v_and_b32_e32 v0, v0, v3
	; wave barrier
	ds_load_b32 v55, v1 offset:16
	v_add_nc_u32_e32 v57, 16, v1
	v_xor_b32_e32 v2, s11, v2
	v_and_b32_e32 v0, v0, v4
	; wave barrier
	s_delay_alu instid0(VALU_DEP_1) | instskip(NEXT) | instid1(VALU_DEP_1)
	v_and_b32_e32 v0, v0, v2
	v_mbcnt_lo_u32_b32 v56, v0, 0
	v_cmp_ne_u32_e64 s12, 0, v0
	s_delay_alu instid0(VALU_DEP_2) | instskip(NEXT) | instid1(VALU_DEP_1)
	v_cmp_eq_u32_e64 s11, 0, v56
	s_and_b32 s12, s12, s11
	s_delay_alu instid0(SALU_CYCLE_1)
	s_and_saveexec_b32 s11, s12
	s_cbranch_execz .LBB255_16
; %bb.15:                               ;   in Loop: Header=BB255_2 Depth=1
	s_waitcnt lgkmcnt(0)
	v_bcnt_u32_b32 v0, v0, v55
	ds_store_b32 v57, v0
.LBB255_16:                             ;   in Loop: Header=BB255_2 Depth=1
	s_or_b32 exec_lo, exec_lo, s11
	v_and_b32_e32 v0, 1, v29
	v_lshlrev_b32_e32 v2, 30, v29
	v_lshlrev_b32_e32 v4, 29, v29
	;; [unrolled: 1-line block ×4, first 2 shown]
	v_add_co_u32 v0, s11, v0, -1
	s_delay_alu instid0(VALU_DEP_1)
	v_cndmask_b32_e64 v3, 0, 1, s11
	v_not_b32_e32 v7, v2
	v_cmp_gt_i32_e64 s12, 0, v2
	v_not_b32_e32 v2, v4
	v_and_b32_e32 v1, 0xff, v29
	v_cmp_ne_u32_e64 s11, 0, v3
	v_ashrrev_i32_e32 v7, 31, v7
	v_lshlrev_b32_e32 v3, 26, v29
	v_ashrrev_i32_e32 v2, 31, v2
	v_lshlrev_b32_e32 v1, 2, v1
	v_xor_b32_e32 v0, s11, v0
	v_cmp_gt_i32_e64 s11, 0, v4
	v_not_b32_e32 v4, v5
	v_xor_b32_e32 v7, s12, v7
	v_cmp_gt_i32_e64 s12, 0, v5
	v_and_b32_e32 v0, exec_lo, v0
	v_not_b32_e32 v5, v6
	v_ashrrev_i32_e32 v4, 31, v4
	v_xor_b32_e32 v2, s11, v2
	v_cmp_gt_i32_e64 s11, 0, v6
	v_and_b32_e32 v0, v0, v7
	v_lshlrev_b32_e32 v7, 25, v29
	v_ashrrev_i32_e32 v5, 31, v5
	v_xor_b32_e32 v4, s12, v4
	v_not_b32_e32 v6, v3
	v_and_b32_e32 v0, v0, v2
	v_lshlrev_b32_e32 v2, 24, v29
	v_not_b32_e32 v58, v7
	v_xor_b32_e32 v5, s11, v5
	v_cmp_gt_i32_e64 s11, 0, v3
	v_and_b32_e32 v0, v0, v4
	v_ashrrev_i32_e32 v3, 31, v6
	v_cmp_gt_i32_e64 s12, 0, v7
	v_ashrrev_i32_e32 v4, 31, v58
	v_add_lshl_u32 v1, v20, v1, 2
	v_and_b32_e32 v0, v0, v5
	v_not_b32_e32 v5, v2
	v_xor_b32_e32 v3, s11, v3
	v_xor_b32_e32 v4, s12, v4
	v_cmp_gt_i32_e64 s11, 0, v2
	s_delay_alu instid0(VALU_DEP_4) | instskip(NEXT) | instid1(VALU_DEP_4)
	v_ashrrev_i32_e32 v2, 31, v5
	v_and_b32_e32 v0, v0, v3
	; wave barrier
	ds_load_b32 v58, v1 offset:16
	v_add_nc_u32_e32 v60, 16, v1
	v_xor_b32_e32 v2, s11, v2
	v_and_b32_e32 v0, v0, v4
	; wave barrier
	s_delay_alu instid0(VALU_DEP_1) | instskip(NEXT) | instid1(VALU_DEP_1)
	v_and_b32_e32 v0, v0, v2
	v_mbcnt_lo_u32_b32 v59, v0, 0
	v_cmp_ne_u32_e64 s12, 0, v0
	s_delay_alu instid0(VALU_DEP_2) | instskip(NEXT) | instid1(VALU_DEP_1)
	v_cmp_eq_u32_e64 s11, 0, v59
	s_and_b32 s12, s12, s11
	s_delay_alu instid0(SALU_CYCLE_1)
	s_and_saveexec_b32 s11, s12
	s_cbranch_execz .LBB255_18
; %bb.17:                               ;   in Loop: Header=BB255_2 Depth=1
	s_waitcnt lgkmcnt(0)
	v_bcnt_u32_b32 v0, v0, v58
	ds_store_b32 v60, v0
.LBB255_18:                             ;   in Loop: Header=BB255_2 Depth=1
	s_or_b32 exec_lo, exec_lo, s11
	; wave barrier
	s_waitcnt lgkmcnt(0)
	s_barrier
	buffer_gl0_inv
	ds_load_2addr_b64 v[4:7], v13 offset0:2 offset1:3
	ds_load_2addr_b64 v[0:3], v15 offset0:2 offset1:3
	s_waitcnt lgkmcnt(1)
	v_add_nc_u32_e32 v61, v5, v4
	s_delay_alu instid0(VALU_DEP_1) | instskip(SKIP_1) | instid1(VALU_DEP_1)
	v_add3_u32 v61, v61, v6, v7
	s_waitcnt lgkmcnt(0)
	v_add3_u32 v61, v61, v0, v1
	s_delay_alu instid0(VALU_DEP_1) | instskip(NEXT) | instid1(VALU_DEP_1)
	v_add3_u32 v3, v61, v2, v3
	v_mov_b32_dpp v61, v3 row_shr:1 row_mask:0xf bank_mask:0xf
	s_delay_alu instid0(VALU_DEP_1) | instskip(NEXT) | instid1(VALU_DEP_1)
	v_cndmask_b32_e64 v61, v61, 0, s0
	v_add_nc_u32_e32 v3, v61, v3
	s_delay_alu instid0(VALU_DEP_1) | instskip(NEXT) | instid1(VALU_DEP_1)
	v_mov_b32_dpp v61, v3 row_shr:2 row_mask:0xf bank_mask:0xf
	v_cndmask_b32_e64 v61, 0, v61, s1
	s_delay_alu instid0(VALU_DEP_1) | instskip(NEXT) | instid1(VALU_DEP_1)
	v_add_nc_u32_e32 v3, v3, v61
	v_mov_b32_dpp v61, v3 row_shr:4 row_mask:0xf bank_mask:0xf
	s_delay_alu instid0(VALU_DEP_1) | instskip(NEXT) | instid1(VALU_DEP_1)
	v_cndmask_b32_e64 v61, 0, v61, s2
	v_add_nc_u32_e32 v3, v3, v61
	s_delay_alu instid0(VALU_DEP_1) | instskip(NEXT) | instid1(VALU_DEP_1)
	v_mov_b32_dpp v61, v3 row_shr:8 row_mask:0xf bank_mask:0xf
	v_cndmask_b32_e64 v61, 0, v61, s3
	s_delay_alu instid0(VALU_DEP_1) | instskip(SKIP_3) | instid1(VALU_DEP_1)
	v_add_nc_u32_e32 v3, v3, v61
	ds_swizzle_b32 v61, v3 offset:swizzle(BROADCAST,32,15)
	s_waitcnt lgkmcnt(0)
	v_cndmask_b32_e64 v61, v61, 0, s4
	v_add_nc_u32_e32 v3, v3, v61
	s_and_saveexec_b32 s11, s10
	s_cbranch_execz .LBB255_20
; %bb.19:                               ;   in Loop: Header=BB255_2 Depth=1
	ds_store_b32 v17, v3
.LBB255_20:                             ;   in Loop: Header=BB255_2 Depth=1
	s_or_b32 exec_lo, exec_lo, s11
	s_waitcnt lgkmcnt(0)
	s_barrier
	buffer_gl0_inv
	s_and_saveexec_b32 s11, s5
	s_cbranch_execz .LBB255_22
; %bb.21:                               ;   in Loop: Header=BB255_2 Depth=1
	ds_load_b32 v61, v21
	s_waitcnt lgkmcnt(0)
	v_mov_b32_dpp v62, v61 row_shr:1 row_mask:0xf bank_mask:0xf
	s_delay_alu instid0(VALU_DEP_1) | instskip(NEXT) | instid1(VALU_DEP_1)
	v_cndmask_b32_e64 v62, v62, 0, s8
	v_add_nc_u32_e32 v61, v62, v61
	s_delay_alu instid0(VALU_DEP_1) | instskip(NEXT) | instid1(VALU_DEP_1)
	v_mov_b32_dpp v62, v61 row_shr:2 row_mask:0xf bank_mask:0xf
	v_cndmask_b32_e64 v62, 0, v62, s9
	s_delay_alu instid0(VALU_DEP_1)
	v_add_nc_u32_e32 v61, v61, v62
	ds_store_b32 v21, v61
.LBB255_22:                             ;   in Loop: Header=BB255_2 Depth=1
	s_or_b32 exec_lo, exec_lo, s11
	v_mov_b32_e32 v61, 0
	s_waitcnt lgkmcnt(0)
	s_barrier
	buffer_gl0_inv
	s_and_saveexec_b32 s11, s6
	s_cbranch_execz .LBB255_1
; %bb.23:                               ;   in Loop: Header=BB255_2 Depth=1
	ds_load_b32 v61, v19
	s_branch .LBB255_1
.LBB255_24:
	v_add_nc_u16 v0, v27, v25
	v_add_nc_u16 v1, v28, v5
	;; [unrolled: 1-line block ×3, first 2 shown]
	s_add_u32 s0, s18, s13
	v_add_nc_u16 v3, v30, v6
	s_addc_u32 s1, s19, 0
	v_add_nc_u16 v5, v31, v23
	v_add_nc_u16 v6, v32, v7
	;; [unrolled: 1-line block ×4, first 2 shown]
	s_clause 0x7
	global_store_b8 v8, v0, s[0:1]
	global_store_b8 v8, v1, s[0:1] offset:128
	global_store_b8 v8, v2, s[0:1] offset:256
	global_store_b8 v8, v3, s[0:1] offset:384
	global_store_b8 v8, v5, s[0:1] offset:512
	global_store_b8 v8, v6, s[0:1] offset:640
	global_store_b8 v8, v7, s[0:1] offset:768
	global_store_b8 v8, v4, s[0:1] offset:896
	s_nop 0
	s_sendmsg sendmsg(MSG_DEALLOC_VGPRS)
	s_endpgm
	.section	.rodata,"a",@progbits
	.p2align	6, 0x0
	.amdhsa_kernel _Z17sort_pairs_kernelI22helper_blocked_stripedaLj128ELj8ELj10EEvPKT0_PS1_
		.amdhsa_group_segment_fixed_size 4112
		.amdhsa_private_segment_fixed_size 0
		.amdhsa_kernarg_size 272
		.amdhsa_user_sgpr_count 15
		.amdhsa_user_sgpr_dispatch_ptr 0
		.amdhsa_user_sgpr_queue_ptr 0
		.amdhsa_user_sgpr_kernarg_segment_ptr 1
		.amdhsa_user_sgpr_dispatch_id 0
		.amdhsa_user_sgpr_private_segment_size 0
		.amdhsa_wavefront_size32 1
		.amdhsa_uses_dynamic_stack 0
		.amdhsa_enable_private_segment 0
		.amdhsa_system_sgpr_workgroup_id_x 1
		.amdhsa_system_sgpr_workgroup_id_y 0
		.amdhsa_system_sgpr_workgroup_id_z 0
		.amdhsa_system_sgpr_workgroup_info 0
		.amdhsa_system_vgpr_workitem_id 2
		.amdhsa_next_free_vgpr 63
		.amdhsa_next_free_sgpr 20
		.amdhsa_reserve_vcc 1
		.amdhsa_float_round_mode_32 0
		.amdhsa_float_round_mode_16_64 0
		.amdhsa_float_denorm_mode_32 3
		.amdhsa_float_denorm_mode_16_64 3
		.amdhsa_dx10_clamp 1
		.amdhsa_ieee_mode 1
		.amdhsa_fp16_overflow 0
		.amdhsa_workgroup_processor_mode 1
		.amdhsa_memory_ordered 1
		.amdhsa_forward_progress 0
		.amdhsa_shared_vgpr_count 0
		.amdhsa_exception_fp_ieee_invalid_op 0
		.amdhsa_exception_fp_denorm_src 0
		.amdhsa_exception_fp_ieee_div_zero 0
		.amdhsa_exception_fp_ieee_overflow 0
		.amdhsa_exception_fp_ieee_underflow 0
		.amdhsa_exception_fp_ieee_inexact 0
		.amdhsa_exception_int_div_zero 0
	.end_amdhsa_kernel
	.section	.text._Z17sort_pairs_kernelI22helper_blocked_stripedaLj128ELj8ELj10EEvPKT0_PS1_,"axG",@progbits,_Z17sort_pairs_kernelI22helper_blocked_stripedaLj128ELj8ELj10EEvPKT0_PS1_,comdat
.Lfunc_end255:
	.size	_Z17sort_pairs_kernelI22helper_blocked_stripedaLj128ELj8ELj10EEvPKT0_PS1_, .Lfunc_end255-_Z17sort_pairs_kernelI22helper_blocked_stripedaLj128ELj8ELj10EEvPKT0_PS1_
                                        ; -- End function
	.section	.AMDGPU.csdata,"",@progbits
; Kernel info:
; codeLenInByte = 5120
; NumSgprs: 22
; NumVgprs: 63
; ScratchSize: 0
; MemoryBound: 0
; FloatMode: 240
; IeeeMode: 1
; LDSByteSize: 4112 bytes/workgroup (compile time only)
; SGPRBlocks: 2
; VGPRBlocks: 7
; NumSGPRsForWavesPerEU: 22
; NumVGPRsForWavesPerEU: 63
; Occupancy: 16
; WaveLimiterHint : 1
; COMPUTE_PGM_RSRC2:SCRATCH_EN: 0
; COMPUTE_PGM_RSRC2:USER_SGPR: 15
; COMPUTE_PGM_RSRC2:TRAP_HANDLER: 0
; COMPUTE_PGM_RSRC2:TGID_X_EN: 1
; COMPUTE_PGM_RSRC2:TGID_Y_EN: 0
; COMPUTE_PGM_RSRC2:TGID_Z_EN: 0
; COMPUTE_PGM_RSRC2:TIDIG_COMP_CNT: 2
	.section	.text._Z16sort_keys_kernelI22helper_blocked_stripedaLj192ELj1ELj10EEvPKT0_PS1_,"axG",@progbits,_Z16sort_keys_kernelI22helper_blocked_stripedaLj192ELj1ELj10EEvPKT0_PS1_,comdat
	.protected	_Z16sort_keys_kernelI22helper_blocked_stripedaLj192ELj1ELj10EEvPKT0_PS1_ ; -- Begin function _Z16sort_keys_kernelI22helper_blocked_stripedaLj192ELj1ELj10EEvPKT0_PS1_
	.globl	_Z16sort_keys_kernelI22helper_blocked_stripedaLj192ELj1ELj10EEvPKT0_PS1_
	.p2align	8
	.type	_Z16sort_keys_kernelI22helper_blocked_stripedaLj192ELj1ELj10EEvPKT0_PS1_,@function
_Z16sort_keys_kernelI22helper_blocked_stripedaLj192ELj1ELj10EEvPKT0_PS1_: ; @_Z16sort_keys_kernelI22helper_blocked_stripedaLj192ELj1ELj10EEvPKT0_PS1_
; %bb.0:
	s_clause 0x1
	s_load_b128 s[16:19], s[0:1], 0x0
	s_load_b32 s10, s[0:1], 0x1c
	s_mulk_i32 s15, 0xc0
	v_and_b32_e32 v8, 0x3ff, v0
	v_mbcnt_lo_u32_b32 v1, -1, 0
	v_bfe_u32 v3, v0, 10, 10
	v_bfe_u32 v0, v0, 20, 10
	s_delay_alu instid0(VALU_DEP_3) | instskip(SKIP_4) | instid1(VALU_DEP_4)
	v_and_b32_e32 v4, 15, v1
	v_add_nc_u32_e32 v6, -1, v1
	v_cmp_eq_u32_e32 vcc_lo, 0, v1
	v_and_b32_e32 v7, 7, v1
	v_and_b32_e32 v5, 16, v1
	v_cmp_gt_i32_e64 s7, 0, v6
	s_delay_alu instid0(VALU_DEP_3) | instskip(NEXT) | instid1(VALU_DEP_3)
	v_cmp_eq_u32_e64 s8, 0, v7
	v_cmp_eq_u32_e64 s4, 0, v5
	s_waitcnt lgkmcnt(0)
	s_add_u32 s0, s16, s15
	s_addc_u32 s1, s17, 0
	s_lshr_b32 s9, s10, 16
	global_load_u8 v2, v8, s[0:1]
	s_mov_b32 s0, 0
	v_mad_u32_u24 v3, v0, s9, v3
	s_mov_b32 s1, s0
	s_mov_b32 s3, s0
	;; [unrolled: 1-line block ×3, first 2 shown]
	v_mov_b32_e32 v10, s1
	v_dual_mov_b32 v12, s3 :: v_dual_mov_b32 v9, s0
	v_mov_b32_e32 v11, s2
	v_cmp_eq_u32_e64 s0, 0, v4
	v_cmp_lt_u32_e64 s1, 1, v4
	v_cmp_lt_u32_e64 s2, 3, v4
	;; [unrolled: 1-line block ×3, first 2 shown]
	v_and_b32_e32 v4, 0xe0, v8
	v_cndmask_b32_e64 v5, v6, v1, s7
	v_lshrrev_b32_e32 v6, 3, v8
	s_and_b32 s10, s10, 0xffff
	v_lshlrev_b32_e32 v13, 5, v8
	v_min_u32_e32 v4, 0xa0, v4
	v_mad_u64_u32 v[0:1], null, v3, s10, v[8:9]
	v_mul_u32_u24_e32 v19, 3, v8
	v_and_b32_e32 v14, 28, v6
	s_delay_alu instid0(VALU_DEP_4)
	v_or_b32_e32 v1, 31, v4
	v_cmp_gt_u32_e64 s5, 6, v8
	v_cmp_lt_u32_e64 s6, 31, v8
	v_cmp_eq_u32_e64 s7, 0, v8
	v_cmp_lt_u32_e64 s9, 1, v7
	v_cmp_lt_u32_e64 s10, 3, v7
	v_or_b32_e32 v15, 24, v13
	v_lshlrev_b32_e32 v16, 2, v5
	v_add_nc_u32_e32 v17, -4, v14
	v_cmp_eq_u32_e64 s11, v1, v8
	v_lshrrev_b32_e32 v18, 5, v0
	v_add_nc_u32_e32 v19, v8, v19
	s_mov_b32 s16, 10
	s_waitcnt vmcnt(0)
	v_xor_b32_e32 v20, 0xffffff80, v2
	s_branch .LBB256_2
.LBB256_1:                              ;   in Loop: Header=BB256_2 Depth=1
	s_or_b32 exec_lo, exec_lo, s12
	s_waitcnt lgkmcnt(0)
	v_add_nc_u32_e32 v3, v23, v3
	s_add_i32 s16, s16, -1
	s_delay_alu instid0(SALU_CYCLE_1) | instskip(SKIP_3) | instid1(VALU_DEP_1)
	s_cmp_eq_u32 s16, 0
	ds_bpermute_b32 v3, v16, v3
	s_waitcnt lgkmcnt(0)
	v_cndmask_b32_e32 v3, v3, v23, vcc_lo
	v_cndmask_b32_e64 v3, v3, 0, s7
	s_delay_alu instid0(VALU_DEP_1) | instskip(NEXT) | instid1(VALU_DEP_1)
	v_add_nc_u32_e32 v4, v3, v4
	v_add_nc_u32_e32 v5, v4, v5
	s_delay_alu instid0(VALU_DEP_1) | instskip(NEXT) | instid1(VALU_DEP_1)
	v_add_nc_u32_e32 v6, v5, v6
	v_add_nc_u32_e32 v23, v6, v7
	;; [unrolled: 3-line block ×3, first 2 shown]
	s_delay_alu instid0(VALU_DEP_1)
	v_add_nc_u32_e32 v1, v0, v2
	ds_store_2addr_b64 v13, v[3:4], v[5:6] offset0:3 offset1:4
	ds_store_2addr_b64 v15, v[23:24], v[0:1] offset0:2 offset1:3
	s_waitcnt lgkmcnt(0)
	s_barrier
	buffer_gl0_inv
	ds_load_b32 v0, v22
	s_waitcnt lgkmcnt(0)
	s_barrier
	buffer_gl0_inv
	v_add_nc_u32_e32 v0, v0, v21
	ds_store_b8 v0, v20
	s_waitcnt lgkmcnt(0)
	s_barrier
	buffer_gl0_inv
	ds_load_u8 v20, v8
	s_cbranch_scc1 .LBB256_10
.LBB256_2:                              ; =>This Inner Loop Header: Depth=1
	s_waitcnt lgkmcnt(0)
	s_delay_alu instid0(VALU_DEP_1)
	v_and_b32_e32 v0, 1, v20
	v_lshlrev_b32_e32 v1, 30, v20
	v_lshlrev_b32_e32 v2, 29, v20
	;; [unrolled: 1-line block ×4, first 2 shown]
	v_add_co_u32 v0, s12, v0, -1
	s_delay_alu instid0(VALU_DEP_1)
	v_cndmask_b32_e64 v3, 0, 1, s12
	v_not_b32_e32 v7, v1
	v_cmp_gt_i32_e64 s13, 0, v1
	v_not_b32_e32 v1, v2
	v_lshlrev_b32_e32 v6, 26, v20
	v_cmp_ne_u32_e64 s12, 0, v3
	v_ashrrev_i32_e32 v7, 31, v7
	v_lshlrev_b32_e32 v3, 25, v20
	v_ashrrev_i32_e32 v1, 31, v1
	v_cmp_gt_i32_e64 s14, 0, v5
	v_xor_b32_e32 v0, s12, v0
	v_cmp_gt_i32_e64 s12, 0, v2
	v_not_b32_e32 v2, v4
	v_xor_b32_e32 v7, s13, v7
	v_cmp_gt_i32_e64 s13, 0, v4
	v_and_b32_e32 v0, exec_lo, v0
	v_xor_b32_e32 v1, s12, v1
	v_ashrrev_i32_e32 v2, 31, v2
	v_not_b32_e32 v4, v5
	v_not_b32_e32 v5, v6
	v_and_b32_e32 v0, v0, v7
	v_cmp_gt_i32_e64 s12, 0, v6
	v_xor_b32_e32 v2, s13, v2
	v_not_b32_e32 v6, v3
	ds_store_2addr_b64 v13, v[9:10], v[11:12] offset0:3 offset1:4
	ds_store_2addr_b64 v15, v[9:10], v[11:12] offset0:2 offset1:3
	v_and_b32_e32 v0, v0, v1
	v_ashrrev_i32_e32 v1, 31, v4
	v_ashrrev_i32_e32 v4, 31, v5
	v_lshlrev_b32_e32 v5, 24, v20
	s_waitcnt lgkmcnt(0)
	v_and_b32_e32 v0, v0, v2
	v_xor_b32_e32 v1, s14, v1
	v_xor_b32_e32 v2, s12, v4
	v_cmp_gt_i32_e64 s12, 0, v3
	v_not_b32_e32 v3, v5
	v_ashrrev_i32_e32 v4, 31, v6
	v_and_b32_e32 v0, v0, v1
	v_cmp_gt_i32_e64 s13, 0, v5
	s_barrier
	v_ashrrev_i32_e32 v1, 31, v3
	v_xor_b32_e32 v3, s12, v4
	v_and_b32_e32 v0, v0, v2
	buffer_gl0_inv
	v_xor_b32_e32 v1, s13, v1
	; wave barrier
	v_and_b32_e32 v0, v0, v3
	s_delay_alu instid0(VALU_DEP_1) | instskip(SKIP_1) | instid1(VALU_DEP_2)
	v_and_b32_e32 v0, v0, v1
	v_and_b32_e32 v1, 0xff, v20
	v_mbcnt_lo_u32_b32 v21, v0, 0
	s_delay_alu instid0(VALU_DEP_2) | instskip(SKIP_1) | instid1(VALU_DEP_3)
	v_mad_u32_u24 v1, v1, 6, v18
	v_cmp_ne_u32_e64 s13, 0, v0
	v_cmp_eq_u32_e64 s12, 0, v21
	s_delay_alu instid0(VALU_DEP_3) | instskip(NEXT) | instid1(VALU_DEP_2)
	v_lshl_add_u32 v22, v1, 2, 24
	s_and_b32 s13, s13, s12
	s_delay_alu instid0(SALU_CYCLE_1)
	s_and_saveexec_b32 s12, s13
	s_cbranch_execz .LBB256_4
; %bb.3:                                ;   in Loop: Header=BB256_2 Depth=1
	v_bcnt_u32_b32 v0, v0, 0
	ds_store_b32 v22, v0
.LBB256_4:                              ;   in Loop: Header=BB256_2 Depth=1
	s_or_b32 exec_lo, exec_lo, s12
	; wave barrier
	s_waitcnt lgkmcnt(0)
	s_barrier
	buffer_gl0_inv
	ds_load_2addr_b64 v[4:7], v13 offset0:3 offset1:4
	ds_load_2addr_b64 v[0:3], v15 offset0:2 offset1:3
	s_waitcnt lgkmcnt(1)
	v_add_nc_u32_e32 v23, v5, v4
	s_delay_alu instid0(VALU_DEP_1) | instskip(SKIP_1) | instid1(VALU_DEP_1)
	v_add3_u32 v23, v23, v6, v7
	s_waitcnt lgkmcnt(0)
	v_add3_u32 v23, v23, v0, v1
	s_delay_alu instid0(VALU_DEP_1) | instskip(NEXT) | instid1(VALU_DEP_1)
	v_add3_u32 v3, v23, v2, v3
	v_mov_b32_dpp v23, v3 row_shr:1 row_mask:0xf bank_mask:0xf
	s_delay_alu instid0(VALU_DEP_1) | instskip(NEXT) | instid1(VALU_DEP_1)
	v_cndmask_b32_e64 v23, v23, 0, s0
	v_add_nc_u32_e32 v3, v23, v3
	s_delay_alu instid0(VALU_DEP_1) | instskip(NEXT) | instid1(VALU_DEP_1)
	v_mov_b32_dpp v23, v3 row_shr:2 row_mask:0xf bank_mask:0xf
	v_cndmask_b32_e64 v23, 0, v23, s1
	s_delay_alu instid0(VALU_DEP_1) | instskip(NEXT) | instid1(VALU_DEP_1)
	v_add_nc_u32_e32 v3, v3, v23
	v_mov_b32_dpp v23, v3 row_shr:4 row_mask:0xf bank_mask:0xf
	s_delay_alu instid0(VALU_DEP_1) | instskip(NEXT) | instid1(VALU_DEP_1)
	v_cndmask_b32_e64 v23, 0, v23, s2
	v_add_nc_u32_e32 v3, v3, v23
	s_delay_alu instid0(VALU_DEP_1) | instskip(NEXT) | instid1(VALU_DEP_1)
	v_mov_b32_dpp v23, v3 row_shr:8 row_mask:0xf bank_mask:0xf
	v_cndmask_b32_e64 v23, 0, v23, s3
	s_delay_alu instid0(VALU_DEP_1) | instskip(SKIP_3) | instid1(VALU_DEP_1)
	v_add_nc_u32_e32 v3, v3, v23
	ds_swizzle_b32 v23, v3 offset:swizzle(BROADCAST,32,15)
	s_waitcnt lgkmcnt(0)
	v_cndmask_b32_e64 v23, v23, 0, s4
	v_add_nc_u32_e32 v3, v3, v23
	s_and_saveexec_b32 s12, s11
	s_cbranch_execz .LBB256_6
; %bb.5:                                ;   in Loop: Header=BB256_2 Depth=1
	ds_store_b32 v14, v3
.LBB256_6:                              ;   in Loop: Header=BB256_2 Depth=1
	s_or_b32 exec_lo, exec_lo, s12
	s_waitcnt lgkmcnt(0)
	s_barrier
	buffer_gl0_inv
	s_and_saveexec_b32 s12, s5
	s_cbranch_execz .LBB256_8
; %bb.7:                                ;   in Loop: Header=BB256_2 Depth=1
	ds_load_b32 v23, v19
	s_waitcnt lgkmcnt(0)
	v_mov_b32_dpp v24, v23 row_shr:1 row_mask:0xf bank_mask:0xf
	s_delay_alu instid0(VALU_DEP_1) | instskip(NEXT) | instid1(VALU_DEP_1)
	v_cndmask_b32_e64 v24, v24, 0, s8
	v_add_nc_u32_e32 v23, v24, v23
	s_delay_alu instid0(VALU_DEP_1) | instskip(NEXT) | instid1(VALU_DEP_1)
	v_mov_b32_dpp v24, v23 row_shr:2 row_mask:0xf bank_mask:0xf
	v_cndmask_b32_e64 v24, 0, v24, s9
	s_delay_alu instid0(VALU_DEP_1) | instskip(NEXT) | instid1(VALU_DEP_1)
	v_add_nc_u32_e32 v23, v23, v24
	v_mov_b32_dpp v24, v23 row_shr:4 row_mask:0xf bank_mask:0xf
	s_delay_alu instid0(VALU_DEP_1) | instskip(NEXT) | instid1(VALU_DEP_1)
	v_cndmask_b32_e64 v24, 0, v24, s10
	v_add_nc_u32_e32 v23, v23, v24
	ds_store_b32 v19, v23
.LBB256_8:                              ;   in Loop: Header=BB256_2 Depth=1
	s_or_b32 exec_lo, exec_lo, s12
	v_mov_b32_e32 v23, 0
	s_waitcnt lgkmcnt(0)
	s_barrier
	buffer_gl0_inv
	s_and_saveexec_b32 s12, s6
	s_cbranch_execz .LBB256_1
; %bb.9:                                ;   in Loop: Header=BB256_2 Depth=1
	ds_load_b32 v23, v17
	s_branch .LBB256_1
.LBB256_10:
	s_add_u32 s0, s18, s15
	s_addc_u32 s1, s19, 0
	v_add_co_u32 v0, s0, s0, v8
	s_waitcnt lgkmcnt(0)
	v_xor_b32_e32 v2, 0x80, v20
	v_add_co_ci_u32_e64 v1, null, s1, 0, s0
	global_store_b8 v[0:1], v2, off
	s_nop 0
	s_sendmsg sendmsg(MSG_DEALLOC_VGPRS)
	s_endpgm
	.section	.rodata,"a",@progbits
	.p2align	6, 0x0
	.amdhsa_kernel _Z16sort_keys_kernelI22helper_blocked_stripedaLj192ELj1ELj10EEvPKT0_PS1_
		.amdhsa_group_segment_fixed_size 6176
		.amdhsa_private_segment_fixed_size 0
		.amdhsa_kernarg_size 272
		.amdhsa_user_sgpr_count 15
		.amdhsa_user_sgpr_dispatch_ptr 0
		.amdhsa_user_sgpr_queue_ptr 0
		.amdhsa_user_sgpr_kernarg_segment_ptr 1
		.amdhsa_user_sgpr_dispatch_id 0
		.amdhsa_user_sgpr_private_segment_size 0
		.amdhsa_wavefront_size32 1
		.amdhsa_uses_dynamic_stack 0
		.amdhsa_enable_private_segment 0
		.amdhsa_system_sgpr_workgroup_id_x 1
		.amdhsa_system_sgpr_workgroup_id_y 0
		.amdhsa_system_sgpr_workgroup_id_z 0
		.amdhsa_system_sgpr_workgroup_info 0
		.amdhsa_system_vgpr_workitem_id 2
		.amdhsa_next_free_vgpr 25
		.amdhsa_next_free_sgpr 20
		.amdhsa_reserve_vcc 1
		.amdhsa_float_round_mode_32 0
		.amdhsa_float_round_mode_16_64 0
		.amdhsa_float_denorm_mode_32 3
		.amdhsa_float_denorm_mode_16_64 3
		.amdhsa_dx10_clamp 1
		.amdhsa_ieee_mode 1
		.amdhsa_fp16_overflow 0
		.amdhsa_workgroup_processor_mode 1
		.amdhsa_memory_ordered 1
		.amdhsa_forward_progress 0
		.amdhsa_shared_vgpr_count 0
		.amdhsa_exception_fp_ieee_invalid_op 0
		.amdhsa_exception_fp_denorm_src 0
		.amdhsa_exception_fp_ieee_div_zero 0
		.amdhsa_exception_fp_ieee_overflow 0
		.amdhsa_exception_fp_ieee_underflow 0
		.amdhsa_exception_fp_ieee_inexact 0
		.amdhsa_exception_int_div_zero 0
	.end_amdhsa_kernel
	.section	.text._Z16sort_keys_kernelI22helper_blocked_stripedaLj192ELj1ELj10EEvPKT0_PS1_,"axG",@progbits,_Z16sort_keys_kernelI22helper_blocked_stripedaLj192ELj1ELj10EEvPKT0_PS1_,comdat
.Lfunc_end256:
	.size	_Z16sort_keys_kernelI22helper_blocked_stripedaLj192ELj1ELj10EEvPKT0_PS1_, .Lfunc_end256-_Z16sort_keys_kernelI22helper_blocked_stripedaLj192ELj1ELj10EEvPKT0_PS1_
                                        ; -- End function
	.section	.AMDGPU.csdata,"",@progbits
; Kernel info:
; codeLenInByte = 1360
; NumSgprs: 22
; NumVgprs: 25
; ScratchSize: 0
; MemoryBound: 0
; FloatMode: 240
; IeeeMode: 1
; LDSByteSize: 6176 bytes/workgroup (compile time only)
; SGPRBlocks: 2
; VGPRBlocks: 3
; NumSGPRsForWavesPerEU: 22
; NumVGPRsForWavesPerEU: 25
; Occupancy: 15
; WaveLimiterHint : 0
; COMPUTE_PGM_RSRC2:SCRATCH_EN: 0
; COMPUTE_PGM_RSRC2:USER_SGPR: 15
; COMPUTE_PGM_RSRC2:TRAP_HANDLER: 0
; COMPUTE_PGM_RSRC2:TGID_X_EN: 1
; COMPUTE_PGM_RSRC2:TGID_Y_EN: 0
; COMPUTE_PGM_RSRC2:TGID_Z_EN: 0
; COMPUTE_PGM_RSRC2:TIDIG_COMP_CNT: 2
	.section	.text._Z17sort_pairs_kernelI22helper_blocked_stripedaLj192ELj1ELj10EEvPKT0_PS1_,"axG",@progbits,_Z17sort_pairs_kernelI22helper_blocked_stripedaLj192ELj1ELj10EEvPKT0_PS1_,comdat
	.protected	_Z17sort_pairs_kernelI22helper_blocked_stripedaLj192ELj1ELj10EEvPKT0_PS1_ ; -- Begin function _Z17sort_pairs_kernelI22helper_blocked_stripedaLj192ELj1ELj10EEvPKT0_PS1_
	.globl	_Z17sort_pairs_kernelI22helper_blocked_stripedaLj192ELj1ELj10EEvPKT0_PS1_
	.p2align	8
	.type	_Z17sort_pairs_kernelI22helper_blocked_stripedaLj192ELj1ELj10EEvPKT0_PS1_,@function
_Z17sort_pairs_kernelI22helper_blocked_stripedaLj192ELj1ELj10EEvPKT0_PS1_: ; @_Z17sort_pairs_kernelI22helper_blocked_stripedaLj192ELj1ELj10EEvPKT0_PS1_
; %bb.0:
	s_clause 0x1
	s_load_b128 s[16:19], s[0:1], 0x0
	s_load_b32 s10, s[0:1], 0x1c
	s_mulk_i32 s15, 0xc0
	v_and_b32_e32 v8, 0x3ff, v0
	v_mbcnt_lo_u32_b32 v1, -1, 0
	v_bfe_u32 v3, v0, 10, 10
	v_bfe_u32 v0, v0, 20, 10
	s_delay_alu instid0(VALU_DEP_3) | instskip(SKIP_4) | instid1(VALU_DEP_4)
	v_and_b32_e32 v4, 15, v1
	v_add_nc_u32_e32 v6, -1, v1
	v_cmp_eq_u32_e32 vcc_lo, 0, v1
	v_and_b32_e32 v7, 7, v1
	v_and_b32_e32 v5, 16, v1
	v_cmp_gt_i32_e64 s7, 0, v6
	s_delay_alu instid0(VALU_DEP_3) | instskip(NEXT) | instid1(VALU_DEP_3)
	v_cmp_eq_u32_e64 s8, 0, v7
	v_cmp_eq_u32_e64 s4, 0, v5
	s_waitcnt lgkmcnt(0)
	s_add_u32 s0, s16, s15
	s_addc_u32 s1, s17, 0
	s_lshr_b32 s9, s10, 16
	global_load_u8 v2, v8, s[0:1]
	s_mov_b32 s0, 0
	v_mad_u32_u24 v3, v0, s9, v3
	s_mov_b32 s1, s0
	s_mov_b32 s3, s0
	;; [unrolled: 1-line block ×3, first 2 shown]
	v_mov_b32_e32 v10, s1
	v_dual_mov_b32 v12, s3 :: v_dual_mov_b32 v9, s0
	v_mov_b32_e32 v11, s2
	v_cmp_eq_u32_e64 s0, 0, v4
	v_cmp_lt_u32_e64 s1, 1, v4
	v_cmp_lt_u32_e64 s2, 3, v4
	;; [unrolled: 1-line block ×3, first 2 shown]
	v_and_b32_e32 v4, 0xe0, v8
	v_cndmask_b32_e64 v5, v6, v1, s7
	v_lshrrev_b32_e32 v6, 3, v8
	s_and_b32 s10, s10, 0xffff
	v_lshlrev_b32_e32 v13, 5, v8
	v_min_u32_e32 v4, 0xa0, v4
	v_mad_u64_u32 v[0:1], null, v3, s10, v[8:9]
	v_mul_u32_u24_e32 v19, 3, v8
	v_and_b32_e32 v14, 28, v6
	s_delay_alu instid0(VALU_DEP_4)
	v_or_b32_e32 v1, 31, v4
	v_cmp_gt_u32_e64 s5, 6, v8
	v_cmp_lt_u32_e64 s6, 31, v8
	v_cmp_eq_u32_e64 s7, 0, v8
	v_cmp_lt_u32_e64 s9, 1, v7
	v_cmp_lt_u32_e64 s10, 3, v7
	v_or_b32_e32 v15, 24, v13
	v_lshlrev_b32_e32 v16, 2, v5
	v_add_nc_u32_e32 v17, -4, v14
	v_cmp_eq_u32_e64 s11, v1, v8
	v_lshrrev_b32_e32 v18, 5, v0
	v_add_nc_u32_e32 v19, v8, v19
	s_mov_b32 s16, 10
	s_waitcnt vmcnt(0)
	v_add_nc_u16 v20, v2, 1
	v_xor_b32_e32 v21, 0xffffff80, v2
	s_branch .LBB257_2
.LBB257_1:                              ;   in Loop: Header=BB257_2 Depth=1
	s_or_b32 exec_lo, exec_lo, s12
	s_waitcnt lgkmcnt(0)
	v_add_nc_u32_e32 v3, v24, v3
	s_add_i32 s16, s16, -1
	s_delay_alu instid0(SALU_CYCLE_1) | instskip(SKIP_3) | instid1(VALU_DEP_1)
	s_cmp_lg_u32 s16, 0
	ds_bpermute_b32 v3, v16, v3
	s_waitcnt lgkmcnt(0)
	v_cndmask_b32_e32 v3, v3, v24, vcc_lo
	v_cndmask_b32_e64 v3, v3, 0, s7
	s_delay_alu instid0(VALU_DEP_1) | instskip(NEXT) | instid1(VALU_DEP_1)
	v_add_nc_u32_e32 v4, v3, v4
	v_add_nc_u32_e32 v5, v4, v5
	s_delay_alu instid0(VALU_DEP_1) | instskip(NEXT) | instid1(VALU_DEP_1)
	v_add_nc_u32_e32 v6, v5, v6
	v_add_nc_u32_e32 v24, v6, v7
	;; [unrolled: 3-line block ×3, first 2 shown]
	s_delay_alu instid0(VALU_DEP_1)
	v_add_nc_u32_e32 v1, v0, v2
	ds_store_2addr_b64 v13, v[3:4], v[5:6] offset0:3 offset1:4
	ds_store_2addr_b64 v15, v[24:25], v[0:1] offset0:2 offset1:3
	s_waitcnt lgkmcnt(0)
	s_barrier
	buffer_gl0_inv
	ds_load_b32 v0, v23
	s_waitcnt lgkmcnt(0)
	s_barrier
	buffer_gl0_inv
	v_add_nc_u32_e32 v0, v0, v22
	ds_store_b8 v0, v21
	s_waitcnt lgkmcnt(0)
	s_barrier
	buffer_gl0_inv
	ds_load_u8 v21, v8
	s_waitcnt lgkmcnt(0)
	s_barrier
	buffer_gl0_inv
	ds_store_b8 v0, v20
	s_waitcnt lgkmcnt(0)
	s_barrier
	buffer_gl0_inv
	ds_load_u8 v20, v8
	s_cbranch_scc0 .LBB257_10
.LBB257_2:                              ; =>This Inner Loop Header: Depth=1
	s_delay_alu instid0(VALU_DEP_1)
	v_and_b32_e32 v0, 1, v21
	v_lshlrev_b32_e32 v1, 30, v21
	v_lshlrev_b32_e32 v2, 29, v21
	;; [unrolled: 1-line block ×4, first 2 shown]
	v_add_co_u32 v0, s12, v0, -1
	s_delay_alu instid0(VALU_DEP_1)
	v_cndmask_b32_e64 v3, 0, 1, s12
	v_not_b32_e32 v7, v1
	v_cmp_gt_i32_e64 s13, 0, v1
	v_not_b32_e32 v1, v2
	v_lshlrev_b32_e32 v6, 26, v21
	v_cmp_ne_u32_e64 s12, 0, v3
	v_ashrrev_i32_e32 v7, 31, v7
	v_lshlrev_b32_e32 v3, 25, v21
	v_ashrrev_i32_e32 v1, 31, v1
	v_cmp_gt_i32_e64 s14, 0, v5
	v_xor_b32_e32 v0, s12, v0
	v_cmp_gt_i32_e64 s12, 0, v2
	v_not_b32_e32 v2, v4
	v_xor_b32_e32 v7, s13, v7
	v_cmp_gt_i32_e64 s13, 0, v4
	v_and_b32_e32 v0, exec_lo, v0
	v_xor_b32_e32 v1, s12, v1
	v_ashrrev_i32_e32 v2, 31, v2
	v_not_b32_e32 v4, v5
	v_not_b32_e32 v5, v6
	v_and_b32_e32 v0, v0, v7
	v_cmp_gt_i32_e64 s12, 0, v6
	v_xor_b32_e32 v2, s13, v2
	v_not_b32_e32 v6, v3
	ds_store_2addr_b64 v13, v[9:10], v[11:12] offset0:3 offset1:4
	ds_store_2addr_b64 v15, v[9:10], v[11:12] offset0:2 offset1:3
	v_and_b32_e32 v0, v0, v1
	v_ashrrev_i32_e32 v1, 31, v4
	v_ashrrev_i32_e32 v4, 31, v5
	v_lshlrev_b32_e32 v5, 24, v21
	s_waitcnt lgkmcnt(0)
	v_and_b32_e32 v0, v0, v2
	v_xor_b32_e32 v1, s14, v1
	v_xor_b32_e32 v2, s12, v4
	v_cmp_gt_i32_e64 s12, 0, v3
	v_not_b32_e32 v3, v5
	v_ashrrev_i32_e32 v4, 31, v6
	v_and_b32_e32 v0, v0, v1
	v_cmp_gt_i32_e64 s13, 0, v5
	s_barrier
	v_ashrrev_i32_e32 v1, 31, v3
	v_xor_b32_e32 v3, s12, v4
	v_and_b32_e32 v0, v0, v2
	buffer_gl0_inv
	v_xor_b32_e32 v1, s13, v1
	; wave barrier
	v_and_b32_e32 v0, v0, v3
	s_delay_alu instid0(VALU_DEP_1) | instskip(SKIP_1) | instid1(VALU_DEP_2)
	v_and_b32_e32 v0, v0, v1
	v_and_b32_e32 v1, 0xff, v21
	v_mbcnt_lo_u32_b32 v22, v0, 0
	s_delay_alu instid0(VALU_DEP_2) | instskip(SKIP_1) | instid1(VALU_DEP_3)
	v_mad_u32_u24 v1, v1, 6, v18
	v_cmp_ne_u32_e64 s13, 0, v0
	v_cmp_eq_u32_e64 s12, 0, v22
	s_delay_alu instid0(VALU_DEP_3) | instskip(NEXT) | instid1(VALU_DEP_2)
	v_lshl_add_u32 v23, v1, 2, 24
	s_and_b32 s13, s13, s12
	s_delay_alu instid0(SALU_CYCLE_1)
	s_and_saveexec_b32 s12, s13
	s_cbranch_execz .LBB257_4
; %bb.3:                                ;   in Loop: Header=BB257_2 Depth=1
	v_bcnt_u32_b32 v0, v0, 0
	ds_store_b32 v23, v0
.LBB257_4:                              ;   in Loop: Header=BB257_2 Depth=1
	s_or_b32 exec_lo, exec_lo, s12
	; wave barrier
	s_waitcnt lgkmcnt(0)
	s_barrier
	buffer_gl0_inv
	ds_load_2addr_b64 v[4:7], v13 offset0:3 offset1:4
	ds_load_2addr_b64 v[0:3], v15 offset0:2 offset1:3
	s_waitcnt lgkmcnt(1)
	v_add_nc_u32_e32 v24, v5, v4
	s_delay_alu instid0(VALU_DEP_1) | instskip(SKIP_1) | instid1(VALU_DEP_1)
	v_add3_u32 v24, v24, v6, v7
	s_waitcnt lgkmcnt(0)
	v_add3_u32 v24, v24, v0, v1
	s_delay_alu instid0(VALU_DEP_1) | instskip(NEXT) | instid1(VALU_DEP_1)
	v_add3_u32 v3, v24, v2, v3
	v_mov_b32_dpp v24, v3 row_shr:1 row_mask:0xf bank_mask:0xf
	s_delay_alu instid0(VALU_DEP_1) | instskip(NEXT) | instid1(VALU_DEP_1)
	v_cndmask_b32_e64 v24, v24, 0, s0
	v_add_nc_u32_e32 v3, v24, v3
	s_delay_alu instid0(VALU_DEP_1) | instskip(NEXT) | instid1(VALU_DEP_1)
	v_mov_b32_dpp v24, v3 row_shr:2 row_mask:0xf bank_mask:0xf
	v_cndmask_b32_e64 v24, 0, v24, s1
	s_delay_alu instid0(VALU_DEP_1) | instskip(NEXT) | instid1(VALU_DEP_1)
	v_add_nc_u32_e32 v3, v3, v24
	v_mov_b32_dpp v24, v3 row_shr:4 row_mask:0xf bank_mask:0xf
	s_delay_alu instid0(VALU_DEP_1) | instskip(NEXT) | instid1(VALU_DEP_1)
	v_cndmask_b32_e64 v24, 0, v24, s2
	v_add_nc_u32_e32 v3, v3, v24
	s_delay_alu instid0(VALU_DEP_1) | instskip(NEXT) | instid1(VALU_DEP_1)
	v_mov_b32_dpp v24, v3 row_shr:8 row_mask:0xf bank_mask:0xf
	v_cndmask_b32_e64 v24, 0, v24, s3
	s_delay_alu instid0(VALU_DEP_1) | instskip(SKIP_3) | instid1(VALU_DEP_1)
	v_add_nc_u32_e32 v3, v3, v24
	ds_swizzle_b32 v24, v3 offset:swizzle(BROADCAST,32,15)
	s_waitcnt lgkmcnt(0)
	v_cndmask_b32_e64 v24, v24, 0, s4
	v_add_nc_u32_e32 v3, v3, v24
	s_and_saveexec_b32 s12, s11
	s_cbranch_execz .LBB257_6
; %bb.5:                                ;   in Loop: Header=BB257_2 Depth=1
	ds_store_b32 v14, v3
.LBB257_6:                              ;   in Loop: Header=BB257_2 Depth=1
	s_or_b32 exec_lo, exec_lo, s12
	s_waitcnt lgkmcnt(0)
	s_barrier
	buffer_gl0_inv
	s_and_saveexec_b32 s12, s5
	s_cbranch_execz .LBB257_8
; %bb.7:                                ;   in Loop: Header=BB257_2 Depth=1
	ds_load_b32 v24, v19
	s_waitcnt lgkmcnt(0)
	v_mov_b32_dpp v25, v24 row_shr:1 row_mask:0xf bank_mask:0xf
	s_delay_alu instid0(VALU_DEP_1) | instskip(NEXT) | instid1(VALU_DEP_1)
	v_cndmask_b32_e64 v25, v25, 0, s8
	v_add_nc_u32_e32 v24, v25, v24
	s_delay_alu instid0(VALU_DEP_1) | instskip(NEXT) | instid1(VALU_DEP_1)
	v_mov_b32_dpp v25, v24 row_shr:2 row_mask:0xf bank_mask:0xf
	v_cndmask_b32_e64 v25, 0, v25, s9
	s_delay_alu instid0(VALU_DEP_1) | instskip(NEXT) | instid1(VALU_DEP_1)
	v_add_nc_u32_e32 v24, v24, v25
	v_mov_b32_dpp v25, v24 row_shr:4 row_mask:0xf bank_mask:0xf
	s_delay_alu instid0(VALU_DEP_1) | instskip(NEXT) | instid1(VALU_DEP_1)
	v_cndmask_b32_e64 v25, 0, v25, s10
	v_add_nc_u32_e32 v24, v24, v25
	ds_store_b32 v19, v24
.LBB257_8:                              ;   in Loop: Header=BB257_2 Depth=1
	s_or_b32 exec_lo, exec_lo, s12
	v_mov_b32_e32 v24, 0
	s_waitcnt lgkmcnt(0)
	s_barrier
	buffer_gl0_inv
	s_and_saveexec_b32 s12, s6
	s_cbranch_execz .LBB257_1
; %bb.9:                                ;   in Loop: Header=BB257_2 Depth=1
	ds_load_b32 v24, v17
	s_branch .LBB257_1
.LBB257_10:
	s_waitcnt lgkmcnt(0)
	v_add_nc_u16 v0, v20, v21
	s_add_u32 s0, s18, s15
	s_addc_u32 s1, s19, 0
	s_delay_alu instid0(VALU_DEP_1) | instskip(SKIP_1) | instid1(VALU_DEP_1)
	v_add_nc_u16 v2, v0, 0xff80
	v_add_co_u32 v0, s0, s0, v8
	v_add_co_ci_u32_e64 v1, null, s1, 0, s0
	global_store_b8 v[0:1], v2, off
	s_nop 0
	s_sendmsg sendmsg(MSG_DEALLOC_VGPRS)
	s_endpgm
	.section	.rodata,"a",@progbits
	.p2align	6, 0x0
	.amdhsa_kernel _Z17sort_pairs_kernelI22helper_blocked_stripedaLj192ELj1ELj10EEvPKT0_PS1_
		.amdhsa_group_segment_fixed_size 6176
		.amdhsa_private_segment_fixed_size 0
		.amdhsa_kernarg_size 272
		.amdhsa_user_sgpr_count 15
		.amdhsa_user_sgpr_dispatch_ptr 0
		.amdhsa_user_sgpr_queue_ptr 0
		.amdhsa_user_sgpr_kernarg_segment_ptr 1
		.amdhsa_user_sgpr_dispatch_id 0
		.amdhsa_user_sgpr_private_segment_size 0
		.amdhsa_wavefront_size32 1
		.amdhsa_uses_dynamic_stack 0
		.amdhsa_enable_private_segment 0
		.amdhsa_system_sgpr_workgroup_id_x 1
		.amdhsa_system_sgpr_workgroup_id_y 0
		.amdhsa_system_sgpr_workgroup_id_z 0
		.amdhsa_system_sgpr_workgroup_info 0
		.amdhsa_system_vgpr_workitem_id 2
		.amdhsa_next_free_vgpr 26
		.amdhsa_next_free_sgpr 20
		.amdhsa_reserve_vcc 1
		.amdhsa_float_round_mode_32 0
		.amdhsa_float_round_mode_16_64 0
		.amdhsa_float_denorm_mode_32 3
		.amdhsa_float_denorm_mode_16_64 3
		.amdhsa_dx10_clamp 1
		.amdhsa_ieee_mode 1
		.amdhsa_fp16_overflow 0
		.amdhsa_workgroup_processor_mode 1
		.amdhsa_memory_ordered 1
		.amdhsa_forward_progress 0
		.amdhsa_shared_vgpr_count 0
		.amdhsa_exception_fp_ieee_invalid_op 0
		.amdhsa_exception_fp_denorm_src 0
		.amdhsa_exception_fp_ieee_div_zero 0
		.amdhsa_exception_fp_ieee_overflow 0
		.amdhsa_exception_fp_ieee_underflow 0
		.amdhsa_exception_fp_ieee_inexact 0
		.amdhsa_exception_int_div_zero 0
	.end_amdhsa_kernel
	.section	.text._Z17sort_pairs_kernelI22helper_blocked_stripedaLj192ELj1ELj10EEvPKT0_PS1_,"axG",@progbits,_Z17sort_pairs_kernelI22helper_blocked_stripedaLj192ELj1ELj10EEvPKT0_PS1_,comdat
.Lfunc_end257:
	.size	_Z17sort_pairs_kernelI22helper_blocked_stripedaLj192ELj1ELj10EEvPKT0_PS1_, .Lfunc_end257-_Z17sort_pairs_kernelI22helper_blocked_stripedaLj192ELj1ELj10EEvPKT0_PS1_
                                        ; -- End function
	.section	.AMDGPU.csdata,"",@progbits
; Kernel info:
; codeLenInByte = 1428
; NumSgprs: 22
; NumVgprs: 26
; ScratchSize: 0
; MemoryBound: 0
; FloatMode: 240
; IeeeMode: 1
; LDSByteSize: 6176 bytes/workgroup (compile time only)
; SGPRBlocks: 2
; VGPRBlocks: 3
; NumSGPRsForWavesPerEU: 22
; NumVGPRsForWavesPerEU: 26
; Occupancy: 15
; WaveLimiterHint : 0
; COMPUTE_PGM_RSRC2:SCRATCH_EN: 0
; COMPUTE_PGM_RSRC2:USER_SGPR: 15
; COMPUTE_PGM_RSRC2:TRAP_HANDLER: 0
; COMPUTE_PGM_RSRC2:TGID_X_EN: 1
; COMPUTE_PGM_RSRC2:TGID_Y_EN: 0
; COMPUTE_PGM_RSRC2:TGID_Z_EN: 0
; COMPUTE_PGM_RSRC2:TIDIG_COMP_CNT: 2
	.section	.text._Z16sort_keys_kernelI22helper_blocked_stripedaLj192ELj3ELj10EEvPKT0_PS1_,"axG",@progbits,_Z16sort_keys_kernelI22helper_blocked_stripedaLj192ELj3ELj10EEvPKT0_PS1_,comdat
	.protected	_Z16sort_keys_kernelI22helper_blocked_stripedaLj192ELj3ELj10EEvPKT0_PS1_ ; -- Begin function _Z16sort_keys_kernelI22helper_blocked_stripedaLj192ELj3ELj10EEvPKT0_PS1_
	.globl	_Z16sort_keys_kernelI22helper_blocked_stripedaLj192ELj3ELj10EEvPKT0_PS1_
	.p2align	8
	.type	_Z16sort_keys_kernelI22helper_blocked_stripedaLj192ELj3ELj10EEvPKT0_PS1_,@function
_Z16sort_keys_kernelI22helper_blocked_stripedaLj192ELj3ELj10EEvPKT0_PS1_: ; @_Z16sort_keys_kernelI22helper_blocked_stripedaLj192ELj3ELj10EEvPKT0_PS1_
; %bb.0:
	s_clause 0x1
	s_load_b128 s[16:19], s[0:1], 0x0
	s_load_b32 s11, s[0:1], 0x1c
	v_and_b32_e32 v8, 0x3ff, v0
	s_mul_i32 s14, s15, 0x240
	v_mbcnt_lo_u32_b32 v4, -1, 0
	v_bfe_u32 v6, v0, 10, 10
	v_bfe_u32 v0, v0, 20, 10
	v_mul_u32_u24_e32 v2, 3, v8
	s_mov_b32 s15, 10
	v_add_nc_u32_e32 v15, -1, v4
	v_and_b32_e32 v16, 7, v4
	v_mul_u32_u24_e32 v5, 3, v4
	v_and_b32_e32 v14, 16, v4
	v_cmp_eq_u32_e32 vcc_lo, 0, v4
	v_cmp_gt_i32_e64 s7, 0, v15
	v_cmp_eq_u32_e64 s8, 0, v16
	v_cmp_lt_u32_e64 s9, 1, v16
	v_cmp_lt_u32_e64 s10, 3, v16
	v_cmp_eq_u32_e64 s4, 0, v14
	v_cndmask_b32_e64 v18, v15, v4, s7
	s_waitcnt lgkmcnt(0)
	s_add_u32 s0, s16, s14
	s_addc_u32 s1, s17, 0
	s_lshr_b32 s12, s11, 16
	s_clause 0x1
	global_load_u16 v1, v2, s[0:1]
	global_load_u8 v3, v2, s[0:1] offset:2
	s_mov_b32 s0, 0
	v_mad_u32_u24 v6, v0, s12, v6
	s_mov_b32 s3, s0
	s_mov_b32 s2, s0
	v_dual_mov_b32 v12, s3 :: v_dual_and_b32 v7, 15, v4
	s_mov_b32 s1, s0
	s_delay_alu instid0(SALU_CYCLE_1)
	v_dual_mov_b32 v11, s2 :: v_dual_mov_b32 v10, s1
	v_mov_b32_e32 v9, s0
	v_lshrrev_b32_e32 v17, 5, v8
	v_cmp_eq_u32_e64 s0, 0, v7
	v_cmp_lt_u32_e64 s1, 1, v7
	v_cmp_lt_u32_e64 s2, 3, v7
	;; [unrolled: 1-line block ×3, first 2 shown]
	v_and_b32_e32 v7, 0xe0, v8
	v_mul_u32_u24_e32 v19, 0x60, v17
	s_and_b32 s11, s11, 0xffff
	v_lshlrev_b32_e32 v13, 5, v8
	v_cmp_gt_u32_e64 s5, 6, v8
	v_min_u32_e32 v7, 0xa0, v7
	v_cmp_lt_u32_e64 s6, 31, v8
	v_cmp_eq_u32_e64 s7, 0, v8
	v_or_b32_e32 v14, 24, v13
	v_add_nc_u32_e32 v21, v8, v2
	s_waitcnt vmcnt(1)
	v_lshrrev_b32_e32 v15, 8, v1
	v_and_b32_e32 v1, 0xff, v1
	s_delay_alu instid0(VALU_DEP_2) | instskip(SKIP_3) | instid1(VALU_DEP_4)
	v_lshlrev_b16 v16, 8, v15
	v_lshlrev_b32_e32 v15, 2, v17
	v_or_b32_e32 v17, v4, v19
	v_add_nc_u32_e32 v19, v5, v19
	v_or_b32_e32 v20, v1, v16
	v_mad_u64_u32 v[0:1], null, v6, s11, v[8:9]
	v_or_b32_e32 v1, 31, v7
	v_lshlrev_b32_e32 v16, 2, v18
	s_delay_alu instid0(VALU_DEP_4) | instskip(SKIP_1) | instid1(VALU_DEP_4)
	v_and_b32_e32 v4, 0xffff, v20
	v_add_nc_u32_e32 v18, -4, v15
	v_cmp_eq_u32_e64 s11, v1, v8
	v_lshrrev_b32_e32 v20, 5, v0
	s_waitcnt vmcnt(0)
	v_lshl_or_b32 v3, v3, 16, v4
	s_branch .LBB258_2
.LBB258_1:                              ;   in Loop: Header=BB258_2 Depth=1
	s_or_b32 exec_lo, exec_lo, s12
	s_waitcnt lgkmcnt(0)
	v_add_nc_u32_e32 v3, v33, v3
	s_add_i32 s15, s15, -1
	s_delay_alu instid0(SALU_CYCLE_1) | instskip(SKIP_3) | instid1(VALU_DEP_1)
	s_cmp_eq_u32 s15, 0
	ds_bpermute_b32 v3, v16, v3
	s_waitcnt lgkmcnt(0)
	v_cndmask_b32_e32 v3, v3, v33, vcc_lo
	v_cndmask_b32_e64 v3, v3, 0, s7
	s_delay_alu instid0(VALU_DEP_1) | instskip(NEXT) | instid1(VALU_DEP_1)
	v_add_nc_u32_e32 v4, v3, v4
	v_add_nc_u32_e32 v5, v4, v5
	s_delay_alu instid0(VALU_DEP_1) | instskip(NEXT) | instid1(VALU_DEP_1)
	v_add_nc_u32_e32 v6, v5, v6
	v_add_nc_u32_e32 v33, v6, v7
	;; [unrolled: 3-line block ×3, first 2 shown]
	s_delay_alu instid0(VALU_DEP_1)
	v_add_nc_u32_e32 v1, v0, v2
	ds_store_2addr_b64 v13, v[3:4], v[5:6] offset0:3 offset1:4
	ds_store_2addr_b64 v14, v[33:34], v[0:1] offset0:2 offset1:3
	s_waitcnt lgkmcnt(0)
	s_barrier
	buffer_gl0_inv
	ds_load_b32 v0, v26
	ds_load_b32 v1, v29
	;; [unrolled: 1-line block ×3, first 2 shown]
	s_waitcnt lgkmcnt(0)
	s_barrier
	buffer_gl0_inv
	v_add_nc_u32_e32 v0, v0, v25
	v_add3_u32 v1, v28, v27, v1
	v_add3_u32 v2, v31, v30, v2
	ds_store_b8 v0, v22
	ds_store_b8 v1, v23
	;; [unrolled: 1-line block ×3, first 2 shown]
	s_waitcnt lgkmcnt(0)
	s_barrier
	buffer_gl0_inv
	ds_load_u8 v0, v8 offset:192
	ds_load_u8 v1, v8
	ds_load_u8 v3, v8 offset:384
	s_waitcnt lgkmcnt(2)
	v_xor_b32_e32 v0, 0xffffff80, v0
	s_waitcnt lgkmcnt(1)
	v_xor_b32_e32 v2, 0xffffff80, v1
	;; [unrolled: 2-line block ×3, first 2 shown]
	v_lshlrev_b16 v3, 8, v0
	s_delay_alu instid0(VALU_DEP_3) | instskip(NEXT) | instid1(VALU_DEP_3)
	v_and_b32_e32 v4, 0xff, v2
	v_and_b32_e32 v5, 0xff, v1
	s_delay_alu instid0(VALU_DEP_2) | instskip(NEXT) | instid1(VALU_DEP_2)
	v_or_b32_e32 v3, v4, v3
	v_lshlrev_b32_e32 v4, 16, v5
	s_delay_alu instid0(VALU_DEP_2) | instskip(NEXT) | instid1(VALU_DEP_1)
	v_and_b32_e32 v3, 0xffff, v3
	v_or_b32_e32 v3, v3, v4
	s_cbranch_scc1 .LBB258_14
.LBB258_2:                              ; =>This Inner Loop Header: Depth=1
	s_delay_alu instid0(VALU_DEP_1) | instskip(SKIP_2) | instid1(VALU_DEP_3)
	v_lshrrev_b32_e32 v0, 8, v3
	v_lshrrev_b32_e32 v1, 16, v3
	v_xor_b32_e32 v2, 0x80, v3
	v_xor_b32_e32 v0, 0x80, v0
	s_delay_alu instid0(VALU_DEP_3)
	v_xor_b32_e32 v1, 0x80, v1
	ds_store_b8 v19, v2
	ds_store_b8 v19, v0 offset:1
	ds_store_b8 v19, v1 offset:2
	; wave barrier
	ds_load_u8 v22, v17
	ds_load_u8 v23, v17 offset:32
	ds_load_u8 v24, v17 offset:64
	; wave barrier
	; wave barrier
	s_waitcnt lgkmcnt(0)
	s_barrier
	buffer_gl0_inv
	ds_store_2addr_b64 v13, v[9:10], v[11:12] offset0:3 offset1:4
	ds_store_2addr_b64 v14, v[9:10], v[11:12] offset0:2 offset1:3
	s_waitcnt lgkmcnt(0)
	s_barrier
	buffer_gl0_inv
	; wave barrier
	v_and_b32_e32 v0, 1, v22
	v_lshlrev_b32_e32 v1, 30, v22
	v_lshlrev_b32_e32 v2, 29, v22
	;; [unrolled: 1-line block ×4, first 2 shown]
	v_add_co_u32 v0, s12, v0, -1
	s_delay_alu instid0(VALU_DEP_1)
	v_cndmask_b32_e64 v4, 0, 1, s12
	v_not_b32_e32 v25, v1
	v_cmp_gt_i32_e64 s13, 0, v1
	v_not_b32_e32 v1, v2
	v_lshlrev_b32_e32 v6, 26, v22
	v_cmp_ne_u32_e64 s12, 0, v4
	v_ashrrev_i32_e32 v25, 31, v25
	v_lshlrev_b32_e32 v7, 25, v22
	v_ashrrev_i32_e32 v1, 31, v1
	v_lshlrev_b32_e32 v4, 24, v22
	v_xor_b32_e32 v0, s12, v0
	v_cmp_gt_i32_e64 s12, 0, v2
	v_not_b32_e32 v2, v3
	v_xor_b32_e32 v25, s13, v25
	v_cmp_gt_i32_e64 s13, 0, v3
	v_and_b32_e32 v0, exec_lo, v0
	v_not_b32_e32 v3, v5
	v_ashrrev_i32_e32 v2, 31, v2
	v_xor_b32_e32 v1, s12, v1
	v_cmp_gt_i32_e64 s12, 0, v5
	v_and_b32_e32 v0, v0, v25
	v_not_b32_e32 v5, v6
	v_ashrrev_i32_e32 v3, 31, v3
	v_xor_b32_e32 v2, s13, v2
	v_cmp_gt_i32_e64 s13, 0, v6
	v_and_b32_e32 v0, v0, v1
	;; [unrolled: 5-line block ×4, first 2 shown]
	v_ashrrev_i32_e32 v2, 31, v2
	v_xor_b32_e32 v1, s12, v1
	s_delay_alu instid0(VALU_DEP_3) | instskip(NEXT) | instid1(VALU_DEP_3)
	v_and_b32_e32 v0, v0, v5
	v_xor_b32_e32 v2, s13, v2
	s_delay_alu instid0(VALU_DEP_2) | instskip(SKIP_1) | instid1(VALU_DEP_2)
	v_and_b32_e32 v0, v0, v1
	v_and_b32_e32 v1, 0xff, v22
	;; [unrolled: 1-line block ×3, first 2 shown]
	s_delay_alu instid0(VALU_DEP_2) | instskip(NEXT) | instid1(VALU_DEP_2)
	v_mad_u32_u24 v1, v1, 6, v20
	v_mbcnt_lo_u32_b32 v25, v0, 0
	v_cmp_ne_u32_e64 s13, 0, v0
	s_delay_alu instid0(VALU_DEP_3) | instskip(NEXT) | instid1(VALU_DEP_3)
	v_lshl_add_u32 v26, v1, 2, 24
	v_cmp_eq_u32_e64 s12, 0, v25
	s_delay_alu instid0(VALU_DEP_1) | instskip(NEXT) | instid1(SALU_CYCLE_1)
	s_and_b32 s13, s13, s12
	s_and_saveexec_b32 s12, s13
	s_cbranch_execz .LBB258_4
; %bb.3:                                ;   in Loop: Header=BB258_2 Depth=1
	v_bcnt_u32_b32 v0, v0, 0
	ds_store_b32 v26, v0
.LBB258_4:                              ;   in Loop: Header=BB258_2 Depth=1
	s_or_b32 exec_lo, exec_lo, s12
	v_and_b32_e32 v0, 1, v23
	v_lshlrev_b32_e32 v2, 30, v23
	v_lshlrev_b32_e32 v4, 29, v23
	;; [unrolled: 1-line block ×4, first 2 shown]
	v_add_co_u32 v0, s12, v0, -1
	s_delay_alu instid0(VALU_DEP_1)
	v_cndmask_b32_e64 v3, 0, 1, s12
	v_not_b32_e32 v7, v2
	v_cmp_gt_i32_e64 s13, 0, v2
	v_not_b32_e32 v2, v4
	v_and_b32_e32 v1, 0xff, v23
	v_cmp_ne_u32_e64 s12, 0, v3
	v_ashrrev_i32_e32 v7, 31, v7
	v_lshlrev_b32_e32 v3, 26, v23
	v_ashrrev_i32_e32 v2, 31, v2
	v_mul_u32_u24_e32 v1, 6, v1
	v_xor_b32_e32 v0, s12, v0
	v_cmp_gt_i32_e64 s12, 0, v4
	v_not_b32_e32 v4, v5
	v_xor_b32_e32 v7, s13, v7
	v_cmp_gt_i32_e64 s13, 0, v5
	v_and_b32_e32 v0, exec_lo, v0
	v_not_b32_e32 v5, v6
	v_ashrrev_i32_e32 v4, 31, v4
	v_xor_b32_e32 v2, s12, v2
	v_cmp_gt_i32_e64 s12, 0, v6
	v_and_b32_e32 v0, v0, v7
	v_lshlrev_b32_e32 v7, 25, v23
	v_ashrrev_i32_e32 v5, 31, v5
	v_xor_b32_e32 v4, s13, v4
	v_not_b32_e32 v6, v3
	v_and_b32_e32 v0, v0, v2
	v_lshlrev_b32_e32 v2, 24, v23
	v_not_b32_e32 v27, v7
	v_xor_b32_e32 v5, s12, v5
	v_cmp_gt_i32_e64 s12, 0, v3
	v_and_b32_e32 v0, v0, v4
	v_ashrrev_i32_e32 v3, 31, v6
	v_cmp_gt_i32_e64 s13, 0, v7
	v_ashrrev_i32_e32 v4, 31, v27
	v_add_lshl_u32 v1, v20, v1, 2
	v_and_b32_e32 v0, v0, v5
	v_not_b32_e32 v5, v2
	v_xor_b32_e32 v3, s12, v3
	v_xor_b32_e32 v4, s13, v4
	v_cmp_gt_i32_e64 s12, 0, v2
	s_delay_alu instid0(VALU_DEP_4) | instskip(NEXT) | instid1(VALU_DEP_4)
	v_ashrrev_i32_e32 v2, 31, v5
	v_and_b32_e32 v0, v0, v3
	; wave barrier
	ds_load_b32 v27, v1 offset:24
	v_add_nc_u32_e32 v29, 24, v1
	v_xor_b32_e32 v2, s12, v2
	v_and_b32_e32 v0, v0, v4
	; wave barrier
	s_delay_alu instid0(VALU_DEP_1) | instskip(NEXT) | instid1(VALU_DEP_1)
	v_and_b32_e32 v0, v0, v2
	v_mbcnt_lo_u32_b32 v28, v0, 0
	v_cmp_ne_u32_e64 s13, 0, v0
	s_delay_alu instid0(VALU_DEP_2) | instskip(NEXT) | instid1(VALU_DEP_1)
	v_cmp_eq_u32_e64 s12, 0, v28
	s_and_b32 s13, s13, s12
	s_delay_alu instid0(SALU_CYCLE_1)
	s_and_saveexec_b32 s12, s13
	s_cbranch_execz .LBB258_6
; %bb.5:                                ;   in Loop: Header=BB258_2 Depth=1
	s_waitcnt lgkmcnt(0)
	v_bcnt_u32_b32 v0, v0, v27
	ds_store_b32 v29, v0
.LBB258_6:                              ;   in Loop: Header=BB258_2 Depth=1
	s_or_b32 exec_lo, exec_lo, s12
	v_and_b32_e32 v0, 1, v24
	v_lshlrev_b32_e32 v2, 30, v24
	v_lshlrev_b32_e32 v4, 29, v24
	v_lshlrev_b32_e32 v5, 28, v24
	v_lshlrev_b32_e32 v6, 27, v24
	v_add_co_u32 v0, s12, v0, -1
	s_delay_alu instid0(VALU_DEP_1)
	v_cndmask_b32_e64 v3, 0, 1, s12
	v_not_b32_e32 v7, v2
	v_cmp_gt_i32_e64 s13, 0, v2
	v_not_b32_e32 v2, v4
	v_and_b32_e32 v1, 0xff, v24
	v_cmp_ne_u32_e64 s12, 0, v3
	v_ashrrev_i32_e32 v7, 31, v7
	v_lshlrev_b32_e32 v3, 26, v24
	v_ashrrev_i32_e32 v2, 31, v2
	v_mul_u32_u24_e32 v1, 6, v1
	v_xor_b32_e32 v0, s12, v0
	v_cmp_gt_i32_e64 s12, 0, v4
	v_not_b32_e32 v4, v5
	v_xor_b32_e32 v7, s13, v7
	v_cmp_gt_i32_e64 s13, 0, v5
	v_and_b32_e32 v0, exec_lo, v0
	v_not_b32_e32 v5, v6
	v_ashrrev_i32_e32 v4, 31, v4
	v_xor_b32_e32 v2, s12, v2
	v_cmp_gt_i32_e64 s12, 0, v6
	v_and_b32_e32 v0, v0, v7
	v_lshlrev_b32_e32 v7, 25, v24
	v_ashrrev_i32_e32 v5, 31, v5
	v_xor_b32_e32 v4, s13, v4
	v_not_b32_e32 v6, v3
	v_and_b32_e32 v0, v0, v2
	v_lshlrev_b32_e32 v2, 24, v24
	v_not_b32_e32 v30, v7
	v_xor_b32_e32 v5, s12, v5
	v_cmp_gt_i32_e64 s12, 0, v3
	v_and_b32_e32 v0, v0, v4
	v_ashrrev_i32_e32 v3, 31, v6
	v_cmp_gt_i32_e64 s13, 0, v7
	v_ashrrev_i32_e32 v4, 31, v30
	v_add_lshl_u32 v1, v20, v1, 2
	v_and_b32_e32 v0, v0, v5
	v_not_b32_e32 v5, v2
	v_xor_b32_e32 v3, s12, v3
	v_xor_b32_e32 v4, s13, v4
	v_cmp_gt_i32_e64 s12, 0, v2
	s_delay_alu instid0(VALU_DEP_4) | instskip(NEXT) | instid1(VALU_DEP_4)
	v_ashrrev_i32_e32 v2, 31, v5
	v_and_b32_e32 v0, v0, v3
	; wave barrier
	ds_load_b32 v30, v1 offset:24
	v_add_nc_u32_e32 v32, 24, v1
	v_xor_b32_e32 v2, s12, v2
	v_and_b32_e32 v0, v0, v4
	; wave barrier
	s_delay_alu instid0(VALU_DEP_1) | instskip(NEXT) | instid1(VALU_DEP_1)
	v_and_b32_e32 v0, v0, v2
	v_mbcnt_lo_u32_b32 v31, v0, 0
	v_cmp_ne_u32_e64 s13, 0, v0
	s_delay_alu instid0(VALU_DEP_2) | instskip(NEXT) | instid1(VALU_DEP_1)
	v_cmp_eq_u32_e64 s12, 0, v31
	s_and_b32 s13, s13, s12
	s_delay_alu instid0(SALU_CYCLE_1)
	s_and_saveexec_b32 s12, s13
	s_cbranch_execz .LBB258_8
; %bb.7:                                ;   in Loop: Header=BB258_2 Depth=1
	s_waitcnt lgkmcnt(0)
	v_bcnt_u32_b32 v0, v0, v30
	ds_store_b32 v32, v0
.LBB258_8:                              ;   in Loop: Header=BB258_2 Depth=1
	s_or_b32 exec_lo, exec_lo, s12
	; wave barrier
	s_waitcnt lgkmcnt(0)
	s_barrier
	buffer_gl0_inv
	ds_load_2addr_b64 v[4:7], v13 offset0:3 offset1:4
	ds_load_2addr_b64 v[0:3], v14 offset0:2 offset1:3
	s_waitcnt lgkmcnt(1)
	v_add_nc_u32_e32 v33, v5, v4
	s_delay_alu instid0(VALU_DEP_1) | instskip(SKIP_1) | instid1(VALU_DEP_1)
	v_add3_u32 v33, v33, v6, v7
	s_waitcnt lgkmcnt(0)
	v_add3_u32 v33, v33, v0, v1
	s_delay_alu instid0(VALU_DEP_1) | instskip(NEXT) | instid1(VALU_DEP_1)
	v_add3_u32 v3, v33, v2, v3
	v_mov_b32_dpp v33, v3 row_shr:1 row_mask:0xf bank_mask:0xf
	s_delay_alu instid0(VALU_DEP_1) | instskip(NEXT) | instid1(VALU_DEP_1)
	v_cndmask_b32_e64 v33, v33, 0, s0
	v_add_nc_u32_e32 v3, v33, v3
	s_delay_alu instid0(VALU_DEP_1) | instskip(NEXT) | instid1(VALU_DEP_1)
	v_mov_b32_dpp v33, v3 row_shr:2 row_mask:0xf bank_mask:0xf
	v_cndmask_b32_e64 v33, 0, v33, s1
	s_delay_alu instid0(VALU_DEP_1) | instskip(NEXT) | instid1(VALU_DEP_1)
	v_add_nc_u32_e32 v3, v3, v33
	v_mov_b32_dpp v33, v3 row_shr:4 row_mask:0xf bank_mask:0xf
	s_delay_alu instid0(VALU_DEP_1) | instskip(NEXT) | instid1(VALU_DEP_1)
	v_cndmask_b32_e64 v33, 0, v33, s2
	v_add_nc_u32_e32 v3, v3, v33
	s_delay_alu instid0(VALU_DEP_1) | instskip(NEXT) | instid1(VALU_DEP_1)
	v_mov_b32_dpp v33, v3 row_shr:8 row_mask:0xf bank_mask:0xf
	v_cndmask_b32_e64 v33, 0, v33, s3
	s_delay_alu instid0(VALU_DEP_1) | instskip(SKIP_3) | instid1(VALU_DEP_1)
	v_add_nc_u32_e32 v3, v3, v33
	ds_swizzle_b32 v33, v3 offset:swizzle(BROADCAST,32,15)
	s_waitcnt lgkmcnt(0)
	v_cndmask_b32_e64 v33, v33, 0, s4
	v_add_nc_u32_e32 v3, v3, v33
	s_and_saveexec_b32 s12, s11
	s_cbranch_execz .LBB258_10
; %bb.9:                                ;   in Loop: Header=BB258_2 Depth=1
	ds_store_b32 v15, v3
.LBB258_10:                             ;   in Loop: Header=BB258_2 Depth=1
	s_or_b32 exec_lo, exec_lo, s12
	s_waitcnt lgkmcnt(0)
	s_barrier
	buffer_gl0_inv
	s_and_saveexec_b32 s12, s5
	s_cbranch_execz .LBB258_12
; %bb.11:                               ;   in Loop: Header=BB258_2 Depth=1
	ds_load_b32 v33, v21
	s_waitcnt lgkmcnt(0)
	v_mov_b32_dpp v34, v33 row_shr:1 row_mask:0xf bank_mask:0xf
	s_delay_alu instid0(VALU_DEP_1) | instskip(NEXT) | instid1(VALU_DEP_1)
	v_cndmask_b32_e64 v34, v34, 0, s8
	v_add_nc_u32_e32 v33, v34, v33
	s_delay_alu instid0(VALU_DEP_1) | instskip(NEXT) | instid1(VALU_DEP_1)
	v_mov_b32_dpp v34, v33 row_shr:2 row_mask:0xf bank_mask:0xf
	v_cndmask_b32_e64 v34, 0, v34, s9
	s_delay_alu instid0(VALU_DEP_1) | instskip(NEXT) | instid1(VALU_DEP_1)
	v_add_nc_u32_e32 v33, v33, v34
	v_mov_b32_dpp v34, v33 row_shr:4 row_mask:0xf bank_mask:0xf
	s_delay_alu instid0(VALU_DEP_1) | instskip(NEXT) | instid1(VALU_DEP_1)
	v_cndmask_b32_e64 v34, 0, v34, s10
	v_add_nc_u32_e32 v33, v33, v34
	ds_store_b32 v21, v33
.LBB258_12:                             ;   in Loop: Header=BB258_2 Depth=1
	s_or_b32 exec_lo, exec_lo, s12
	v_mov_b32_e32 v33, 0
	s_waitcnt lgkmcnt(0)
	s_barrier
	buffer_gl0_inv
	s_and_saveexec_b32 s12, s6
	s_cbranch_execz .LBB258_1
; %bb.13:                               ;   in Loop: Header=BB258_2 Depth=1
	ds_load_b32 v33, v18
	s_branch .LBB258_1
.LBB258_14:
	s_add_u32 s0, s18, s14
	s_addc_u32 s1, s19, 0
	s_clause 0x2
	global_store_b8 v8, v2, s[0:1]
	global_store_b8 v8, v0, s[0:1] offset:192
	global_store_b8 v8, v1, s[0:1] offset:384
	s_nop 0
	s_sendmsg sendmsg(MSG_DEALLOC_VGPRS)
	s_endpgm
	.section	.rodata,"a",@progbits
	.p2align	6, 0x0
	.amdhsa_kernel _Z16sort_keys_kernelI22helper_blocked_stripedaLj192ELj3ELj10EEvPKT0_PS1_
		.amdhsa_group_segment_fixed_size 6176
		.amdhsa_private_segment_fixed_size 0
		.amdhsa_kernarg_size 272
		.amdhsa_user_sgpr_count 15
		.amdhsa_user_sgpr_dispatch_ptr 0
		.amdhsa_user_sgpr_queue_ptr 0
		.amdhsa_user_sgpr_kernarg_segment_ptr 1
		.amdhsa_user_sgpr_dispatch_id 0
		.amdhsa_user_sgpr_private_segment_size 0
		.amdhsa_wavefront_size32 1
		.amdhsa_uses_dynamic_stack 0
		.amdhsa_enable_private_segment 0
		.amdhsa_system_sgpr_workgroup_id_x 1
		.amdhsa_system_sgpr_workgroup_id_y 0
		.amdhsa_system_sgpr_workgroup_id_z 0
		.amdhsa_system_sgpr_workgroup_info 0
		.amdhsa_system_vgpr_workitem_id 2
		.amdhsa_next_free_vgpr 35
		.amdhsa_next_free_sgpr 20
		.amdhsa_reserve_vcc 1
		.amdhsa_float_round_mode_32 0
		.amdhsa_float_round_mode_16_64 0
		.amdhsa_float_denorm_mode_32 3
		.amdhsa_float_denorm_mode_16_64 3
		.amdhsa_dx10_clamp 1
		.amdhsa_ieee_mode 1
		.amdhsa_fp16_overflow 0
		.amdhsa_workgroup_processor_mode 1
		.amdhsa_memory_ordered 1
		.amdhsa_forward_progress 0
		.amdhsa_shared_vgpr_count 0
		.amdhsa_exception_fp_ieee_invalid_op 0
		.amdhsa_exception_fp_denorm_src 0
		.amdhsa_exception_fp_ieee_div_zero 0
		.amdhsa_exception_fp_ieee_overflow 0
		.amdhsa_exception_fp_ieee_underflow 0
		.amdhsa_exception_fp_ieee_inexact 0
		.amdhsa_exception_int_div_zero 0
	.end_amdhsa_kernel
	.section	.text._Z16sort_keys_kernelI22helper_blocked_stripedaLj192ELj3ELj10EEvPKT0_PS1_,"axG",@progbits,_Z16sort_keys_kernelI22helper_blocked_stripedaLj192ELj3ELj10EEvPKT0_PS1_,comdat
.Lfunc_end258:
	.size	_Z16sort_keys_kernelI22helper_blocked_stripedaLj192ELj3ELj10EEvPKT0_PS1_, .Lfunc_end258-_Z16sort_keys_kernelI22helper_blocked_stripedaLj192ELj3ELj10EEvPKT0_PS1_
                                        ; -- End function
	.section	.AMDGPU.csdata,"",@progbits
; Kernel info:
; codeLenInByte = 2368
; NumSgprs: 22
; NumVgprs: 35
; ScratchSize: 0
; MemoryBound: 0
; FloatMode: 240
; IeeeMode: 1
; LDSByteSize: 6176 bytes/workgroup (compile time only)
; SGPRBlocks: 2
; VGPRBlocks: 4
; NumSGPRsForWavesPerEU: 22
; NumVGPRsForWavesPerEU: 35
; Occupancy: 15
; WaveLimiterHint : 1
; COMPUTE_PGM_RSRC2:SCRATCH_EN: 0
; COMPUTE_PGM_RSRC2:USER_SGPR: 15
; COMPUTE_PGM_RSRC2:TRAP_HANDLER: 0
; COMPUTE_PGM_RSRC2:TGID_X_EN: 1
; COMPUTE_PGM_RSRC2:TGID_Y_EN: 0
; COMPUTE_PGM_RSRC2:TGID_Z_EN: 0
; COMPUTE_PGM_RSRC2:TIDIG_COMP_CNT: 2
	.section	.text._Z17sort_pairs_kernelI22helper_blocked_stripedaLj192ELj3ELj10EEvPKT0_PS1_,"axG",@progbits,_Z17sort_pairs_kernelI22helper_blocked_stripedaLj192ELj3ELj10EEvPKT0_PS1_,comdat
	.protected	_Z17sort_pairs_kernelI22helper_blocked_stripedaLj192ELj3ELj10EEvPKT0_PS1_ ; -- Begin function _Z17sort_pairs_kernelI22helper_blocked_stripedaLj192ELj3ELj10EEvPKT0_PS1_
	.globl	_Z17sort_pairs_kernelI22helper_blocked_stripedaLj192ELj3ELj10EEvPKT0_PS1_
	.p2align	8
	.type	_Z17sort_pairs_kernelI22helper_blocked_stripedaLj192ELj3ELj10EEvPKT0_PS1_,@function
_Z17sort_pairs_kernelI22helper_blocked_stripedaLj192ELj3ELj10EEvPKT0_PS1_: ; @_Z17sort_pairs_kernelI22helper_blocked_stripedaLj192ELj3ELj10EEvPKT0_PS1_
; %bb.0:
	s_clause 0x1
	s_load_b128 s[16:19], s[0:1], 0x0
	s_load_b32 s11, s[0:1], 0x1c
	v_and_b32_e32 v8, 0x3ff, v0
	s_mul_i32 s14, s15, 0x240
	v_mbcnt_lo_u32_b32 v4, -1, 0
	v_bfe_u32 v6, v0, 10, 10
	v_bfe_u32 v0, v0, 20, 10
	v_mul_u32_u24_e32 v2, 3, v8
	s_mov_b32 s15, 10
	v_add_nc_u32_e32 v15, -1, v4
	v_and_b32_e32 v16, 7, v4
	v_mul_u32_u24_e32 v5, 3, v4
	v_and_b32_e32 v14, 16, v4
	v_cmp_eq_u32_e32 vcc_lo, 0, v4
	v_cmp_gt_i32_e64 s7, 0, v15
	v_cmp_eq_u32_e64 s8, 0, v16
	v_cmp_lt_u32_e64 s9, 1, v16
	v_cmp_lt_u32_e64 s10, 3, v16
	v_cmp_eq_u32_e64 s4, 0, v14
	v_cndmask_b32_e64 v15, v15, v4, s7
	s_waitcnt lgkmcnt(0)
	s_add_u32 s0, s16, s14
	s_addc_u32 s1, s17, 0
	s_lshr_b32 s12, s11, 16
	s_clause 0x1
	global_load_u16 v1, v2, s[0:1]
	global_load_i8 v3, v2, s[0:1] offset:2
	s_mov_b32 s0, 0
	v_mad_u32_u24 v6, v0, s12, v6
	s_mov_b32 s3, s0
	s_mov_b32 s2, s0
	v_dual_mov_b32 v12, s3 :: v_dual_and_b32 v7, 15, v4
	s_mov_b32 s1, s0
	s_delay_alu instid0(SALU_CYCLE_1)
	v_dual_mov_b32 v11, s2 :: v_dual_mov_b32 v10, s1
	v_mov_b32_e32 v9, s0
	v_lshrrev_b32_e32 v17, 5, v8
	v_cmp_eq_u32_e64 s0, 0, v7
	v_cmp_lt_u32_e64 s1, 1, v7
	v_cmp_lt_u32_e64 s2, 3, v7
	;; [unrolled: 1-line block ×3, first 2 shown]
	v_and_b32_e32 v7, 0xe0, v8
	v_mul_u32_u24_e32 v19, 0x60, v17
	v_lshlrev_b32_e32 v16, 2, v17
	s_and_b32 s11, s11, 0xffff
	v_lshlrev_b32_e32 v13, 5, v8
	v_min_u32_e32 v7, 0xa0, v7
	v_or_b32_e32 v17, v4, v19
	v_cmp_gt_u32_e64 s5, 6, v8
	v_cmp_lt_u32_e64 s6, 31, v8
	v_cmp_eq_u32_e64 s7, 0, v8
	v_or_b32_e32 v4, 31, v7
	v_or_b32_e32 v14, 24, v13
	v_lshlrev_b32_e32 v15, 2, v15
	v_add_nc_u32_e32 v19, v5, v19
	s_waitcnt vmcnt(1)
	v_lshrrev_b32_e32 v18, 8, v1
	v_add_nc_u16 v20, v1, 1
	s_waitcnt vmcnt(0)
	v_add_nc_u16 v21, v3, 1
	s_delay_alu instid0(VALU_DEP_3) | instskip(NEXT) | instid1(VALU_DEP_3)
	v_lshlrev_b16 v7, 8, v18
	v_and_b32_e32 v18, 0xff, v20
	v_and_b32_e32 v20, 0xff, v1
	v_mad_u64_u32 v[0:1], null, v6, s11, v[8:9]
	v_and_b32_e32 v1, 0xff, v3
	s_delay_alu instid0(VALU_DEP_4)
	v_or_b32_e32 v18, v7, v18
	v_and_b32_e32 v3, 0xff, v21
	v_or_b32_e32 v6, v20, v7
	v_cmp_eq_u32_e64 s11, v4, v8
	v_lshlrev_b32_e32 v1, 16, v1
	v_add_nc_u16 v7, v18, 0x100
	v_lshlrev_b32_e32 v3, 16, v3
	v_and_b32_e32 v6, 0xffff, v6
	v_add_nc_u32_e32 v18, -4, v16
	v_lshrrev_b32_e32 v20, 5, v0
	v_and_b32_e32 v21, 0xffff, v7
	s_delay_alu instid0(VALU_DEP_4) | instskip(NEXT) | instid1(VALU_DEP_2)
	v_or_b32_e32 v7, v6, v1
	v_or_b32_e32 v0, v21, v3
	v_add_nc_u32_e32 v21, v8, v2
	s_branch .LBB259_2
.LBB259_1:                              ;   in Loop: Header=BB259_2 Depth=1
	s_or_b32 exec_lo, exec_lo, s12
	s_waitcnt lgkmcnt(0)
	v_add_nc_u32_e32 v3, v36, v3
	s_add_i32 s15, s15, -1
	s_delay_alu instid0(SALU_CYCLE_1) | instskip(SKIP_3) | instid1(VALU_DEP_1)
	s_cmp_eq_u32 s15, 0
	ds_bpermute_b32 v3, v15, v3
	s_waitcnt lgkmcnt(0)
	v_cndmask_b32_e32 v3, v3, v36, vcc_lo
	v_cndmask_b32_e64 v3, v3, 0, s7
	s_delay_alu instid0(VALU_DEP_1) | instskip(NEXT) | instid1(VALU_DEP_1)
	v_add_nc_u32_e32 v4, v3, v4
	v_add_nc_u32_e32 v5, v4, v5
	s_delay_alu instid0(VALU_DEP_1) | instskip(NEXT) | instid1(VALU_DEP_1)
	v_add_nc_u32_e32 v6, v5, v6
	v_add_nc_u32_e32 v36, v6, v7
	s_delay_alu instid0(VALU_DEP_1) | instskip(NEXT) | instid1(VALU_DEP_1)
	v_add_nc_u32_e32 v37, v36, v0
	v_add_nc_u32_e32 v0, v37, v1
	s_delay_alu instid0(VALU_DEP_1)
	v_add_nc_u32_e32 v1, v0, v2
	ds_store_2addr_b64 v13, v[3:4], v[5:6] offset0:3 offset1:4
	ds_store_2addr_b64 v14, v[36:37], v[0:1] offset0:2 offset1:3
	s_waitcnt lgkmcnt(0)
	s_barrier
	buffer_gl0_inv
	ds_load_b32 v0, v29
	ds_load_b32 v1, v32
	;; [unrolled: 1-line block ×3, first 2 shown]
	s_waitcnt lgkmcnt(0)
	s_barrier
	buffer_gl0_inv
	v_add_nc_u32_e32 v0, v0, v28
	v_add3_u32 v1, v31, v30, v1
	v_add3_u32 v2, v34, v33, v2
	ds_store_b8 v0, v22
	ds_store_b8 v1, v23
	;; [unrolled: 1-line block ×3, first 2 shown]
	s_waitcnt lgkmcnt(0)
	s_barrier
	buffer_gl0_inv
	ds_load_u8 v5, v8
	ds_load_u8 v4, v8 offset:192
	ds_load_u8 v6, v8 offset:384
	s_waitcnt lgkmcnt(0)
	s_barrier
	buffer_gl0_inv
	ds_store_b8 v0, v25
	ds_store_b8 v1, v26
	;; [unrolled: 1-line block ×3, first 2 shown]
	s_waitcnt lgkmcnt(0)
	s_barrier
	buffer_gl0_inv
	ds_load_u8 v1, v8 offset:192
	ds_load_u8 v3, v8
	ds_load_u8 v2, v8 offset:384
	v_xor_b32_e32 v5, 0xffffff80, v5
	v_xor_b32_e32 v4, 0xffffff80, v4
	;; [unrolled: 1-line block ×3, first 2 shown]
	s_delay_alu instid0(VALU_DEP_3) | instskip(NEXT) | instid1(VALU_DEP_3)
	v_and_b32_e32 v22, 0xff, v5
	v_lshlrev_b16 v7, 8, v4
	s_delay_alu instid0(VALU_DEP_3) | instskip(SKIP_2) | instid1(VALU_DEP_3)
	v_and_b32_e32 v23, 0xff, v6
	s_waitcnt lgkmcnt(2)
	v_lshlrev_b16 v0, 8, v1
	v_or_b32_e32 v7, v22, v7
	s_waitcnt lgkmcnt(0)
	v_lshlrev_b32_e32 v22, 16, v2
	s_delay_alu instid0(VALU_DEP_3) | instskip(SKIP_2) | instid1(VALU_DEP_3)
	v_or_b32_e32 v0, v3, v0
	v_lshlrev_b32_e32 v23, 16, v23
	v_and_b32_e32 v7, 0xffff, v7
	v_and_b32_e32 v0, 0xffff, v0
	s_delay_alu instid0(VALU_DEP_2) | instskip(NEXT) | instid1(VALU_DEP_2)
	v_or_b32_e32 v7, v7, v23
	v_or_b32_e32 v0, v0, v22
	s_cbranch_scc1 .LBB259_14
.LBB259_2:                              ; =>This Inner Loop Header: Depth=1
	s_delay_alu instid0(VALU_DEP_2) | instskip(SKIP_2) | instid1(VALU_DEP_3)
	v_lshrrev_b32_e32 v1, 8, v7
	v_lshrrev_b32_e32 v2, 16, v7
	v_xor_b32_e32 v3, 0x80, v7
	v_xor_b32_e32 v1, 0x80, v1
	s_delay_alu instid0(VALU_DEP_3)
	v_xor_b32_e32 v2, 0x80, v2
	ds_store_b8 v19, v3
	ds_store_b8 v19, v1 offset:1
	ds_store_b8 v19, v2 offset:2
	; wave barrier
	ds_load_u8 v22, v17
	v_lshrrev_b32_e32 v1, 8, v0
	ds_load_u8 v23, v17 offset:32
	ds_load_u8 v24, v17 offset:64
	; wave barrier
	ds_store_b8 v19, v0
	ds_store_b8 v19, v1 offset:1
	ds_store_b8_d16_hi v19, v0 offset:2
	; wave barrier
	s_waitcnt lgkmcnt(5)
	v_and_b32_e32 v2, 1, v22
	v_lshlrev_b32_e32 v3, 30, v22
	v_lshlrev_b32_e32 v4, 29, v22
	;; [unrolled: 1-line block ×4, first 2 shown]
	v_add_co_u32 v2, s12, v2, -1
	s_delay_alu instid0(VALU_DEP_1)
	v_cndmask_b32_e64 v6, 0, 1, s12
	v_not_b32_e32 v27, v3
	v_cmp_gt_i32_e64 s13, 0, v3
	v_not_b32_e32 v3, v4
	v_lshlrev_b32_e32 v25, 26, v22
	v_cmp_ne_u32_e64 s12, 0, v6
	v_ashrrev_i32_e32 v27, 31, v27
	v_lshlrev_b32_e32 v26, 25, v22
	v_ashrrev_i32_e32 v3, 31, v3
	v_lshlrev_b32_e32 v6, 24, v22
	v_xor_b32_e32 v2, s12, v2
	v_cmp_gt_i32_e64 s12, 0, v4
	v_not_b32_e32 v4, v5
	v_xor_b32_e32 v27, s13, v27
	v_cmp_gt_i32_e64 s13, 0, v5
	v_and_b32_e32 v2, exec_lo, v2
	v_not_b32_e32 v5, v7
	v_ashrrev_i32_e32 v4, 31, v4
	v_xor_b32_e32 v3, s12, v3
	v_cmp_gt_i32_e64 s12, 0, v7
	v_and_b32_e32 v2, v2, v27
	v_not_b32_e32 v7, v25
	v_ashrrev_i32_e32 v5, 31, v5
	v_xor_b32_e32 v4, s13, v4
	v_cmp_gt_i32_e64 s13, 0, v25
	v_and_b32_e32 v2, v2, v3
	;; [unrolled: 5-line block ×4, first 2 shown]
	v_ashrrev_i32_e32 v4, 31, v4
	v_xor_b32_e32 v3, s12, v3
	ds_load_u8 v25, v17
	ds_load_u8 v26, v17 offset:32
	ds_load_u8 v27, v17 offset:64
	s_waitcnt lgkmcnt(0)
	v_and_b32_e32 v2, v2, v7
	v_xor_b32_e32 v0, s13, v4
	s_barrier
	buffer_gl0_inv
	ds_store_2addr_b64 v13, v[9:10], v[11:12] offset0:3 offset1:4
	ds_store_2addr_b64 v14, v[9:10], v[11:12] offset0:2 offset1:3
	v_and_b32_e32 v1, v2, v3
	s_waitcnt lgkmcnt(0)
	s_barrier
	buffer_gl0_inv
	v_and_b32_e32 v0, v1, v0
	v_and_b32_e32 v1, 0xff, v22
	; wave barrier
	s_delay_alu instid0(VALU_DEP_2) | instskip(NEXT) | instid1(VALU_DEP_2)
	v_mbcnt_lo_u32_b32 v28, v0, 0
	v_mad_u32_u24 v1, v1, 6, v20
	v_cmp_ne_u32_e64 s13, 0, v0
	s_delay_alu instid0(VALU_DEP_3) | instskip(NEXT) | instid1(VALU_DEP_3)
	v_cmp_eq_u32_e64 s12, 0, v28
	v_lshl_add_u32 v29, v1, 2, 24
	s_delay_alu instid0(VALU_DEP_2) | instskip(NEXT) | instid1(SALU_CYCLE_1)
	s_and_b32 s13, s13, s12
	s_and_saveexec_b32 s12, s13
	s_cbranch_execz .LBB259_4
; %bb.3:                                ;   in Loop: Header=BB259_2 Depth=1
	v_bcnt_u32_b32 v0, v0, 0
	ds_store_b32 v29, v0
.LBB259_4:                              ;   in Loop: Header=BB259_2 Depth=1
	s_or_b32 exec_lo, exec_lo, s12
	v_and_b32_e32 v0, 1, v23
	v_lshlrev_b32_e32 v2, 30, v23
	v_lshlrev_b32_e32 v4, 29, v23
	;; [unrolled: 1-line block ×4, first 2 shown]
	v_add_co_u32 v0, s12, v0, -1
	s_delay_alu instid0(VALU_DEP_1)
	v_cndmask_b32_e64 v3, 0, 1, s12
	v_not_b32_e32 v7, v2
	v_cmp_gt_i32_e64 s13, 0, v2
	v_not_b32_e32 v2, v4
	v_and_b32_e32 v1, 0xff, v23
	v_cmp_ne_u32_e64 s12, 0, v3
	v_ashrrev_i32_e32 v7, 31, v7
	v_lshlrev_b32_e32 v3, 26, v23
	v_ashrrev_i32_e32 v2, 31, v2
	v_mul_u32_u24_e32 v1, 6, v1
	v_xor_b32_e32 v0, s12, v0
	v_cmp_gt_i32_e64 s12, 0, v4
	v_not_b32_e32 v4, v5
	v_xor_b32_e32 v7, s13, v7
	v_cmp_gt_i32_e64 s13, 0, v5
	v_and_b32_e32 v0, exec_lo, v0
	v_not_b32_e32 v5, v6
	v_ashrrev_i32_e32 v4, 31, v4
	v_xor_b32_e32 v2, s12, v2
	v_cmp_gt_i32_e64 s12, 0, v6
	v_and_b32_e32 v0, v0, v7
	v_lshlrev_b32_e32 v7, 25, v23
	v_ashrrev_i32_e32 v5, 31, v5
	v_xor_b32_e32 v4, s13, v4
	v_not_b32_e32 v6, v3
	v_and_b32_e32 v0, v0, v2
	v_lshlrev_b32_e32 v2, 24, v23
	v_not_b32_e32 v30, v7
	v_xor_b32_e32 v5, s12, v5
	v_cmp_gt_i32_e64 s12, 0, v3
	v_and_b32_e32 v0, v0, v4
	v_ashrrev_i32_e32 v3, 31, v6
	v_cmp_gt_i32_e64 s13, 0, v7
	v_ashrrev_i32_e32 v4, 31, v30
	v_add_lshl_u32 v1, v20, v1, 2
	v_and_b32_e32 v0, v0, v5
	v_not_b32_e32 v5, v2
	v_xor_b32_e32 v3, s12, v3
	v_xor_b32_e32 v4, s13, v4
	v_cmp_gt_i32_e64 s12, 0, v2
	s_delay_alu instid0(VALU_DEP_4) | instskip(NEXT) | instid1(VALU_DEP_4)
	v_ashrrev_i32_e32 v2, 31, v5
	v_and_b32_e32 v0, v0, v3
	; wave barrier
	ds_load_b32 v30, v1 offset:24
	v_add_nc_u32_e32 v32, 24, v1
	v_xor_b32_e32 v2, s12, v2
	v_and_b32_e32 v0, v0, v4
	; wave barrier
	s_delay_alu instid0(VALU_DEP_1) | instskip(NEXT) | instid1(VALU_DEP_1)
	v_and_b32_e32 v0, v0, v2
	v_mbcnt_lo_u32_b32 v31, v0, 0
	v_cmp_ne_u32_e64 s13, 0, v0
	s_delay_alu instid0(VALU_DEP_2) | instskip(NEXT) | instid1(VALU_DEP_1)
	v_cmp_eq_u32_e64 s12, 0, v31
	s_and_b32 s13, s13, s12
	s_delay_alu instid0(SALU_CYCLE_1)
	s_and_saveexec_b32 s12, s13
	s_cbranch_execz .LBB259_6
; %bb.5:                                ;   in Loop: Header=BB259_2 Depth=1
	s_waitcnt lgkmcnt(0)
	v_bcnt_u32_b32 v0, v0, v30
	ds_store_b32 v32, v0
.LBB259_6:                              ;   in Loop: Header=BB259_2 Depth=1
	s_or_b32 exec_lo, exec_lo, s12
	v_and_b32_e32 v0, 1, v24
	v_lshlrev_b32_e32 v2, 30, v24
	v_lshlrev_b32_e32 v4, 29, v24
	;; [unrolled: 1-line block ×4, first 2 shown]
	v_add_co_u32 v0, s12, v0, -1
	s_delay_alu instid0(VALU_DEP_1)
	v_cndmask_b32_e64 v3, 0, 1, s12
	v_not_b32_e32 v7, v2
	v_cmp_gt_i32_e64 s13, 0, v2
	v_not_b32_e32 v2, v4
	v_and_b32_e32 v1, 0xff, v24
	v_cmp_ne_u32_e64 s12, 0, v3
	v_ashrrev_i32_e32 v7, 31, v7
	v_lshlrev_b32_e32 v3, 26, v24
	v_ashrrev_i32_e32 v2, 31, v2
	v_mul_u32_u24_e32 v1, 6, v1
	v_xor_b32_e32 v0, s12, v0
	v_cmp_gt_i32_e64 s12, 0, v4
	v_not_b32_e32 v4, v5
	v_xor_b32_e32 v7, s13, v7
	v_cmp_gt_i32_e64 s13, 0, v5
	v_and_b32_e32 v0, exec_lo, v0
	v_not_b32_e32 v5, v6
	v_ashrrev_i32_e32 v4, 31, v4
	v_xor_b32_e32 v2, s12, v2
	v_cmp_gt_i32_e64 s12, 0, v6
	v_and_b32_e32 v0, v0, v7
	v_lshlrev_b32_e32 v7, 25, v24
	v_ashrrev_i32_e32 v5, 31, v5
	v_xor_b32_e32 v4, s13, v4
	v_not_b32_e32 v6, v3
	v_and_b32_e32 v0, v0, v2
	v_lshlrev_b32_e32 v2, 24, v24
	v_not_b32_e32 v33, v7
	v_xor_b32_e32 v5, s12, v5
	v_cmp_gt_i32_e64 s12, 0, v3
	v_and_b32_e32 v0, v0, v4
	v_ashrrev_i32_e32 v3, 31, v6
	v_cmp_gt_i32_e64 s13, 0, v7
	v_ashrrev_i32_e32 v4, 31, v33
	v_add_lshl_u32 v1, v20, v1, 2
	v_and_b32_e32 v0, v0, v5
	v_not_b32_e32 v5, v2
	v_xor_b32_e32 v3, s12, v3
	v_xor_b32_e32 v4, s13, v4
	v_cmp_gt_i32_e64 s12, 0, v2
	s_delay_alu instid0(VALU_DEP_4) | instskip(NEXT) | instid1(VALU_DEP_4)
	v_ashrrev_i32_e32 v2, 31, v5
	v_and_b32_e32 v0, v0, v3
	; wave barrier
	ds_load_b32 v33, v1 offset:24
	v_add_nc_u32_e32 v35, 24, v1
	v_xor_b32_e32 v2, s12, v2
	v_and_b32_e32 v0, v0, v4
	; wave barrier
	s_delay_alu instid0(VALU_DEP_1) | instskip(NEXT) | instid1(VALU_DEP_1)
	v_and_b32_e32 v0, v0, v2
	v_mbcnt_lo_u32_b32 v34, v0, 0
	v_cmp_ne_u32_e64 s13, 0, v0
	s_delay_alu instid0(VALU_DEP_2) | instskip(NEXT) | instid1(VALU_DEP_1)
	v_cmp_eq_u32_e64 s12, 0, v34
	s_and_b32 s13, s13, s12
	s_delay_alu instid0(SALU_CYCLE_1)
	s_and_saveexec_b32 s12, s13
	s_cbranch_execz .LBB259_8
; %bb.7:                                ;   in Loop: Header=BB259_2 Depth=1
	s_waitcnt lgkmcnt(0)
	v_bcnt_u32_b32 v0, v0, v33
	ds_store_b32 v35, v0
.LBB259_8:                              ;   in Loop: Header=BB259_2 Depth=1
	s_or_b32 exec_lo, exec_lo, s12
	; wave barrier
	s_waitcnt lgkmcnt(0)
	s_barrier
	buffer_gl0_inv
	ds_load_2addr_b64 v[4:7], v13 offset0:3 offset1:4
	ds_load_2addr_b64 v[0:3], v14 offset0:2 offset1:3
	s_waitcnt lgkmcnt(1)
	v_add_nc_u32_e32 v36, v5, v4
	s_delay_alu instid0(VALU_DEP_1) | instskip(SKIP_1) | instid1(VALU_DEP_1)
	v_add3_u32 v36, v36, v6, v7
	s_waitcnt lgkmcnt(0)
	v_add3_u32 v36, v36, v0, v1
	s_delay_alu instid0(VALU_DEP_1) | instskip(NEXT) | instid1(VALU_DEP_1)
	v_add3_u32 v3, v36, v2, v3
	v_mov_b32_dpp v36, v3 row_shr:1 row_mask:0xf bank_mask:0xf
	s_delay_alu instid0(VALU_DEP_1) | instskip(NEXT) | instid1(VALU_DEP_1)
	v_cndmask_b32_e64 v36, v36, 0, s0
	v_add_nc_u32_e32 v3, v36, v3
	s_delay_alu instid0(VALU_DEP_1) | instskip(NEXT) | instid1(VALU_DEP_1)
	v_mov_b32_dpp v36, v3 row_shr:2 row_mask:0xf bank_mask:0xf
	v_cndmask_b32_e64 v36, 0, v36, s1
	s_delay_alu instid0(VALU_DEP_1) | instskip(NEXT) | instid1(VALU_DEP_1)
	v_add_nc_u32_e32 v3, v3, v36
	v_mov_b32_dpp v36, v3 row_shr:4 row_mask:0xf bank_mask:0xf
	s_delay_alu instid0(VALU_DEP_1) | instskip(NEXT) | instid1(VALU_DEP_1)
	v_cndmask_b32_e64 v36, 0, v36, s2
	v_add_nc_u32_e32 v3, v3, v36
	s_delay_alu instid0(VALU_DEP_1) | instskip(NEXT) | instid1(VALU_DEP_1)
	v_mov_b32_dpp v36, v3 row_shr:8 row_mask:0xf bank_mask:0xf
	v_cndmask_b32_e64 v36, 0, v36, s3
	s_delay_alu instid0(VALU_DEP_1) | instskip(SKIP_3) | instid1(VALU_DEP_1)
	v_add_nc_u32_e32 v3, v3, v36
	ds_swizzle_b32 v36, v3 offset:swizzle(BROADCAST,32,15)
	s_waitcnt lgkmcnt(0)
	v_cndmask_b32_e64 v36, v36, 0, s4
	v_add_nc_u32_e32 v3, v3, v36
	s_and_saveexec_b32 s12, s11
	s_cbranch_execz .LBB259_10
; %bb.9:                                ;   in Loop: Header=BB259_2 Depth=1
	ds_store_b32 v16, v3
.LBB259_10:                             ;   in Loop: Header=BB259_2 Depth=1
	s_or_b32 exec_lo, exec_lo, s12
	s_waitcnt lgkmcnt(0)
	s_barrier
	buffer_gl0_inv
	s_and_saveexec_b32 s12, s5
	s_cbranch_execz .LBB259_12
; %bb.11:                               ;   in Loop: Header=BB259_2 Depth=1
	ds_load_b32 v36, v21
	s_waitcnt lgkmcnt(0)
	v_mov_b32_dpp v37, v36 row_shr:1 row_mask:0xf bank_mask:0xf
	s_delay_alu instid0(VALU_DEP_1) | instskip(NEXT) | instid1(VALU_DEP_1)
	v_cndmask_b32_e64 v37, v37, 0, s8
	v_add_nc_u32_e32 v36, v37, v36
	s_delay_alu instid0(VALU_DEP_1) | instskip(NEXT) | instid1(VALU_DEP_1)
	v_mov_b32_dpp v37, v36 row_shr:2 row_mask:0xf bank_mask:0xf
	v_cndmask_b32_e64 v37, 0, v37, s9
	s_delay_alu instid0(VALU_DEP_1) | instskip(NEXT) | instid1(VALU_DEP_1)
	v_add_nc_u32_e32 v36, v36, v37
	v_mov_b32_dpp v37, v36 row_shr:4 row_mask:0xf bank_mask:0xf
	s_delay_alu instid0(VALU_DEP_1) | instskip(NEXT) | instid1(VALU_DEP_1)
	v_cndmask_b32_e64 v37, 0, v37, s10
	v_add_nc_u32_e32 v36, v36, v37
	ds_store_b32 v21, v36
.LBB259_12:                             ;   in Loop: Header=BB259_2 Depth=1
	s_or_b32 exec_lo, exec_lo, s12
	v_mov_b32_e32 v36, 0
	s_waitcnt lgkmcnt(0)
	s_barrier
	buffer_gl0_inv
	s_and_saveexec_b32 s12, s6
	s_cbranch_execz .LBB259_1
; %bb.13:                               ;   in Loop: Header=BB259_2 Depth=1
	ds_load_b32 v36, v18
	s_branch .LBB259_1
.LBB259_14:
	v_add_nc_u16 v0, v5, v3
	v_add_nc_u16 v1, v4, v1
	;; [unrolled: 1-line block ×3, first 2 shown]
	s_add_u32 s0, s18, s14
	s_addc_u32 s1, s19, 0
	s_clause 0x2
	global_store_b8 v8, v0, s[0:1]
	global_store_b8 v8, v1, s[0:1] offset:192
	global_store_b8 v8, v2, s[0:1] offset:384
	s_nop 0
	s_sendmsg sendmsg(MSG_DEALLOC_VGPRS)
	s_endpgm
	.section	.rodata,"a",@progbits
	.p2align	6, 0x0
	.amdhsa_kernel _Z17sort_pairs_kernelI22helper_blocked_stripedaLj192ELj3ELj10EEvPKT0_PS1_
		.amdhsa_group_segment_fixed_size 6176
		.amdhsa_private_segment_fixed_size 0
		.amdhsa_kernarg_size 272
		.amdhsa_user_sgpr_count 15
		.amdhsa_user_sgpr_dispatch_ptr 0
		.amdhsa_user_sgpr_queue_ptr 0
		.amdhsa_user_sgpr_kernarg_segment_ptr 1
		.amdhsa_user_sgpr_dispatch_id 0
		.amdhsa_user_sgpr_private_segment_size 0
		.amdhsa_wavefront_size32 1
		.amdhsa_uses_dynamic_stack 0
		.amdhsa_enable_private_segment 0
		.amdhsa_system_sgpr_workgroup_id_x 1
		.amdhsa_system_sgpr_workgroup_id_y 0
		.amdhsa_system_sgpr_workgroup_id_z 0
		.amdhsa_system_sgpr_workgroup_info 0
		.amdhsa_system_vgpr_workitem_id 2
		.amdhsa_next_free_vgpr 38
		.amdhsa_next_free_sgpr 20
		.amdhsa_reserve_vcc 1
		.amdhsa_float_round_mode_32 0
		.amdhsa_float_round_mode_16_64 0
		.amdhsa_float_denorm_mode_32 3
		.amdhsa_float_denorm_mode_16_64 3
		.amdhsa_dx10_clamp 1
		.amdhsa_ieee_mode 1
		.amdhsa_fp16_overflow 0
		.amdhsa_workgroup_processor_mode 1
		.amdhsa_memory_ordered 1
		.amdhsa_forward_progress 0
		.amdhsa_shared_vgpr_count 0
		.amdhsa_exception_fp_ieee_invalid_op 0
		.amdhsa_exception_fp_denorm_src 0
		.amdhsa_exception_fp_ieee_div_zero 0
		.amdhsa_exception_fp_ieee_overflow 0
		.amdhsa_exception_fp_ieee_underflow 0
		.amdhsa_exception_fp_ieee_inexact 0
		.amdhsa_exception_int_div_zero 0
	.end_amdhsa_kernel
	.section	.text._Z17sort_pairs_kernelI22helper_blocked_stripedaLj192ELj3ELj10EEvPKT0_PS1_,"axG",@progbits,_Z17sort_pairs_kernelI22helper_blocked_stripedaLj192ELj3ELj10EEvPKT0_PS1_,comdat
.Lfunc_end259:
	.size	_Z17sort_pairs_kernelI22helper_blocked_stripedaLj192ELj3ELj10EEvPKT0_PS1_, .Lfunc_end259-_Z17sort_pairs_kernelI22helper_blocked_stripedaLj192ELj3ELj10EEvPKT0_PS1_
                                        ; -- End function
	.section	.AMDGPU.csdata,"",@progbits
; Kernel info:
; codeLenInByte = 2624
; NumSgprs: 22
; NumVgprs: 38
; ScratchSize: 0
; MemoryBound: 0
; FloatMode: 240
; IeeeMode: 1
; LDSByteSize: 6176 bytes/workgroup (compile time only)
; SGPRBlocks: 2
; VGPRBlocks: 4
; NumSGPRsForWavesPerEU: 22
; NumVGPRsForWavesPerEU: 38
; Occupancy: 15
; WaveLimiterHint : 1
; COMPUTE_PGM_RSRC2:SCRATCH_EN: 0
; COMPUTE_PGM_RSRC2:USER_SGPR: 15
; COMPUTE_PGM_RSRC2:TRAP_HANDLER: 0
; COMPUTE_PGM_RSRC2:TGID_X_EN: 1
; COMPUTE_PGM_RSRC2:TGID_Y_EN: 0
; COMPUTE_PGM_RSRC2:TGID_Z_EN: 0
; COMPUTE_PGM_RSRC2:TIDIG_COMP_CNT: 2
	.section	.text._Z16sort_keys_kernelI22helper_blocked_stripedaLj192ELj4ELj10EEvPKT0_PS1_,"axG",@progbits,_Z16sort_keys_kernelI22helper_blocked_stripedaLj192ELj4ELj10EEvPKT0_PS1_,comdat
	.protected	_Z16sort_keys_kernelI22helper_blocked_stripedaLj192ELj4ELj10EEvPKT0_PS1_ ; -- Begin function _Z16sort_keys_kernelI22helper_blocked_stripedaLj192ELj4ELj10EEvPKT0_PS1_
	.globl	_Z16sort_keys_kernelI22helper_blocked_stripedaLj192ELj4ELj10EEvPKT0_PS1_
	.p2align	8
	.type	_Z16sort_keys_kernelI22helper_blocked_stripedaLj192ELj4ELj10EEvPKT0_PS1_,@function
_Z16sort_keys_kernelI22helper_blocked_stripedaLj192ELj4ELj10EEvPKT0_PS1_: ; @_Z16sort_keys_kernelI22helper_blocked_stripedaLj192ELj4ELj10EEvPKT0_PS1_
; %bb.0:
	s_clause 0x1
	s_load_b128 s[16:19], s[0:1], 0x0
	s_load_b32 s3, s[0:1], 0x1c
	s_mul_i32 s20, s15, 0x300
	v_mbcnt_lo_u32_b32 v4, -1, 0
	v_bfe_u32 v3, v0, 10, 10
	s_mov_b32 s21, 10
	s_delay_alu instid0(VALU_DEP_2) | instskip(SKIP_1) | instid1(VALU_DEP_2)
	v_add_nc_u32_e32 v5, -1, v4
	v_cmp_eq_u32_e64 s11, 0, v4
	v_cmp_gt_i32_e64 s8, 0, v5
	s_waitcnt lgkmcnt(0)
	s_add_u32 s0, s16, s20
	s_mov_b32 s16, 0
	s_addc_u32 s1, s17, 0
	s_mov_b32 s17, s16
	v_and_b32_e32 v8, 0x3ff, v0
	v_bfe_u32 v0, v0, 20, 10
	s_lshr_b32 s2, s3, 16
	s_mov_b32 s22, s16
	s_mov_b32 s23, s16
	v_lshlrev_b32_e32 v1, 2, v8
	v_dual_mov_b32 v11, s22 :: v_dual_and_b32 v2, 3, v4
	v_mad_u32_u24 v0, v0, s2, v3
	s_and_b32 s3, s3, 0xffff
	global_load_b32 v1, v1, s[0:1]
	v_cmp_eq_u32_e32 vcc_lo, 3, v2
	v_cmp_eq_u32_e64 s0, 2, v2
	v_cmp_eq_u32_e64 s1, 1, v2
	;; [unrolled: 1-line block ×3, first 2 shown]
	v_mad_u64_u32 v[2:3], null, v0, s3, v[8:9]
	v_mov_b32_e32 v9, s16
	v_and_b32_e32 v3, 0xe0, v8
	v_and_b32_e32 v0, 15, v4
	v_dual_mov_b32 v12, s23 :: v_dual_and_b32 v13, 28, v4
	v_lshlrev_b32_e32 v15, 5, v8
	v_lshrrev_b32_e32 v19, 5, v2
	v_min_u32_e32 v2, 0xa0, v3
	v_cmp_eq_u32_e64 s3, 0, v0
	v_cmp_lt_u32_e64 s4, 1, v0
	v_cmp_lt_u32_e64 s5, 3, v0
	v_cmp_lt_u32_e64 s6, 7, v0
	v_or_b32_e32 v2, 31, v2
	v_cndmask_b32_e64 v0, v5, v4, s8
	v_and_b32_e32 v3, 16, v4
	v_or_b32_e32 v14, 32, v13
	v_or_b32_e32 v16, 64, v13
	v_cmp_eq_u32_e64 s8, v2, v8
	v_lshrrev_b32_e32 v2, 3, v8
	v_lshlrev_b32_e32 v20, 2, v0
	v_and_b32_e32 v0, 7, v4
	v_or_b32_e32 v17, 0x60, v13
	v_or_b32_e32 v18, 24, v15
	v_and_b32_e32 v21, 28, v2
	v_mul_u32_u24_e32 v2, 3, v8
	v_cmp_eq_u32_e64 s7, 0, v3
	v_cmp_gt_u32_e64 s9, 6, v8
	v_cmp_lt_u32_e64 s10, 31, v8
	v_cmp_eq_u32_e64 s12, 0, v8
	v_cmp_eq_u32_e64 s13, 0, v0
	v_cmp_lt_u32_e64 s14, 1, v0
	v_cmp_lt_u32_e64 s15, 3, v0
	v_add_nc_u32_e32 v22, -4, v21
	v_dual_mov_b32 v10, s17 :: v_dual_add_nc_u32 v23, v8, v2
	s_branch .LBB260_2
.LBB260_1:                              ;   in Loop: Header=BB260_2 Depth=1
	s_or_b32 exec_lo, exec_lo, s16
	s_waitcnt lgkmcnt(0)
	v_add_nc_u32_e32 v3, v39, v3
	s_add_i32 s21, s21, -1
	s_delay_alu instid0(SALU_CYCLE_1) | instskip(SKIP_3) | instid1(VALU_DEP_1)
	s_cmp_eq_u32 s21, 0
	ds_bpermute_b32 v3, v20, v3
	s_waitcnt lgkmcnt(0)
	v_cndmask_b32_e64 v3, v3, v39, s11
	v_cndmask_b32_e64 v3, v3, 0, s12
	s_delay_alu instid0(VALU_DEP_1) | instskip(NEXT) | instid1(VALU_DEP_1)
	v_add_nc_u32_e32 v4, v3, v4
	v_add_nc_u32_e32 v5, v4, v5
	s_delay_alu instid0(VALU_DEP_1) | instskip(NEXT) | instid1(VALU_DEP_1)
	v_add_nc_u32_e32 v6, v5, v6
	v_add_nc_u32_e32 v39, v6, v7
	;; [unrolled: 3-line block ×3, first 2 shown]
	s_delay_alu instid0(VALU_DEP_1)
	v_add_nc_u32_e32 v1, v0, v2
	ds_store_2addr_b64 v15, v[3:4], v[5:6] offset0:3 offset1:4
	ds_store_2addr_b64 v18, v[39:40], v[0:1] offset0:2 offset1:3
	s_waitcnt lgkmcnt(0)
	s_barrier
	buffer_gl0_inv
	ds_load_b32 v0, v26
	ds_load_b32 v1, v30
	;; [unrolled: 1-line block ×4, first 2 shown]
	s_waitcnt lgkmcnt(0)
	s_barrier
	buffer_gl0_inv
	v_add_nc_u32_e32 v0, v0, v25
	v_add3_u32 v1, v29, v28, v1
	v_add3_u32 v2, v33, v32, v2
	;; [unrolled: 1-line block ×3, first 2 shown]
	ds_store_b8 v0, v24
	ds_store_b8 v1, v27
	;; [unrolled: 1-line block ×4, first 2 shown]
	s_waitcnt lgkmcnt(0)
	s_barrier
	buffer_gl0_inv
	ds_load_u8 v0, v8 offset:192
	ds_load_u8 v1, v8
	ds_load_u8 v2, v8 offset:576
	ds_load_u8 v4, v8 offset:384
	s_waitcnt lgkmcnt(3)
	v_xor_b32_e32 v0, 0xffffff80, v0
	s_waitcnt lgkmcnt(2)
	v_xor_b32_e32 v3, 0xffffff80, v1
	;; [unrolled: 2-line block ×4, first 2 shown]
	v_lshlrev_b16 v1, 8, v0
	v_and_b32_e32 v5, 0xff, v3
	v_lshlrev_b16 v6, 8, v2
	s_delay_alu instid0(VALU_DEP_4) | instskip(NEXT) | instid1(VALU_DEP_3)
	v_and_b32_e32 v7, 0xff, v4
	v_or_b32_e32 v1, v5, v1
	s_delay_alu instid0(VALU_DEP_2) | instskip(NEXT) | instid1(VALU_DEP_2)
	v_or_b32_e32 v5, v7, v6
	v_and_b32_e32 v1, 0xffff, v1
	s_delay_alu instid0(VALU_DEP_2) | instskip(NEXT) | instid1(VALU_DEP_1)
	v_lshlrev_b32_e32 v5, 16, v5
	v_or_b32_e32 v1, v1, v5
	s_cbranch_scc1 .LBB260_16
.LBB260_2:                              ; =>This Inner Loop Header: Depth=1
	s_waitcnt vmcnt(0)
	s_delay_alu instid0(VALU_DEP_1) | instskip(SKIP_3) | instid1(VALU_DEP_4)
	v_lshrrev_b32_e32 v0, 8, v1
	v_xor_b32_e32 v2, 0x80, v1
	v_lshrrev_b32_e32 v3, 16, v1
	v_lshrrev_b32_e32 v1, 24, v1
	v_xor_b32_e32 v0, 0x80, v0
	s_delay_alu instid0(VALU_DEP_4) | instskip(NEXT) | instid1(VALU_DEP_4)
	v_and_b32_e32 v2, 0xff, v2
	v_xor_b32_e32 v3, 0x80, v3
	s_delay_alu instid0(VALU_DEP_4)
	v_xor_b32_e32 v1, 0x80, v1
	s_barrier
	v_and_b32_e32 v0, 0xff, v0
	ds_bpermute_b32 v4, v13, v2
	v_and_b32_e32 v3, 0xff, v3
	v_and_b32_e32 v1, 0xffff, v1
	s_waitcnt lgkmcnt(0)
	buffer_gl0_inv
	ds_bpermute_b32 v5, v13, v0
	ds_store_2addr_b64 v15, v[9:10], v[11:12] offset0:3 offset1:4
	ds_store_2addr_b64 v18, v[9:10], v[11:12] offset0:2 offset1:3
	ds_bpermute_b32 v6, v13, v3
	ds_bpermute_b32 v7, v13, v1
	s_waitcnt lgkmcnt(0)
	s_barrier
	buffer_gl0_inv
	; wave barrier
	v_perm_b32 v5, v5, v4, 0x3020104
	s_delay_alu instid0(VALU_DEP_1) | instskip(SKIP_2) | instid1(VALU_DEP_1)
	v_cndmask_b32_e64 v4, v4, v5, s1
	ds_bpermute_b32 v5, v14, v2
	v_perm_b32 v6, v6, v4, 0x3020104
	v_cndmask_b32_e64 v4, v4, v6, s0
	s_delay_alu instid0(VALU_DEP_1) | instskip(SKIP_4) | instid1(VALU_DEP_2)
	v_perm_b32 v6, v7, v4, 0x3020104
	ds_bpermute_b32 v7, v14, v0
	v_cndmask_b32_e32 v4, v4, v6, vcc_lo
	s_waitcnt lgkmcnt(1)
	v_lshlrev_b16 v5, 8, v5
	v_and_b32_e32 v6, 0xff, v4
	s_delay_alu instid0(VALU_DEP_1) | instskip(NEXT) | instid1(VALU_DEP_1)
	v_or_b32_e32 v5, v6, v5
	v_and_b32_e32 v5, 0xffff, v5
	s_delay_alu instid0(VALU_DEP_1) | instskip(NEXT) | instid1(VALU_DEP_1)
	v_and_or_b32 v5, 0xffff0000, v4, v5
	v_cndmask_b32_e64 v4, v4, v5, s2
	s_waitcnt lgkmcnt(0)
	v_lshlrev_b16 v5, 8, v7
	ds_bpermute_b32 v7, v14, v3
	v_and_b32_e32 v6, 0xff, v4
	s_delay_alu instid0(VALU_DEP_1) | instskip(NEXT) | instid1(VALU_DEP_1)
	v_or_b32_e32 v5, v6, v5
	v_and_b32_e32 v5, 0xffff, v5
	s_delay_alu instid0(VALU_DEP_1) | instskip(NEXT) | instid1(VALU_DEP_1)
	v_and_or_b32 v5, 0xffff0000, v4, v5
	v_cndmask_b32_e64 v4, v4, v5, s1
	s_waitcnt lgkmcnt(0)
	v_lshlrev_b16 v5, 8, v7
	ds_bpermute_b32 v7, v14, v1
	v_and_b32_e32 v6, 0xff, v4
	s_delay_alu instid0(VALU_DEP_1) | instskip(NEXT) | instid1(VALU_DEP_1)
	v_or_b32_e32 v5, v6, v5
	v_and_b32_e32 v5, 0xffff, v5
	s_delay_alu instid0(VALU_DEP_1) | instskip(NEXT) | instid1(VALU_DEP_1)
	v_and_or_b32 v5, 0xffff0000, v4, v5
	v_cndmask_b32_e64 v4, v4, v5, s0
	s_waitcnt lgkmcnt(0)
	v_lshlrev_b16 v5, 8, v7
	s_delay_alu instid0(VALU_DEP_2) | instskip(NEXT) | instid1(VALU_DEP_1)
	v_and_b32_e32 v6, 0xff, v4
	v_or_b32_e32 v5, v6, v5
	ds_bpermute_b32 v6, v16, v2
	ds_bpermute_b32 v2, v17, v2
	v_and_b32_e32 v5, 0xffff, v5
	s_delay_alu instid0(VALU_DEP_1) | instskip(NEXT) | instid1(VALU_DEP_1)
	v_and_or_b32 v5, 0xffff0000, v4, v5
	v_cndmask_b32_e32 v4, v4, v5, vcc_lo
	s_delay_alu instid0(VALU_DEP_1)
	v_lshrrev_b32_e32 v5, 16, v4
	s_waitcnt lgkmcnt(1)
	v_and_b32_e32 v6, 0xff, v6
	s_waitcnt lgkmcnt(0)
	v_lshlrev_b16 v2, 8, v2
	v_and_b32_e32 v5, 0xffffff00, v5
	s_delay_alu instid0(VALU_DEP_1) | instskip(SKIP_3) | instid1(VALU_DEP_1)
	v_or_b32_e32 v5, v6, v5
	ds_bpermute_b32 v6, v16, v0
	ds_bpermute_b32 v0, v17, v0
	v_lshlrev_b32_e32 v5, 16, v5
	v_and_or_b32 v5, 0xffff, v4, v5
	s_delay_alu instid0(VALU_DEP_1) | instskip(NEXT) | instid1(VALU_DEP_1)
	v_cndmask_b32_e64 v4, v4, v5, s2
	v_lshrrev_b32_e32 v5, 16, v4
	s_waitcnt lgkmcnt(1)
	v_and_b32_e32 v6, 0xff, v6
	s_waitcnt lgkmcnt(0)
	v_lshlrev_b16 v0, 8, v0
	v_and_b32_e32 v5, 0xffffff00, v5
	s_delay_alu instid0(VALU_DEP_1) | instskip(SKIP_3) | instid1(VALU_DEP_1)
	v_or_b32_e32 v5, v6, v5
	ds_bpermute_b32 v6, v16, v3
	ds_bpermute_b32 v3, v17, v3
	v_lshlrev_b32_e32 v5, 16, v5
	v_and_or_b32 v5, 0xffff, v4, v5
	s_delay_alu instid0(VALU_DEP_1) | instskip(NEXT) | instid1(VALU_DEP_1)
	v_cndmask_b32_e64 v4, v4, v5, s1
	;; [unrolled: 14-line block ×3, first 2 shown]
	v_lshrrev_b32_e32 v5, 16, v4
	s_waitcnt lgkmcnt(1)
	v_and_b32_e32 v6, 0xff, v6
	s_waitcnt lgkmcnt(0)
	v_lshlrev_b16 v1, 8, v1
	v_and_b32_e32 v5, 0xffffff00, v5
	s_delay_alu instid0(VALU_DEP_1) | instskip(NEXT) | instid1(VALU_DEP_1)
	v_or_b32_e32 v5, v6, v5
	v_lshlrev_b32_e32 v5, 16, v5
	s_delay_alu instid0(VALU_DEP_1) | instskip(NEXT) | instid1(VALU_DEP_1)
	v_and_or_b32 v5, 0xffff, v4, v5
	v_cndmask_b32_e32 v4, v4, v5, vcc_lo
	s_delay_alu instid0(VALU_DEP_1) | instskip(NEXT) | instid1(VALU_DEP_1)
	v_lshrrev_b32_e32 v5, 16, v4
	v_and_b32_e32 v5, 0xff, v5
	s_delay_alu instid0(VALU_DEP_1) | instskip(NEXT) | instid1(VALU_DEP_1)
	v_or_b32_e32 v2, v5, v2
	v_lshlrev_b32_e32 v2, 16, v2
	s_delay_alu instid0(VALU_DEP_1) | instskip(NEXT) | instid1(VALU_DEP_1)
	v_and_or_b32 v2, 0xffff, v4, v2
	v_cndmask_b32_e64 v2, v4, v2, s2
	s_delay_alu instid0(VALU_DEP_1) | instskip(NEXT) | instid1(VALU_DEP_1)
	v_lshrrev_b32_e32 v4, 16, v2
	v_and_b32_e32 v4, 0xff, v4
	s_delay_alu instid0(VALU_DEP_1) | instskip(NEXT) | instid1(VALU_DEP_1)
	v_or_b32_e32 v0, v4, v0
	v_lshlrev_b32_e32 v0, 16, v0
	s_delay_alu instid0(VALU_DEP_1) | instskip(NEXT) | instid1(VALU_DEP_1)
	v_and_or_b32 v0, 0xffff, v2, v0
	v_cndmask_b32_e64 v0, v2, v0, s1
	;; [unrolled: 9-line block ×3, first 2 shown]
	s_delay_alu instid0(VALU_DEP_1) | instskip(NEXT) | instid1(VALU_DEP_1)
	v_lshrrev_b32_e32 v2, 16, v0
	v_and_b32_e32 v2, 0xff, v2
	s_delay_alu instid0(VALU_DEP_1) | instskip(NEXT) | instid1(VALU_DEP_1)
	v_or_b32_e32 v1, v2, v1
	v_lshlrev_b32_e32 v1, 16, v1
	s_delay_alu instid0(VALU_DEP_1) | instskip(NEXT) | instid1(VALU_DEP_1)
	v_and_or_b32 v1, 0xffff, v0, v1
	v_cndmask_b32_e32 v24, v0, v1, vcc_lo
	s_delay_alu instid0(VALU_DEP_1)
	v_lshlrev_b32_e32 v3, 28, v24
	v_and_b32_e32 v0, 1, v24
	v_lshlrev_b32_e32 v1, 30, v24
	v_lshlrev_b32_e32 v2, 29, v24
	v_lshlrev_b32_e32 v5, 27, v24
	v_lshlrev_b32_e32 v6, 26, v24
	v_add_co_u32 v0, s16, v0, -1
	s_delay_alu instid0(VALU_DEP_1)
	v_cndmask_b32_e64 v4, 0, 1, s16
	v_not_b32_e32 v25, v1
	v_cmp_gt_i32_e64 s17, 0, v1
	v_not_b32_e32 v1, v2
	v_lshlrev_b32_e32 v7, 25, v24
	v_cmp_ne_u32_e64 s16, 0, v4
	v_ashrrev_i32_e32 v25, 31, v25
	v_lshlrev_b32_e32 v4, 24, v24
	v_ashrrev_i32_e32 v1, 31, v1
	s_delay_alu instid0(VALU_DEP_4)
	v_xor_b32_e32 v0, s16, v0
	v_cmp_gt_i32_e64 s16, 0, v2
	v_not_b32_e32 v2, v3
	v_xor_b32_e32 v25, s17, v25
	v_cmp_gt_i32_e64 s17, 0, v3
	v_and_b32_e32 v0, exec_lo, v0
	v_not_b32_e32 v3, v5
	v_ashrrev_i32_e32 v2, 31, v2
	v_xor_b32_e32 v1, s16, v1
	v_cmp_gt_i32_e64 s16, 0, v5
	v_and_b32_e32 v0, v0, v25
	v_not_b32_e32 v5, v6
	v_ashrrev_i32_e32 v3, 31, v3
	v_xor_b32_e32 v2, s17, v2
	v_cmp_gt_i32_e64 s17, 0, v6
	v_and_b32_e32 v0, v0, v1
	;; [unrolled: 5-line block ×4, first 2 shown]
	v_ashrrev_i32_e32 v2, 31, v2
	v_xor_b32_e32 v1, s16, v1
	s_delay_alu instid0(VALU_DEP_3) | instskip(NEXT) | instid1(VALU_DEP_3)
	v_and_b32_e32 v0, v0, v5
	v_xor_b32_e32 v2, s17, v2
	s_delay_alu instid0(VALU_DEP_2) | instskip(SKIP_1) | instid1(VALU_DEP_2)
	v_and_b32_e32 v0, v0, v1
	v_and_b32_e32 v1, 0xff, v24
	v_and_b32_e32 v0, v0, v2
	s_delay_alu instid0(VALU_DEP_2) | instskip(NEXT) | instid1(VALU_DEP_2)
	v_mad_u32_u24 v1, v1, 6, v19
	v_mbcnt_lo_u32_b32 v25, v0, 0
	v_cmp_ne_u32_e64 s17, 0, v0
	s_delay_alu instid0(VALU_DEP_3) | instskip(NEXT) | instid1(VALU_DEP_3)
	v_lshl_add_u32 v26, v1, 2, 24
	v_cmp_eq_u32_e64 s16, 0, v25
	s_delay_alu instid0(VALU_DEP_1) | instskip(NEXT) | instid1(SALU_CYCLE_1)
	s_and_b32 s17, s16, s17
	s_and_saveexec_b32 s16, s17
	s_cbranch_execz .LBB260_4
; %bb.3:                                ;   in Loop: Header=BB260_2 Depth=1
	v_bcnt_u32_b32 v0, v0, 0
	ds_store_b32 v26, v0
.LBB260_4:                              ;   in Loop: Header=BB260_2 Depth=1
	s_or_b32 exec_lo, exec_lo, s16
	v_bfe_u32 v0, v24, 8, 1
	v_lshrrev_b32_e32 v27, 8, v24
	; wave barrier
	s_delay_alu instid0(VALU_DEP_2) | instskip(NEXT) | instid1(VALU_DEP_1)
	v_add_co_u32 v0, s16, v0, -1
	v_cndmask_b32_e64 v1, 0, 1, s16
	s_delay_alu instid0(VALU_DEP_3)
	v_lshlrev_b32_e32 v2, 30, v27
	v_lshlrev_b32_e32 v3, 29, v27
	;; [unrolled: 1-line block ×4, first 2 shown]
	v_cmp_ne_u32_e64 s16, 0, v1
	v_not_b32_e32 v1, v2
	v_cmp_gt_i32_e64 s17, 0, v2
	v_not_b32_e32 v2, v3
	v_lshlrev_b32_e32 v6, 26, v27
	v_xor_b32_e32 v0, s16, v0
	v_ashrrev_i32_e32 v1, 31, v1
	v_cmp_gt_i32_e64 s16, 0, v3
	v_not_b32_e32 v3, v4
	v_ashrrev_i32_e32 v2, 31, v2
	v_and_b32_e32 v0, exec_lo, v0
	v_xor_b32_e32 v1, s17, v1
	v_cmp_gt_i32_e64 s17, 0, v4
	v_not_b32_e32 v4, v5
	v_ashrrev_i32_e32 v3, 31, v3
	v_xor_b32_e32 v2, s16, v2
	v_and_b32_e32 v0, v0, v1
	v_cmp_gt_i32_e64 s16, 0, v5
	v_not_b32_e32 v1, v6
	v_ashrrev_i32_e32 v4, 31, v4
	v_xor_b32_e32 v3, s17, v3
	v_and_b32_e32 v0, v0, v2
	v_lshlrev_b32_e32 v2, 25, v27
	v_cmp_gt_i32_e64 s17, 0, v6
	v_ashrrev_i32_e32 v1, 31, v1
	v_xor_b32_e32 v4, s16, v4
	v_and_b32_e32 v0, v0, v3
	v_not_b32_e32 v5, v2
	v_lshlrev_b32_e32 v6, 24, v27
	v_bfe_u32 v3, v24, 8, 8
	v_xor_b32_e32 v1, s17, v1
	v_and_b32_e32 v0, v0, v4
	v_cmp_gt_i32_e64 s16, 0, v2
	v_ashrrev_i32_e32 v2, 31, v5
	v_not_b32_e32 v4, v6
	v_mul_u32_u24_e32 v3, 6, v3
	v_and_b32_e32 v0, v0, v1
	s_delay_alu instid0(VALU_DEP_4) | instskip(SKIP_3) | instid1(VALU_DEP_4)
	v_xor_b32_e32 v1, s16, v2
	v_cmp_gt_i32_e64 s16, 0, v6
	v_ashrrev_i32_e32 v2, 31, v4
	v_add_lshl_u32 v3, v3, v19, 2
	v_and_b32_e32 v0, v0, v1
	s_delay_alu instid0(VALU_DEP_3) | instskip(SKIP_3) | instid1(VALU_DEP_1)
	v_xor_b32_e32 v1, s16, v2
	ds_load_b32 v28, v3 offset:24
	v_add_nc_u32_e32 v30, 24, v3
	; wave barrier
	v_and_b32_e32 v0, v0, v1
	v_mbcnt_lo_u32_b32 v29, v0, 0
	v_cmp_ne_u32_e64 s17, 0, v0
	s_delay_alu instid0(VALU_DEP_2) | instskip(NEXT) | instid1(VALU_DEP_1)
	v_cmp_eq_u32_e64 s16, 0, v29
	s_and_b32 s17, s17, s16
	s_delay_alu instid0(SALU_CYCLE_1)
	s_and_saveexec_b32 s16, s17
	s_cbranch_execz .LBB260_6
; %bb.5:                                ;   in Loop: Header=BB260_2 Depth=1
	s_waitcnt lgkmcnt(0)
	v_bcnt_u32_b32 v0, v0, v28
	ds_store_b32 v30, v0
.LBB260_6:                              ;   in Loop: Header=BB260_2 Depth=1
	s_or_b32 exec_lo, exec_lo, s16
	v_bfe_u32 v0, v24, 16, 1
	v_lshrrev_b32_e32 v31, 16, v24
	; wave barrier
	s_delay_alu instid0(VALU_DEP_2) | instskip(NEXT) | instid1(VALU_DEP_1)
	v_add_co_u32 v0, s16, v0, -1
	v_cndmask_b32_e64 v1, 0, 1, s16
	s_delay_alu instid0(VALU_DEP_3)
	v_lshlrev_b32_e32 v2, 30, v31
	v_lshlrev_b32_e32 v3, 29, v31
	;; [unrolled: 1-line block ×4, first 2 shown]
	v_cmp_ne_u32_e64 s16, 0, v1
	v_not_b32_e32 v1, v2
	v_cmp_gt_i32_e64 s17, 0, v2
	v_not_b32_e32 v2, v3
	v_lshlrev_b32_e32 v6, 26, v31
	v_xor_b32_e32 v0, s16, v0
	v_ashrrev_i32_e32 v1, 31, v1
	v_cmp_gt_i32_e64 s16, 0, v3
	v_not_b32_e32 v3, v4
	v_ashrrev_i32_e32 v2, 31, v2
	v_and_b32_e32 v0, exec_lo, v0
	v_xor_b32_e32 v1, s17, v1
	v_cmp_gt_i32_e64 s17, 0, v4
	v_not_b32_e32 v4, v5
	v_ashrrev_i32_e32 v3, 31, v3
	v_xor_b32_e32 v2, s16, v2
	v_and_b32_e32 v0, v0, v1
	v_cmp_gt_i32_e64 s16, 0, v5
	v_not_b32_e32 v1, v6
	v_ashrrev_i32_e32 v4, 31, v4
	v_xor_b32_e32 v3, s17, v3
	v_and_b32_e32 v0, v0, v2
	v_lshlrev_b32_e32 v2, 25, v31
	v_cmp_gt_i32_e64 s17, 0, v6
	v_ashrrev_i32_e32 v1, 31, v1
	v_xor_b32_e32 v4, s16, v4
	v_and_b32_e32 v0, v0, v3
	v_not_b32_e32 v5, v2
	v_lshlrev_b32_e32 v6, 24, v31
	v_bfe_u32 v3, v24, 16, 8
	v_xor_b32_e32 v1, s17, v1
	v_and_b32_e32 v0, v0, v4
	v_cmp_gt_i32_e64 s16, 0, v2
	v_ashrrev_i32_e32 v2, 31, v5
	v_not_b32_e32 v4, v6
	v_mul_u32_u24_e32 v3, 6, v3
	v_and_b32_e32 v0, v0, v1
	s_delay_alu instid0(VALU_DEP_4) | instskip(SKIP_3) | instid1(VALU_DEP_4)
	v_xor_b32_e32 v1, s16, v2
	v_cmp_gt_i32_e64 s16, 0, v6
	v_ashrrev_i32_e32 v2, 31, v4
	v_add_lshl_u32 v3, v3, v19, 2
	v_and_b32_e32 v0, v0, v1
	s_delay_alu instid0(VALU_DEP_3) | instskip(SKIP_3) | instid1(VALU_DEP_1)
	v_xor_b32_e32 v1, s16, v2
	ds_load_b32 v32, v3 offset:24
	v_add_nc_u32_e32 v34, 24, v3
	; wave barrier
	v_and_b32_e32 v0, v0, v1
	v_mbcnt_lo_u32_b32 v33, v0, 0
	v_cmp_ne_u32_e64 s17, 0, v0
	s_delay_alu instid0(VALU_DEP_2) | instskip(NEXT) | instid1(VALU_DEP_1)
	v_cmp_eq_u32_e64 s16, 0, v33
	s_and_b32 s17, s17, s16
	s_delay_alu instid0(SALU_CYCLE_1)
	s_and_saveexec_b32 s16, s17
	s_cbranch_execz .LBB260_8
; %bb.7:                                ;   in Loop: Header=BB260_2 Depth=1
	s_waitcnt lgkmcnt(0)
	v_bcnt_u32_b32 v0, v0, v32
	ds_store_b32 v34, v0
.LBB260_8:                              ;   in Loop: Header=BB260_2 Depth=1
	s_or_b32 exec_lo, exec_lo, s16
	v_bfe_u32 v0, v24, 24, 1
	v_lshrrev_b32_e32 v35, 24, v24
	; wave barrier
	s_delay_alu instid0(VALU_DEP_2) | instskip(NEXT) | instid1(VALU_DEP_1)
	v_add_co_u32 v0, s16, v0, -1
	v_cndmask_b32_e64 v1, 0, 1, s16
	s_delay_alu instid0(VALU_DEP_3)
	v_lshlrev_b32_e32 v2, 30, v35
	v_lshlrev_b32_e32 v3, 29, v35
	;; [unrolled: 1-line block ×4, first 2 shown]
	v_cmp_ne_u32_e64 s16, 0, v1
	v_not_b32_e32 v1, v2
	v_cmp_gt_i32_e64 s17, 0, v2
	v_not_b32_e32 v2, v3
	v_lshlrev_b32_e32 v6, 26, v35
	v_xor_b32_e32 v0, s16, v0
	v_ashrrev_i32_e32 v1, 31, v1
	v_cmp_gt_i32_e64 s16, 0, v3
	v_not_b32_e32 v3, v4
	v_ashrrev_i32_e32 v2, 31, v2
	v_and_b32_e32 v0, exec_lo, v0
	v_xor_b32_e32 v1, s17, v1
	v_cmp_gt_i32_e64 s17, 0, v4
	v_not_b32_e32 v4, v5
	v_ashrrev_i32_e32 v3, 31, v3
	v_xor_b32_e32 v2, s16, v2
	v_and_b32_e32 v0, v0, v1
	v_lshlrev_b32_e32 v1, 25, v35
	v_cmp_gt_i32_e64 s16, 0, v5
	v_ashrrev_i32_e32 v4, 31, v4
	v_xor_b32_e32 v3, s17, v3
	v_and_b32_e32 v0, v0, v2
	v_not_b32_e32 v5, v6
	v_not_b32_e32 v7, v1
	v_xor_b32_e32 v4, s16, v4
	v_cmp_gt_i32_e64 s16, 0, v6
	v_and_b32_e32 v0, v0, v3
	v_ashrrev_i32_e32 v3, 31, v5
	v_and_b32_e32 v2, 0xff000000, v24
	v_cmp_gt_i32_e64 s17, 0, v1
	v_ashrrev_i32_e32 v1, 31, v7
	v_and_b32_e32 v0, v0, v4
	v_not_b32_e32 v4, v24
	v_xor_b32_e32 v3, s16, v3
	v_mul_u32_u24_e32 v5, 6, v35
	v_xor_b32_e32 v1, s17, v1
	v_cmp_gt_i32_e64 s16, 0, v2
	v_ashrrev_i32_e32 v2, 31, v4
	v_and_b32_e32 v0, v0, v3
	v_add_lshl_u32 v3, v5, v19, 2
	s_delay_alu instid0(VALU_DEP_3) | instskip(NEXT) | instid1(VALU_DEP_3)
	v_xor_b32_e32 v2, s16, v2
	v_and_b32_e32 v0, v0, v1
	ds_load_b32 v36, v3 offset:24
	v_add_nc_u32_e32 v38, 24, v3
	; wave barrier
	v_and_b32_e32 v0, v0, v2
	s_delay_alu instid0(VALU_DEP_1) | instskip(SKIP_1) | instid1(VALU_DEP_2)
	v_mbcnt_lo_u32_b32 v37, v0, 0
	v_cmp_ne_u32_e64 s17, 0, v0
	v_cmp_eq_u32_e64 s16, 0, v37
	s_delay_alu instid0(VALU_DEP_1) | instskip(NEXT) | instid1(SALU_CYCLE_1)
	s_and_b32 s17, s17, s16
	s_and_saveexec_b32 s16, s17
	s_cbranch_execz .LBB260_10
; %bb.9:                                ;   in Loop: Header=BB260_2 Depth=1
	s_waitcnt lgkmcnt(0)
	v_bcnt_u32_b32 v0, v0, v36
	ds_store_b32 v38, v0
.LBB260_10:                             ;   in Loop: Header=BB260_2 Depth=1
	s_or_b32 exec_lo, exec_lo, s16
	; wave barrier
	s_waitcnt lgkmcnt(0)
	s_barrier
	buffer_gl0_inv
	ds_load_2addr_b64 v[4:7], v15 offset0:3 offset1:4
	ds_load_2addr_b64 v[0:3], v18 offset0:2 offset1:3
	s_waitcnt lgkmcnt(1)
	v_add_nc_u32_e32 v39, v5, v4
	s_delay_alu instid0(VALU_DEP_1) | instskip(SKIP_1) | instid1(VALU_DEP_1)
	v_add3_u32 v39, v39, v6, v7
	s_waitcnt lgkmcnt(0)
	v_add3_u32 v39, v39, v0, v1
	s_delay_alu instid0(VALU_DEP_1) | instskip(NEXT) | instid1(VALU_DEP_1)
	v_add3_u32 v3, v39, v2, v3
	v_mov_b32_dpp v39, v3 row_shr:1 row_mask:0xf bank_mask:0xf
	s_delay_alu instid0(VALU_DEP_1) | instskip(NEXT) | instid1(VALU_DEP_1)
	v_cndmask_b32_e64 v39, v39, 0, s3
	v_add_nc_u32_e32 v3, v39, v3
	s_delay_alu instid0(VALU_DEP_1) | instskip(NEXT) | instid1(VALU_DEP_1)
	v_mov_b32_dpp v39, v3 row_shr:2 row_mask:0xf bank_mask:0xf
	v_cndmask_b32_e64 v39, 0, v39, s4
	s_delay_alu instid0(VALU_DEP_1) | instskip(NEXT) | instid1(VALU_DEP_1)
	v_add_nc_u32_e32 v3, v3, v39
	v_mov_b32_dpp v39, v3 row_shr:4 row_mask:0xf bank_mask:0xf
	s_delay_alu instid0(VALU_DEP_1) | instskip(NEXT) | instid1(VALU_DEP_1)
	v_cndmask_b32_e64 v39, 0, v39, s5
	v_add_nc_u32_e32 v3, v3, v39
	s_delay_alu instid0(VALU_DEP_1) | instskip(NEXT) | instid1(VALU_DEP_1)
	v_mov_b32_dpp v39, v3 row_shr:8 row_mask:0xf bank_mask:0xf
	v_cndmask_b32_e64 v39, 0, v39, s6
	s_delay_alu instid0(VALU_DEP_1) | instskip(SKIP_3) | instid1(VALU_DEP_1)
	v_add_nc_u32_e32 v3, v3, v39
	ds_swizzle_b32 v39, v3 offset:swizzle(BROADCAST,32,15)
	s_waitcnt lgkmcnt(0)
	v_cndmask_b32_e64 v39, v39, 0, s7
	v_add_nc_u32_e32 v3, v3, v39
	s_and_saveexec_b32 s16, s8
	s_cbranch_execz .LBB260_12
; %bb.11:                               ;   in Loop: Header=BB260_2 Depth=1
	ds_store_b32 v21, v3
.LBB260_12:                             ;   in Loop: Header=BB260_2 Depth=1
	s_or_b32 exec_lo, exec_lo, s16
	s_waitcnt lgkmcnt(0)
	s_barrier
	buffer_gl0_inv
	s_and_saveexec_b32 s16, s9
	s_cbranch_execz .LBB260_14
; %bb.13:                               ;   in Loop: Header=BB260_2 Depth=1
	ds_load_b32 v39, v23
	s_waitcnt lgkmcnt(0)
	v_mov_b32_dpp v40, v39 row_shr:1 row_mask:0xf bank_mask:0xf
	s_delay_alu instid0(VALU_DEP_1) | instskip(NEXT) | instid1(VALU_DEP_1)
	v_cndmask_b32_e64 v40, v40, 0, s13
	v_add_nc_u32_e32 v39, v40, v39
	s_delay_alu instid0(VALU_DEP_1) | instskip(NEXT) | instid1(VALU_DEP_1)
	v_mov_b32_dpp v40, v39 row_shr:2 row_mask:0xf bank_mask:0xf
	v_cndmask_b32_e64 v40, 0, v40, s14
	s_delay_alu instid0(VALU_DEP_1) | instskip(NEXT) | instid1(VALU_DEP_1)
	v_add_nc_u32_e32 v39, v39, v40
	v_mov_b32_dpp v40, v39 row_shr:4 row_mask:0xf bank_mask:0xf
	s_delay_alu instid0(VALU_DEP_1) | instskip(NEXT) | instid1(VALU_DEP_1)
	v_cndmask_b32_e64 v40, 0, v40, s15
	v_add_nc_u32_e32 v39, v39, v40
	ds_store_b32 v23, v39
.LBB260_14:                             ;   in Loop: Header=BB260_2 Depth=1
	s_or_b32 exec_lo, exec_lo, s16
	v_mov_b32_e32 v39, 0
	s_waitcnt lgkmcnt(0)
	s_barrier
	buffer_gl0_inv
	s_and_saveexec_b32 s16, s10
	s_cbranch_execz .LBB260_1
; %bb.15:                               ;   in Loop: Header=BB260_2 Depth=1
	ds_load_b32 v39, v22
	s_branch .LBB260_1
.LBB260_16:
	s_add_u32 s0, s18, s20
	s_addc_u32 s1, s19, 0
	s_clause 0x3
	global_store_b8 v8, v3, s[0:1]
	global_store_b8 v8, v0, s[0:1] offset:192
	global_store_b8 v8, v4, s[0:1] offset:384
	;; [unrolled: 1-line block ×3, first 2 shown]
	s_nop 0
	s_sendmsg sendmsg(MSG_DEALLOC_VGPRS)
	s_endpgm
	.section	.rodata,"a",@progbits
	.p2align	6, 0x0
	.amdhsa_kernel _Z16sort_keys_kernelI22helper_blocked_stripedaLj192ELj4ELj10EEvPKT0_PS1_
		.amdhsa_group_segment_fixed_size 6176
		.amdhsa_private_segment_fixed_size 0
		.amdhsa_kernarg_size 272
		.amdhsa_user_sgpr_count 15
		.amdhsa_user_sgpr_dispatch_ptr 0
		.amdhsa_user_sgpr_queue_ptr 0
		.amdhsa_user_sgpr_kernarg_segment_ptr 1
		.amdhsa_user_sgpr_dispatch_id 0
		.amdhsa_user_sgpr_private_segment_size 0
		.amdhsa_wavefront_size32 1
		.amdhsa_uses_dynamic_stack 0
		.amdhsa_enable_private_segment 0
		.amdhsa_system_sgpr_workgroup_id_x 1
		.amdhsa_system_sgpr_workgroup_id_y 0
		.amdhsa_system_sgpr_workgroup_id_z 0
		.amdhsa_system_sgpr_workgroup_info 0
		.amdhsa_system_vgpr_workitem_id 2
		.amdhsa_next_free_vgpr 41
		.amdhsa_next_free_sgpr 24
		.amdhsa_reserve_vcc 1
		.amdhsa_float_round_mode_32 0
		.amdhsa_float_round_mode_16_64 0
		.amdhsa_float_denorm_mode_32 3
		.amdhsa_float_denorm_mode_16_64 3
		.amdhsa_dx10_clamp 1
		.amdhsa_ieee_mode 1
		.amdhsa_fp16_overflow 0
		.amdhsa_workgroup_processor_mode 1
		.amdhsa_memory_ordered 1
		.amdhsa_forward_progress 0
		.amdhsa_shared_vgpr_count 0
		.amdhsa_exception_fp_ieee_invalid_op 0
		.amdhsa_exception_fp_denorm_src 0
		.amdhsa_exception_fp_ieee_div_zero 0
		.amdhsa_exception_fp_ieee_overflow 0
		.amdhsa_exception_fp_ieee_underflow 0
		.amdhsa_exception_fp_ieee_inexact 0
		.amdhsa_exception_int_div_zero 0
	.end_amdhsa_kernel
	.section	.text._Z16sort_keys_kernelI22helper_blocked_stripedaLj192ELj4ELj10EEvPKT0_PS1_,"axG",@progbits,_Z16sort_keys_kernelI22helper_blocked_stripedaLj192ELj4ELj10EEvPKT0_PS1_,comdat
.Lfunc_end260:
	.size	_Z16sort_keys_kernelI22helper_blocked_stripedaLj192ELj4ELj10EEvPKT0_PS1_, .Lfunc_end260-_Z16sort_keys_kernelI22helper_blocked_stripedaLj192ELj4ELj10EEvPKT0_PS1_
                                        ; -- End function
	.section	.AMDGPU.csdata,"",@progbits
; Kernel info:
; codeLenInByte = 3712
; NumSgprs: 26
; NumVgprs: 41
; ScratchSize: 0
; MemoryBound: 0
; FloatMode: 240
; IeeeMode: 1
; LDSByteSize: 6176 bytes/workgroup (compile time only)
; SGPRBlocks: 3
; VGPRBlocks: 5
; NumSGPRsForWavesPerEU: 26
; NumVGPRsForWavesPerEU: 41
; Occupancy: 15
; WaveLimiterHint : 1
; COMPUTE_PGM_RSRC2:SCRATCH_EN: 0
; COMPUTE_PGM_RSRC2:USER_SGPR: 15
; COMPUTE_PGM_RSRC2:TRAP_HANDLER: 0
; COMPUTE_PGM_RSRC2:TGID_X_EN: 1
; COMPUTE_PGM_RSRC2:TGID_Y_EN: 0
; COMPUTE_PGM_RSRC2:TGID_Z_EN: 0
; COMPUTE_PGM_RSRC2:TIDIG_COMP_CNT: 2
	.section	.text._Z17sort_pairs_kernelI22helper_blocked_stripedaLj192ELj4ELj10EEvPKT0_PS1_,"axG",@progbits,_Z17sort_pairs_kernelI22helper_blocked_stripedaLj192ELj4ELj10EEvPKT0_PS1_,comdat
	.protected	_Z17sort_pairs_kernelI22helper_blocked_stripedaLj192ELj4ELj10EEvPKT0_PS1_ ; -- Begin function _Z17sort_pairs_kernelI22helper_blocked_stripedaLj192ELj4ELj10EEvPKT0_PS1_
	.globl	_Z17sort_pairs_kernelI22helper_blocked_stripedaLj192ELj4ELj10EEvPKT0_PS1_
	.p2align	8
	.type	_Z17sort_pairs_kernelI22helper_blocked_stripedaLj192ELj4ELj10EEvPKT0_PS1_,@function
_Z17sort_pairs_kernelI22helper_blocked_stripedaLj192ELj4ELj10EEvPKT0_PS1_: ; @_Z17sort_pairs_kernelI22helper_blocked_stripedaLj192ELj4ELj10EEvPKT0_PS1_
; %bb.0:
	s_load_b128 s[16:19], s[0:1], 0x0
	v_and_b32_e32 v8, 0x3ff, v0
	s_mul_i32 s20, s15, 0x300
	s_load_b32 s15, s[0:1], 0x1c
	v_mbcnt_lo_u32_b32 v2, -1, 0
	v_bfe_u32 v4, v0, 10, 10
	v_lshlrev_b32_e32 v1, 2, v8
	v_bfe_u32 v0, v0, 20, 10
	s_mov_b32 s21, 10
	v_add_nc_u32_e32 v7, -1, v2
	v_and_b32_e32 v5, 15, v2
	v_and_b32_e32 v3, 3, v2
	v_and_b32_e32 v13, 28, v2
	v_and_b32_e32 v6, 16, v2
	v_cmp_gt_i32_e64 s11, 0, v7
	v_cmp_eq_u32_e32 vcc_lo, 0, v2
	v_and_b32_e32 v18, 7, v2
	v_cmp_eq_u32_e64 s4, 0, v5
	v_cmp_lt_u32_e64 s5, 1, v5
	v_cmp_lt_u32_e64 s6, 3, v5
	s_waitcnt lgkmcnt(0)
	s_add_u32 s0, s16, s20
	s_addc_u32 s1, s17, 0
	v_cmp_lt_u32_e64 s7, 7, v5
	global_load_b32 v1, v1, s[0:1]
	v_cndmask_b32_e64 v5, v7, v2, s11
	s_mov_b32 s0, 0
	s_lshr_b32 s16, s15, 16
	s_mov_b32 s1, s0
	s_mov_b32 s2, s0
	v_mov_b32_e32 v10, s1
	s_mov_b32 s3, s0
	s_delay_alu instid0(SALU_CYCLE_1)
	v_dual_mov_b32 v9, s0 :: v_dual_mov_b32 v12, s3
	v_mov_b32_e32 v11, s2
	v_cmp_eq_u32_e64 s0, 3, v3
	v_cmp_eq_u32_e64 s1, 2, v3
	;; [unrolled: 1-line block ×4, first 2 shown]
	v_and_b32_e32 v3, 0xe0, v8
	v_mad_u32_u24 v0, v0, s16, v4
	v_cmp_eq_u32_e64 s8, 0, v6
	v_lshrrev_b32_e32 v6, 3, v8
	s_and_b32 s15, s15, 0xffff
	v_lshlrev_b32_e32 v17, 5, v8
	v_mul_u32_u24_e32 v7, 3, v8
	v_or_b32_e32 v14, 32, v13
	v_or_b32_e32 v15, 64, v13
	;; [unrolled: 1-line block ×3, first 2 shown]
	v_cmp_gt_u32_e64 s9, 6, v8
	v_cmp_lt_u32_e64 s10, 31, v8
	v_cmp_eq_u32_e64 s11, 0, v8
	v_cmp_eq_u32_e64 s12, 0, v18
	v_cmp_lt_u32_e64 s13, 1, v18
	v_cmp_lt_u32_e64 s14, 3, v18
	v_or_b32_e32 v18, 24, v17
	v_add_nc_u32_e32 v23, v8, v7
	s_waitcnt vmcnt(0)
	v_lshrrev_b32_e32 v2, 16, v1
	v_lshrrev_b32_e32 v19, 8, v1
	;; [unrolled: 1-line block ×3, first 2 shown]
	v_add_nc_u16 v21, v1, 1
	s_delay_alu instid0(VALU_DEP_4) | instskip(NEXT) | instid1(VALU_DEP_4)
	v_add_nc_u16 v2, v2, 1
	v_lshlrev_b16 v19, 8, v19
	s_delay_alu instid0(VALU_DEP_4) | instskip(NEXT) | instid1(VALU_DEP_4)
	v_lshlrev_b16 v20, 8, v20
	v_and_b32_e32 v21, 0xff, v21
	s_delay_alu instid0(VALU_DEP_4) | instskip(NEXT) | instid1(VALU_DEP_2)
	v_and_b32_e32 v2, 0xff, v2
	v_or_b32_e32 v19, v19, v21
	s_delay_alu instid0(VALU_DEP_2) | instskip(SKIP_1) | instid1(VALU_DEP_3)
	v_or_b32_e32 v2, v20, v2
	v_min_u32_e32 v20, 0xa0, v3
	v_add_nc_u16 v4, v19, 0x100
	v_and_b32_e32 v19, 28, v6
	s_delay_alu instid0(VALU_DEP_4) | instskip(SKIP_3) | instid1(VALU_DEP_4)
	v_add_nc_u16 v21, v2, 0x100
	v_mad_u64_u32 v[2:3], null, v0, s15, v[8:9]
	v_or_b32_e32 v0, 31, v20
	v_and_b32_e32 v3, 0xffff, v4
	v_lshlrev_b32_e32 v4, 16, v21
	v_lshlrev_b32_e32 v20, 2, v5
	v_add_nc_u32_e32 v21, -4, v19
	v_cmp_eq_u32_e64 s15, v0, v8
	v_lshrrev_b32_e32 v22, 5, v2
	v_or_b32_e32 v0, v3, v4
	s_branch .LBB261_2
.LBB261_1:                              ;   in Loop: Header=BB261_2 Depth=1
	s_or_b32 exec_lo, exec_lo, s16
	v_perm_b32 v35, v35, v30, 0x3020104
	s_waitcnt lgkmcnt(0)
	v_add_nc_u32_e32 v3, v55, v3
	v_and_b32_e32 v25, 0xff, v25
	s_add_i32 s21, s21, -1
	s_delay_alu instid0(SALU_CYCLE_1) | instskip(SKIP_3) | instid1(VALU_DEP_1)
	s_cmp_eq_u32 s21, 0
	v_cndmask_b32_e64 v30, v30, v35, s2
	ds_bpermute_b32 v3, v20, v3
	v_perm_b32 v34, v34, v30, 0x3020104
	v_cndmask_b32_e64 v30, v30, v34, s1
	s_delay_alu instid0(VALU_DEP_1) | instskip(NEXT) | instid1(VALU_DEP_1)
	v_perm_b32 v33, v33, v30, 0x3020104
	v_cndmask_b32_e64 v30, v30, v33, s0
	s_waitcnt lgkmcnt(0)
	v_cndmask_b32_e32 v3, v3, v55, vcc_lo
	s_delay_alu instid0(VALU_DEP_2) | instskip(NEXT) | instid1(VALU_DEP_2)
	v_perm_b32 v31, v30, v31, 0x7060004
	v_cndmask_b32_e64 v3, v3, 0, s11
	s_delay_alu instid0(VALU_DEP_2) | instskip(NEXT) | instid1(VALU_DEP_2)
	v_cndmask_b32_e64 v30, v30, v31, s3
	v_add_nc_u32_e32 v4, v3, v4
	s_delay_alu instid0(VALU_DEP_2) | instskip(NEXT) | instid1(VALU_DEP_2)
	v_perm_b32 v31, v30, v32, 0x7060004
	v_add_nc_u32_e32 v5, v4, v5
	s_delay_alu instid0(VALU_DEP_2) | instskip(NEXT) | instid1(VALU_DEP_2)
	v_cndmask_b32_e64 v30, v30, v31, s2
	v_add_nc_u32_e32 v6, v5, v6
	s_delay_alu instid0(VALU_DEP_2) | instskip(NEXT) | instid1(VALU_DEP_1)
	v_perm_b32 v28, v30, v28, 0x7060004
	v_cndmask_b32_e64 v28, v30, v28, s1
	v_lshlrev_b16 v30, 8, v37
	s_delay_alu instid0(VALU_DEP_2) | instskip(NEXT) | instid1(VALU_DEP_1)
	v_perm_b32 v27, v28, v27, 0x7060004
	v_cndmask_b32_e64 v27, v28, v27, s0
	s_delay_alu instid0(VALU_DEP_1) | instskip(NEXT) | instid1(VALU_DEP_1)
	v_lshrrev_b32_e32 v28, 16, v27
	v_and_b32_e32 v28, 0xffffff00, v28
	s_delay_alu instid0(VALU_DEP_1) | instskip(SKIP_1) | instid1(VALU_DEP_2)
	v_or_b32_e32 v25, v25, v28
	v_and_b32_e32 v28, 0xff, v43
	v_lshlrev_b32_e32 v25, 16, v25
	s_delay_alu instid0(VALU_DEP_1) | instskip(NEXT) | instid1(VALU_DEP_1)
	v_and_or_b32 v25, 0xffff, v27, v25
	v_cndmask_b32_e64 v25, v27, v25, s3
	s_delay_alu instid0(VALU_DEP_1) | instskip(NEXT) | instid1(VALU_DEP_1)
	v_lshrrev_b32_e32 v27, 16, v25
	v_and_b32_e32 v27, 0xffffff00, v27
	s_delay_alu instid0(VALU_DEP_1) | instskip(SKIP_1) | instid1(VALU_DEP_2)
	v_or_b32_e32 v27, v28, v27
	v_and_b32_e32 v28, 0xff, v42
	v_lshlrev_b32_e32 v27, 16, v27
	s_delay_alu instid0(VALU_DEP_1) | instskip(NEXT) | instid1(VALU_DEP_1)
	v_and_or_b32 v27, 0xffff, v25, v27
	;; [unrolled: 10-line block ×3, first 2 shown]
	v_cndmask_b32_e64 v25, v25, v27, s1
	s_delay_alu instid0(VALU_DEP_1) | instskip(NEXT) | instid1(VALU_DEP_1)
	v_lshrrev_b32_e32 v27, 16, v25
	v_and_b32_e32 v27, 0xffffff00, v27
	s_delay_alu instid0(VALU_DEP_1) | instskip(SKIP_1) | instid1(VALU_DEP_2)
	v_or_b32_e32 v27, v28, v27
	v_lshlrev_b16 v28, 8, v40
	v_lshlrev_b32_e32 v27, 16, v27
	s_delay_alu instid0(VALU_DEP_1) | instskip(NEXT) | instid1(VALU_DEP_1)
	v_and_or_b32 v27, 0xffff, v25, v27
	v_cndmask_b32_e64 v25, v25, v27, s0
	s_delay_alu instid0(VALU_DEP_1) | instskip(NEXT) | instid1(VALU_DEP_1)
	v_lshrrev_b32_e32 v27, 16, v25
	v_and_b32_e32 v27, 0xff, v27
	s_delay_alu instid0(VALU_DEP_1) | instskip(SKIP_1) | instid1(VALU_DEP_2)
	v_or_b32_e32 v27, v27, v28
	v_lshlrev_b16 v28, 8, v39
	v_lshlrev_b32_e32 v27, 16, v27
	s_delay_alu instid0(VALU_DEP_1) | instskip(NEXT) | instid1(VALU_DEP_1)
	v_and_or_b32 v27, 0xffff, v25, v27
	v_cndmask_b32_e64 v25, v25, v27, s3
	s_delay_alu instid0(VALU_DEP_1) | instskip(NEXT) | instid1(VALU_DEP_1)
	v_lshrrev_b32_e32 v27, 16, v25
	v_and_b32_e32 v27, 0xff, v27
	s_delay_alu instid0(VALU_DEP_1) | instskip(NEXT) | instid1(VALU_DEP_1)
	v_or_b32_e32 v27, v27, v28
	v_lshlrev_b32_e32 v27, 16, v27
	s_delay_alu instid0(VALU_DEP_1) | instskip(NEXT) | instid1(VALU_DEP_1)
	v_and_or_b32 v27, 0xffff, v25, v27
	v_cndmask_b32_e64 v25, v25, v27, s2
	v_add_nc_u32_e32 v27, v6, v7
	s_delay_alu instid0(VALU_DEP_2) | instskip(NEXT) | instid1(VALU_DEP_2)
	v_lshrrev_b32_e32 v7, 16, v25
	v_add_nc_u32_e32 v28, v27, v0
	s_delay_alu instid0(VALU_DEP_2) | instskip(NEXT) | instid1(VALU_DEP_2)
	v_and_b32_e32 v7, 0xff, v7
	v_add_nc_u32_e32 v0, v28, v1
	s_delay_alu instid0(VALU_DEP_2) | instskip(NEXT) | instid1(VALU_DEP_2)
	v_or_b32_e32 v7, v7, v30
	v_add_nc_u32_e32 v1, v0, v2
	ds_store_2addr_b64 v17, v[3:4], v[5:6] offset0:3 offset1:4
	ds_store_2addr_b64 v18, v[27:28], v[0:1] offset0:2 offset1:3
	v_lshlrev_b32_e32 v2, 16, v7
	s_waitcnt lgkmcnt(0)
	s_barrier
	buffer_gl0_inv
	v_lshlrev_b16 v6, 8, v26
	v_and_or_b32 v0, 0xffff, v25, v2
	ds_load_b32 v1, v36
	ds_load_b32 v2, v46
	;; [unrolled: 1-line block ×4, first 2 shown]
	s_waitcnt lgkmcnt(0)
	s_barrier
	v_cndmask_b32_e64 v0, v25, v0, s1
	buffer_gl0_inv
	v_lshrrev_b32_e32 v5, 16, v0
	s_delay_alu instid0(VALU_DEP_1) | instskip(SKIP_1) | instid1(VALU_DEP_2)
	v_and_b32_e32 v5, 0xff, v5
	v_add_nc_u32_e32 v1, v1, v29
	v_or_b32_e32 v5, v5, v6
	v_add3_u32 v2, v45, v44, v2
	v_add3_u32 v4, v53, v52, v4
	;; [unrolled: 1-line block ×3, first 2 shown]
	ds_store_b8 v1, v24
	ds_store_b8 v2, v38
	;; [unrolled: 1-line block ×3, first 2 shown]
	v_lshlrev_b32_e32 v5, 16, v5
	ds_store_b8 v4, v51
	s_waitcnt lgkmcnt(0)
	s_barrier
	buffer_gl0_inv
	v_and_or_b32 v5, 0xffff, v0, v5
	ds_load_u8 v7, v8
	ds_load_u8 v6, v8 offset:192
	ds_load_u8 v25, v8 offset:384
	;; [unrolled: 1-line block ×3, first 2 shown]
	s_waitcnt lgkmcnt(0)
	s_barrier
	buffer_gl0_inv
	v_cndmask_b32_e64 v0, v0, v5, s0
	s_delay_alu instid0(VALU_DEP_1)
	v_lshrrev_b32_e32 v5, 8, v0
	v_lshrrev_b32_e32 v24, 24, v0
	ds_store_b8 v1, v0
	ds_store_b8 v2, v5
	ds_store_b8_d16_hi v3, v0
	ds_store_b8 v4, v24
	s_waitcnt lgkmcnt(0)
	s_barrier
	buffer_gl0_inv
	ds_load_u8 v2, v8 offset:192
	ds_load_u8 v3, v8 offset:576
	ds_load_u8 v5, v8
	ds_load_u8 v4, v8 offset:384
	v_xor_b32_e32 v6, 0xffffff80, v6
	v_xor_b32_e32 v24, 0xffffff80, v7
	;; [unrolled: 1-line block ×4, first 2 shown]
	s_delay_alu instid0(VALU_DEP_4) | instskip(NEXT) | instid1(VALU_DEP_4)
	v_lshlrev_b16 v0, 8, v6
	v_and_b32_e32 v1, 0xff, v24
	s_delay_alu instid0(VALU_DEP_4) | instskip(NEXT) | instid1(VALU_DEP_4)
	v_lshlrev_b16 v26, 8, v7
	v_and_b32_e32 v27, 0xff, v25
	s_delay_alu instid0(VALU_DEP_3) | instskip(NEXT) | instid1(VALU_DEP_2)
	v_or_b32_e32 v0, v1, v0
	v_or_b32_e32 v1, v27, v26
	s_waitcnt lgkmcnt(3)
	v_lshlrev_b16 v28, 8, v2
	s_waitcnt lgkmcnt(2)
	v_lshlrev_b16 v29, 8, v3
	v_and_b32_e32 v0, 0xffff, v0
	v_lshlrev_b32_e32 v1, 16, v1
	s_waitcnt lgkmcnt(1)
	v_or_b32_e32 v26, v5, v28
	s_waitcnt lgkmcnt(0)
	v_or_b32_e32 v27, v4, v29
	v_or_b32_e32 v1, v0, v1
	s_delay_alu instid0(VALU_DEP_3) | instskip(NEXT) | instid1(VALU_DEP_3)
	v_and_b32_e32 v26, 0xffff, v26
	v_lshlrev_b32_e32 v27, 16, v27
	s_delay_alu instid0(VALU_DEP_1)
	v_or_b32_e32 v0, v26, v27
	s_cbranch_scc1 .LBB261_16
.LBB261_2:                              ; =>This Inner Loop Header: Depth=1
	v_lshrrev_b32_e32 v2, 8, v1
	v_xor_b32_e32 v3, 0x80, v1
	v_lshrrev_b32_e32 v4, 16, v1
	v_lshrrev_b32_e32 v1, 24, v1
	s_delay_alu instid0(VALU_DEP_4) | instskip(NEXT) | instid1(VALU_DEP_4)
	v_xor_b32_e32 v2, 0x80, v2
	v_and_b32_e32 v3, 0xff, v3
	s_delay_alu instid0(VALU_DEP_4) | instskip(NEXT) | instid1(VALU_DEP_4)
	v_xor_b32_e32 v4, 0x80, v4
	v_xor_b32_e32 v1, 0x80, v1
	s_barrier
	v_and_b32_e32 v2, 0xff, v2
	ds_bpermute_b32 v5, v13, v3
	v_and_b32_e32 v4, 0xff, v4
	v_and_b32_e32 v1, 0xffff, v1
	s_waitcnt lgkmcnt(0)
	buffer_gl0_inv
	ds_bpermute_b32 v6, v13, v2
	ds_store_2addr_b64 v17, v[9:10], v[11:12] offset0:3 offset1:4
	ds_store_2addr_b64 v18, v[9:10], v[11:12] offset0:2 offset1:3
	ds_bpermute_b32 v7, v13, v4
	ds_bpermute_b32 v24, v13, v1
	s_waitcnt lgkmcnt(0)
	s_barrier
	buffer_gl0_inv
	; wave barrier
	v_perm_b32 v6, v6, v5, 0x3020104
	s_delay_alu instid0(VALU_DEP_1) | instskip(SKIP_2) | instid1(VALU_DEP_1)
	v_cndmask_b32_e64 v5, v5, v6, s2
	ds_bpermute_b32 v6, v14, v3
	v_perm_b32 v7, v7, v5, 0x3020104
	v_cndmask_b32_e64 v5, v5, v7, s1
	s_delay_alu instid0(VALU_DEP_1) | instskip(SKIP_4) | instid1(VALU_DEP_2)
	v_perm_b32 v7, v24, v5, 0x3020104
	ds_bpermute_b32 v24, v14, v2
	v_cndmask_b32_e64 v5, v5, v7, s0
	s_waitcnt lgkmcnt(1)
	v_lshlrev_b16 v6, 8, v6
	v_and_b32_e32 v7, 0xff, v5
	s_delay_alu instid0(VALU_DEP_1) | instskip(NEXT) | instid1(VALU_DEP_1)
	v_or_b32_e32 v6, v7, v6
	v_and_b32_e32 v6, 0xffff, v6
	s_delay_alu instid0(VALU_DEP_1) | instskip(NEXT) | instid1(VALU_DEP_1)
	v_and_or_b32 v6, 0xffff0000, v5, v6
	v_cndmask_b32_e64 v5, v5, v6, s3
	s_waitcnt lgkmcnt(0)
	v_lshlrev_b16 v6, 8, v24
	ds_bpermute_b32 v24, v14, v4
	v_and_b32_e32 v7, 0xff, v5
	s_delay_alu instid0(VALU_DEP_1) | instskip(NEXT) | instid1(VALU_DEP_1)
	v_or_b32_e32 v6, v7, v6
	v_and_b32_e32 v6, 0xffff, v6
	s_delay_alu instid0(VALU_DEP_1) | instskip(NEXT) | instid1(VALU_DEP_1)
	v_and_or_b32 v6, 0xffff0000, v5, v6
	v_cndmask_b32_e64 v5, v5, v6, s2
	s_waitcnt lgkmcnt(0)
	v_lshlrev_b16 v6, 8, v24
	ds_bpermute_b32 v24, v14, v1
	v_and_b32_e32 v7, 0xff, v5
	s_delay_alu instid0(VALU_DEP_1) | instskip(NEXT) | instid1(VALU_DEP_1)
	v_or_b32_e32 v6, v7, v6
	v_and_b32_e32 v6, 0xffff, v6
	s_delay_alu instid0(VALU_DEP_1) | instskip(NEXT) | instid1(VALU_DEP_1)
	v_and_or_b32 v6, 0xffff0000, v5, v6
	v_cndmask_b32_e64 v5, v5, v6, s1
	s_waitcnt lgkmcnt(0)
	v_lshlrev_b16 v6, 8, v24
	s_delay_alu instid0(VALU_DEP_2) | instskip(NEXT) | instid1(VALU_DEP_1)
	v_and_b32_e32 v7, 0xff, v5
	v_or_b32_e32 v6, v7, v6
	ds_bpermute_b32 v7, v15, v3
	ds_bpermute_b32 v3, v16, v3
	v_and_b32_e32 v6, 0xffff, v6
	s_delay_alu instid0(VALU_DEP_1) | instskip(NEXT) | instid1(VALU_DEP_1)
	v_and_or_b32 v6, 0xffff0000, v5, v6
	v_cndmask_b32_e64 v5, v5, v6, s0
	s_delay_alu instid0(VALU_DEP_1)
	v_lshrrev_b32_e32 v6, 16, v5
	s_waitcnt lgkmcnt(1)
	v_and_b32_e32 v7, 0xff, v7
	s_waitcnt lgkmcnt(0)
	v_lshlrev_b16 v3, 8, v3
	v_and_b32_e32 v6, 0xffffff00, v6
	s_delay_alu instid0(VALU_DEP_1) | instskip(SKIP_3) | instid1(VALU_DEP_1)
	v_or_b32_e32 v6, v7, v6
	ds_bpermute_b32 v7, v15, v2
	ds_bpermute_b32 v2, v16, v2
	v_lshlrev_b32_e32 v6, 16, v6
	v_and_or_b32 v6, 0xffff, v5, v6
	s_delay_alu instid0(VALU_DEP_1) | instskip(NEXT) | instid1(VALU_DEP_1)
	v_cndmask_b32_e64 v5, v5, v6, s3
	v_lshrrev_b32_e32 v6, 16, v5
	s_waitcnt lgkmcnt(1)
	v_and_b32_e32 v7, 0xff, v7
	s_waitcnt lgkmcnt(0)
	v_lshlrev_b16 v2, 8, v2
	v_and_b32_e32 v6, 0xffffff00, v6
	s_delay_alu instid0(VALU_DEP_1) | instskip(SKIP_3) | instid1(VALU_DEP_1)
	v_or_b32_e32 v6, v7, v6
	ds_bpermute_b32 v7, v15, v4
	ds_bpermute_b32 v4, v16, v4
	v_lshlrev_b32_e32 v6, 16, v6
	v_and_or_b32 v6, 0xffff, v5, v6
	s_delay_alu instid0(VALU_DEP_1) | instskip(NEXT) | instid1(VALU_DEP_1)
	v_cndmask_b32_e64 v5, v5, v6, s2
	v_lshrrev_b32_e32 v6, 16, v5
	s_waitcnt lgkmcnt(1)
	v_and_b32_e32 v7, 0xff, v7
	s_waitcnt lgkmcnt(0)
	v_lshlrev_b16 v4, 8, v4
	v_and_b32_e32 v6, 0xffffff00, v6
	s_delay_alu instid0(VALU_DEP_1) | instskip(SKIP_3) | instid1(VALU_DEP_1)
	v_or_b32_e32 v6, v7, v6
	ds_bpermute_b32 v7, v15, v1
	ds_bpermute_b32 v1, v16, v1
	v_lshlrev_b32_e32 v6, 16, v6
	v_and_or_b32 v6, 0xffff, v5, v6
	s_delay_alu instid0(VALU_DEP_1) | instskip(NEXT) | instid1(VALU_DEP_1)
	v_cndmask_b32_e64 v5, v5, v6, s1
	v_lshrrev_b32_e32 v6, 16, v5
	s_waitcnt lgkmcnt(1)
	v_and_b32_e32 v7, 0xff, v7
	s_waitcnt lgkmcnt(0)
	v_lshlrev_b16 v1, 8, v1
	v_and_b32_e32 v6, 0xffffff00, v6
	s_delay_alu instid0(VALU_DEP_1) | instskip(NEXT) | instid1(VALU_DEP_1)
	v_or_b32_e32 v6, v7, v6
	v_lshlrev_b32_e32 v6, 16, v6
	s_delay_alu instid0(VALU_DEP_1) | instskip(NEXT) | instid1(VALU_DEP_1)
	v_and_or_b32 v6, 0xffff, v5, v6
	v_cndmask_b32_e64 v5, v5, v6, s0
	s_delay_alu instid0(VALU_DEP_1) | instskip(NEXT) | instid1(VALU_DEP_1)
	v_lshrrev_b32_e32 v6, 16, v5
	v_and_b32_e32 v6, 0xff, v6
	s_delay_alu instid0(VALU_DEP_1) | instskip(NEXT) | instid1(VALU_DEP_1)
	v_or_b32_e32 v3, v6, v3
	v_lshlrev_b32_e32 v3, 16, v3
	s_delay_alu instid0(VALU_DEP_1) | instskip(NEXT) | instid1(VALU_DEP_1)
	v_and_or_b32 v3, 0xffff, v5, v3
	v_cndmask_b32_e64 v3, v5, v3, s3
	s_delay_alu instid0(VALU_DEP_1) | instskip(NEXT) | instid1(VALU_DEP_1)
	v_lshrrev_b32_e32 v5, 16, v3
	v_and_b32_e32 v5, 0xff, v5
	s_delay_alu instid0(VALU_DEP_1) | instskip(SKIP_1) | instid1(VALU_DEP_2)
	v_or_b32_e32 v2, v5, v2
	v_bfe_u32 v5, v0, 16, 8
	v_lshlrev_b32_e32 v2, 16, v2
	ds_bpermute_b32 v34, v13, v5
	ds_bpermute_b32 v28, v14, v5
	;; [unrolled: 1-line block ×3, first 2 shown]
	v_and_or_b32 v2, 0xffff, v3, v2
	s_delay_alu instid0(VALU_DEP_1) | instskip(NEXT) | instid1(VALU_DEP_1)
	v_cndmask_b32_e64 v2, v3, v2, s2
	v_lshrrev_b32_e32 v3, 16, v2
	s_delay_alu instid0(VALU_DEP_1) | instskip(NEXT) | instid1(VALU_DEP_1)
	v_and_b32_e32 v3, 0xff, v3
	v_or_b32_e32 v3, v3, v4
	v_bfe_u32 v4, v0, 8, 8
	s_delay_alu instid0(VALU_DEP_2)
	v_lshlrev_b32_e32 v3, 16, v3
	ds_bpermute_b32 v35, v13, v4
	ds_bpermute_b32 v32, v14, v4
	;; [unrolled: 1-line block ×4, first 2 shown]
	v_and_or_b32 v3, 0xffff, v2, v3
	s_delay_alu instid0(VALU_DEP_1) | instskip(NEXT) | instid1(VALU_DEP_1)
	v_cndmask_b32_e64 v2, v2, v3, s1
	v_lshrrev_b32_e32 v3, 16, v2
	s_delay_alu instid0(VALU_DEP_1) | instskip(NEXT) | instid1(VALU_DEP_1)
	v_and_b32_e32 v3, 0xff, v3
	v_or_b32_e32 v1, v3, v1
	v_and_b32_e32 v3, 0xff, v0
	v_lshrrev_b32_e32 v0, 24, v0
	s_delay_alu instid0(VALU_DEP_3)
	v_lshlrev_b32_e32 v1, 16, v1
	ds_bpermute_b32 v30, v13, v3
	ds_bpermute_b32 v31, v14, v3
	;; [unrolled: 1-line block ×4, first 2 shown]
	v_and_or_b32 v1, 0xffff, v2, v1
	ds_bpermute_b32 v33, v13, v0
	ds_bpermute_b32 v27, v14, v0
	;; [unrolled: 1-line block ×3, first 2 shown]
	v_cndmask_b32_e64 v24, v2, v1, s0
	s_delay_alu instid0(VALU_DEP_1)
	v_and_b32_e32 v1, 1, v24
	v_lshlrev_b32_e32 v2, 30, v24
	v_lshlrev_b32_e32 v6, 29, v24
	;; [unrolled: 1-line block ×4, first 2 shown]
	v_add_co_u32 v1, s16, v1, -1
	s_delay_alu instid0(VALU_DEP_1)
	v_cndmask_b32_e64 v26, 0, 1, s16
	v_not_b32_e32 v38, v2
	v_cmp_gt_i32_e64 s17, 0, v2
	v_not_b32_e32 v2, v6
	v_lshlrev_b32_e32 v36, 26, v24
	v_cmp_ne_u32_e64 s16, 0, v26
	v_ashrrev_i32_e32 v38, 31, v38
	v_lshlrev_b32_e32 v37, 25, v24
	v_ashrrev_i32_e32 v2, 31, v2
	v_lshlrev_b32_e32 v26, 24, v24
	v_xor_b32_e32 v1, s16, v1
	v_cmp_gt_i32_e64 s16, 0, v6
	v_not_b32_e32 v6, v7
	v_xor_b32_e32 v38, s17, v38
	v_cmp_gt_i32_e64 s17, 0, v7
	v_and_b32_e32 v1, exec_lo, v1
	v_not_b32_e32 v7, v29
	v_ashrrev_i32_e32 v6, 31, v6
	v_xor_b32_e32 v2, s16, v2
	v_cmp_gt_i32_e64 s16, 0, v29
	v_and_b32_e32 v1, v1, v38
	v_not_b32_e32 v29, v36
	v_ashrrev_i32_e32 v7, 31, v7
	v_xor_b32_e32 v6, s17, v6
	v_cmp_gt_i32_e64 s17, 0, v36
	v_and_b32_e32 v1, v1, v2
	;; [unrolled: 5-line block ×4, first 2 shown]
	v_ashrrev_i32_e32 v6, 31, v6
	v_xor_b32_e32 v2, s16, v2
	ds_bpermute_b32 v37, v16, v5
	ds_bpermute_b32 v26, v16, v0
	v_and_b32_e32 v1, v1, v29
	v_xor_b32_e32 v3, s17, v6
	s_delay_alu instid0(VALU_DEP_2) | instskip(NEXT) | instid1(VALU_DEP_1)
	v_and_b32_e32 v1, v1, v2
	v_and_b32_e32 v0, v1, v3
	;; [unrolled: 1-line block ×3, first 2 shown]
	s_delay_alu instid0(VALU_DEP_2) | instskip(NEXT) | instid1(VALU_DEP_2)
	v_mbcnt_lo_u32_b32 v29, v0, 0
	v_mad_u32_u24 v1, v1, 6, v22
	v_cmp_ne_u32_e64 s17, 0, v0
	s_delay_alu instid0(VALU_DEP_3) | instskip(NEXT) | instid1(VALU_DEP_3)
	v_cmp_eq_u32_e64 s16, 0, v29
	v_lshl_add_u32 v36, v1, 2, 24
	s_delay_alu instid0(VALU_DEP_2) | instskip(NEXT) | instid1(SALU_CYCLE_1)
	s_and_b32 s17, s17, s16
	s_and_saveexec_b32 s16, s17
	s_cbranch_execz .LBB261_4
; %bb.3:                                ;   in Loop: Header=BB261_2 Depth=1
	v_bcnt_u32_b32 v0, v0, 0
	ds_store_b32 v36, v0
.LBB261_4:                              ;   in Loop: Header=BB261_2 Depth=1
	s_or_b32 exec_lo, exec_lo, s16
	v_bfe_u32 v0, v24, 8, 1
	v_lshrrev_b32_e32 v38, 8, v24
	; wave barrier
	s_delay_alu instid0(VALU_DEP_2) | instskip(NEXT) | instid1(VALU_DEP_1)
	v_add_co_u32 v0, s16, v0, -1
	v_cndmask_b32_e64 v1, 0, 1, s16
	s_delay_alu instid0(VALU_DEP_3)
	v_lshlrev_b32_e32 v2, 30, v38
	v_lshlrev_b32_e32 v3, 29, v38
	;; [unrolled: 1-line block ×4, first 2 shown]
	v_cmp_ne_u32_e64 s16, 0, v1
	v_not_b32_e32 v1, v2
	v_cmp_gt_i32_e64 s17, 0, v2
	v_not_b32_e32 v2, v3
	v_lshlrev_b32_e32 v6, 26, v38
	v_xor_b32_e32 v0, s16, v0
	v_ashrrev_i32_e32 v1, 31, v1
	v_cmp_gt_i32_e64 s16, 0, v3
	v_not_b32_e32 v3, v4
	v_ashrrev_i32_e32 v2, 31, v2
	v_and_b32_e32 v0, exec_lo, v0
	v_xor_b32_e32 v1, s17, v1
	v_cmp_gt_i32_e64 s17, 0, v4
	v_not_b32_e32 v4, v5
	v_ashrrev_i32_e32 v3, 31, v3
	v_xor_b32_e32 v2, s16, v2
	v_and_b32_e32 v0, v0, v1
	v_cmp_gt_i32_e64 s16, 0, v5
	v_not_b32_e32 v1, v6
	v_ashrrev_i32_e32 v4, 31, v4
	v_xor_b32_e32 v3, s17, v3
	v_and_b32_e32 v0, v0, v2
	v_lshlrev_b32_e32 v2, 25, v38
	v_cmp_gt_i32_e64 s17, 0, v6
	v_ashrrev_i32_e32 v1, 31, v1
	v_xor_b32_e32 v4, s16, v4
	v_and_b32_e32 v0, v0, v3
	v_not_b32_e32 v5, v2
	v_lshlrev_b32_e32 v6, 24, v38
	v_bfe_u32 v3, v24, 8, 8
	v_xor_b32_e32 v1, s17, v1
	v_and_b32_e32 v0, v0, v4
	v_cmp_gt_i32_e64 s16, 0, v2
	v_ashrrev_i32_e32 v2, 31, v5
	v_not_b32_e32 v4, v6
	v_mul_u32_u24_e32 v3, 6, v3
	v_and_b32_e32 v0, v0, v1
	s_delay_alu instid0(VALU_DEP_4) | instskip(SKIP_3) | instid1(VALU_DEP_4)
	v_xor_b32_e32 v1, s16, v2
	v_cmp_gt_i32_e64 s16, 0, v6
	v_ashrrev_i32_e32 v2, 31, v4
	v_add_lshl_u32 v3, v22, v3, 2
	v_and_b32_e32 v0, v0, v1
	s_delay_alu instid0(VALU_DEP_3) | instskip(SKIP_3) | instid1(VALU_DEP_1)
	v_xor_b32_e32 v1, s16, v2
	ds_load_b32 v44, v3 offset:24
	v_add_nc_u32_e32 v46, 24, v3
	; wave barrier
	v_and_b32_e32 v0, v0, v1
	v_mbcnt_lo_u32_b32 v45, v0, 0
	v_cmp_ne_u32_e64 s17, 0, v0
	s_delay_alu instid0(VALU_DEP_2) | instskip(NEXT) | instid1(VALU_DEP_1)
	v_cmp_eq_u32_e64 s16, 0, v45
	s_and_b32 s17, s17, s16
	s_delay_alu instid0(SALU_CYCLE_1)
	s_and_saveexec_b32 s16, s17
	s_cbranch_execz .LBB261_6
; %bb.5:                                ;   in Loop: Header=BB261_2 Depth=1
	s_waitcnt lgkmcnt(0)
	v_bcnt_u32_b32 v0, v0, v44
	ds_store_b32 v46, v0
.LBB261_6:                              ;   in Loop: Header=BB261_2 Depth=1
	s_or_b32 exec_lo, exec_lo, s16
	v_bfe_u32 v0, v24, 16, 1
	v_lshrrev_b32_e32 v47, 16, v24
	; wave barrier
	s_delay_alu instid0(VALU_DEP_2) | instskip(NEXT) | instid1(VALU_DEP_1)
	v_add_co_u32 v0, s16, v0, -1
	v_cndmask_b32_e64 v1, 0, 1, s16
	s_delay_alu instid0(VALU_DEP_3)
	v_lshlrev_b32_e32 v2, 30, v47
	v_lshlrev_b32_e32 v3, 29, v47
	;; [unrolled: 1-line block ×4, first 2 shown]
	v_cmp_ne_u32_e64 s16, 0, v1
	v_not_b32_e32 v1, v2
	v_cmp_gt_i32_e64 s17, 0, v2
	v_not_b32_e32 v2, v3
	v_lshlrev_b32_e32 v6, 26, v47
	v_xor_b32_e32 v0, s16, v0
	v_ashrrev_i32_e32 v1, 31, v1
	v_cmp_gt_i32_e64 s16, 0, v3
	v_not_b32_e32 v3, v4
	v_ashrrev_i32_e32 v2, 31, v2
	v_and_b32_e32 v0, exec_lo, v0
	v_xor_b32_e32 v1, s17, v1
	v_cmp_gt_i32_e64 s17, 0, v4
	v_not_b32_e32 v4, v5
	v_ashrrev_i32_e32 v3, 31, v3
	v_xor_b32_e32 v2, s16, v2
	v_and_b32_e32 v0, v0, v1
	v_cmp_gt_i32_e64 s16, 0, v5
	v_not_b32_e32 v1, v6
	v_ashrrev_i32_e32 v4, 31, v4
	v_xor_b32_e32 v3, s17, v3
	v_and_b32_e32 v0, v0, v2
	v_lshlrev_b32_e32 v2, 25, v47
	v_cmp_gt_i32_e64 s17, 0, v6
	v_ashrrev_i32_e32 v1, 31, v1
	v_xor_b32_e32 v4, s16, v4
	v_and_b32_e32 v0, v0, v3
	v_not_b32_e32 v5, v2
	v_lshlrev_b32_e32 v6, 24, v47
	v_bfe_u32 v3, v24, 16, 8
	v_xor_b32_e32 v1, s17, v1
	v_and_b32_e32 v0, v0, v4
	v_cmp_gt_i32_e64 s16, 0, v2
	v_ashrrev_i32_e32 v2, 31, v5
	v_not_b32_e32 v4, v6
	v_mul_u32_u24_e32 v3, 6, v3
	v_and_b32_e32 v0, v0, v1
	s_delay_alu instid0(VALU_DEP_4) | instskip(SKIP_3) | instid1(VALU_DEP_4)
	v_xor_b32_e32 v1, s16, v2
	v_cmp_gt_i32_e64 s16, 0, v6
	v_ashrrev_i32_e32 v2, 31, v4
	v_add_lshl_u32 v3, v22, v3, 2
	v_and_b32_e32 v0, v0, v1
	s_delay_alu instid0(VALU_DEP_3) | instskip(SKIP_3) | instid1(VALU_DEP_1)
	v_xor_b32_e32 v1, s16, v2
	ds_load_b32 v48, v3 offset:24
	v_add_nc_u32_e32 v50, 24, v3
	; wave barrier
	v_and_b32_e32 v0, v0, v1
	v_mbcnt_lo_u32_b32 v49, v0, 0
	v_cmp_ne_u32_e64 s17, 0, v0
	s_delay_alu instid0(VALU_DEP_2) | instskip(NEXT) | instid1(VALU_DEP_1)
	v_cmp_eq_u32_e64 s16, 0, v49
	s_and_b32 s17, s17, s16
	s_delay_alu instid0(SALU_CYCLE_1)
	s_and_saveexec_b32 s16, s17
	s_cbranch_execz .LBB261_8
; %bb.7:                                ;   in Loop: Header=BB261_2 Depth=1
	s_waitcnt lgkmcnt(0)
	v_bcnt_u32_b32 v0, v0, v48
	ds_store_b32 v50, v0
.LBB261_8:                              ;   in Loop: Header=BB261_2 Depth=1
	s_or_b32 exec_lo, exec_lo, s16
	v_bfe_u32 v0, v24, 24, 1
	v_lshrrev_b32_e32 v51, 24, v24
	; wave barrier
	s_delay_alu instid0(VALU_DEP_2) | instskip(NEXT) | instid1(VALU_DEP_1)
	v_add_co_u32 v0, s16, v0, -1
	v_cndmask_b32_e64 v1, 0, 1, s16
	s_delay_alu instid0(VALU_DEP_3)
	v_lshlrev_b32_e32 v2, 30, v51
	v_lshlrev_b32_e32 v3, 29, v51
	;; [unrolled: 1-line block ×4, first 2 shown]
	v_cmp_ne_u32_e64 s16, 0, v1
	v_not_b32_e32 v1, v2
	v_cmp_gt_i32_e64 s17, 0, v2
	v_not_b32_e32 v2, v3
	v_lshlrev_b32_e32 v6, 26, v51
	v_xor_b32_e32 v0, s16, v0
	v_ashrrev_i32_e32 v1, 31, v1
	v_cmp_gt_i32_e64 s16, 0, v3
	v_not_b32_e32 v3, v4
	v_ashrrev_i32_e32 v2, 31, v2
	v_and_b32_e32 v0, exec_lo, v0
	v_xor_b32_e32 v1, s17, v1
	v_cmp_gt_i32_e64 s17, 0, v4
	v_not_b32_e32 v4, v5
	v_ashrrev_i32_e32 v3, 31, v3
	v_xor_b32_e32 v2, s16, v2
	v_and_b32_e32 v0, v0, v1
	v_lshlrev_b32_e32 v1, 25, v51
	v_cmp_gt_i32_e64 s16, 0, v5
	v_ashrrev_i32_e32 v4, 31, v4
	v_xor_b32_e32 v3, s17, v3
	v_and_b32_e32 v0, v0, v2
	v_not_b32_e32 v5, v6
	v_not_b32_e32 v7, v1
	v_xor_b32_e32 v4, s16, v4
	v_cmp_gt_i32_e64 s16, 0, v6
	v_and_b32_e32 v0, v0, v3
	v_ashrrev_i32_e32 v3, 31, v5
	v_and_b32_e32 v2, 0xff000000, v24
	v_cmp_gt_i32_e64 s17, 0, v1
	v_ashrrev_i32_e32 v1, 31, v7
	v_and_b32_e32 v0, v0, v4
	v_not_b32_e32 v4, v24
	v_xor_b32_e32 v3, s16, v3
	v_mul_u32_u24_e32 v5, 6, v51
	v_xor_b32_e32 v1, s17, v1
	v_cmp_gt_i32_e64 s16, 0, v2
	v_ashrrev_i32_e32 v2, 31, v4
	v_and_b32_e32 v0, v0, v3
	v_add_lshl_u32 v3, v22, v5, 2
	s_delay_alu instid0(VALU_DEP_3) | instskip(NEXT) | instid1(VALU_DEP_3)
	v_xor_b32_e32 v2, s16, v2
	v_and_b32_e32 v0, v0, v1
	ds_load_b32 v52, v3 offset:24
	v_add_nc_u32_e32 v54, 24, v3
	; wave barrier
	v_and_b32_e32 v0, v0, v2
	s_delay_alu instid0(VALU_DEP_1) | instskip(SKIP_1) | instid1(VALU_DEP_2)
	v_mbcnt_lo_u32_b32 v53, v0, 0
	v_cmp_ne_u32_e64 s17, 0, v0
	v_cmp_eq_u32_e64 s16, 0, v53
	s_delay_alu instid0(VALU_DEP_1) | instskip(NEXT) | instid1(SALU_CYCLE_1)
	s_and_b32 s17, s17, s16
	s_and_saveexec_b32 s16, s17
	s_cbranch_execz .LBB261_10
; %bb.9:                                ;   in Loop: Header=BB261_2 Depth=1
	s_waitcnt lgkmcnt(0)
	v_bcnt_u32_b32 v0, v0, v52
	ds_store_b32 v54, v0
.LBB261_10:                             ;   in Loop: Header=BB261_2 Depth=1
	s_or_b32 exec_lo, exec_lo, s16
	; wave barrier
	s_waitcnt lgkmcnt(0)
	s_barrier
	buffer_gl0_inv
	ds_load_2addr_b64 v[4:7], v17 offset0:3 offset1:4
	ds_load_2addr_b64 v[0:3], v18 offset0:2 offset1:3
	s_waitcnt lgkmcnt(1)
	v_add_nc_u32_e32 v55, v5, v4
	s_delay_alu instid0(VALU_DEP_1) | instskip(SKIP_1) | instid1(VALU_DEP_1)
	v_add3_u32 v55, v55, v6, v7
	s_waitcnt lgkmcnt(0)
	v_add3_u32 v55, v55, v0, v1
	s_delay_alu instid0(VALU_DEP_1) | instskip(NEXT) | instid1(VALU_DEP_1)
	v_add3_u32 v3, v55, v2, v3
	v_mov_b32_dpp v55, v3 row_shr:1 row_mask:0xf bank_mask:0xf
	s_delay_alu instid0(VALU_DEP_1) | instskip(NEXT) | instid1(VALU_DEP_1)
	v_cndmask_b32_e64 v55, v55, 0, s4
	v_add_nc_u32_e32 v3, v55, v3
	s_delay_alu instid0(VALU_DEP_1) | instskip(NEXT) | instid1(VALU_DEP_1)
	v_mov_b32_dpp v55, v3 row_shr:2 row_mask:0xf bank_mask:0xf
	v_cndmask_b32_e64 v55, 0, v55, s5
	s_delay_alu instid0(VALU_DEP_1) | instskip(NEXT) | instid1(VALU_DEP_1)
	v_add_nc_u32_e32 v3, v3, v55
	v_mov_b32_dpp v55, v3 row_shr:4 row_mask:0xf bank_mask:0xf
	s_delay_alu instid0(VALU_DEP_1) | instskip(NEXT) | instid1(VALU_DEP_1)
	v_cndmask_b32_e64 v55, 0, v55, s6
	v_add_nc_u32_e32 v3, v3, v55
	s_delay_alu instid0(VALU_DEP_1) | instskip(NEXT) | instid1(VALU_DEP_1)
	v_mov_b32_dpp v55, v3 row_shr:8 row_mask:0xf bank_mask:0xf
	v_cndmask_b32_e64 v55, 0, v55, s7
	s_delay_alu instid0(VALU_DEP_1) | instskip(SKIP_3) | instid1(VALU_DEP_1)
	v_add_nc_u32_e32 v3, v3, v55
	ds_swizzle_b32 v55, v3 offset:swizzle(BROADCAST,32,15)
	s_waitcnt lgkmcnt(0)
	v_cndmask_b32_e64 v55, v55, 0, s8
	v_add_nc_u32_e32 v3, v3, v55
	s_and_saveexec_b32 s16, s15
	s_cbranch_execz .LBB261_12
; %bb.11:                               ;   in Loop: Header=BB261_2 Depth=1
	ds_store_b32 v19, v3
.LBB261_12:                             ;   in Loop: Header=BB261_2 Depth=1
	s_or_b32 exec_lo, exec_lo, s16
	s_waitcnt lgkmcnt(0)
	s_barrier
	buffer_gl0_inv
	s_and_saveexec_b32 s16, s9
	s_cbranch_execz .LBB261_14
; %bb.13:                               ;   in Loop: Header=BB261_2 Depth=1
	ds_load_b32 v55, v23
	s_waitcnt lgkmcnt(0)
	v_mov_b32_dpp v56, v55 row_shr:1 row_mask:0xf bank_mask:0xf
	s_delay_alu instid0(VALU_DEP_1) | instskip(NEXT) | instid1(VALU_DEP_1)
	v_cndmask_b32_e64 v56, v56, 0, s12
	v_add_nc_u32_e32 v55, v56, v55
	s_delay_alu instid0(VALU_DEP_1) | instskip(NEXT) | instid1(VALU_DEP_1)
	v_mov_b32_dpp v56, v55 row_shr:2 row_mask:0xf bank_mask:0xf
	v_cndmask_b32_e64 v56, 0, v56, s13
	s_delay_alu instid0(VALU_DEP_1) | instskip(NEXT) | instid1(VALU_DEP_1)
	v_add_nc_u32_e32 v55, v55, v56
	v_mov_b32_dpp v56, v55 row_shr:4 row_mask:0xf bank_mask:0xf
	s_delay_alu instid0(VALU_DEP_1) | instskip(NEXT) | instid1(VALU_DEP_1)
	v_cndmask_b32_e64 v56, 0, v56, s14
	v_add_nc_u32_e32 v55, v55, v56
	ds_store_b32 v23, v55
.LBB261_14:                             ;   in Loop: Header=BB261_2 Depth=1
	s_or_b32 exec_lo, exec_lo, s16
	v_mov_b32_e32 v55, 0
	s_waitcnt lgkmcnt(0)
	s_barrier
	buffer_gl0_inv
	s_and_saveexec_b32 s16, s10
	s_cbranch_execz .LBB261_1
; %bb.15:                               ;   in Loop: Header=BB261_2 Depth=1
	ds_load_b32 v55, v21
	s_branch .LBB261_1
.LBB261_16:
	v_add_nc_u16 v0, v24, v5
	v_add_nc_u16 v1, v6, v2
	;; [unrolled: 1-line block ×3, first 2 shown]
	s_add_u32 s0, s18, s20
	v_add_nc_u16 v3, v7, v3
	s_addc_u32 s1, s19, 0
	s_clause 0x3
	global_store_b8 v8, v0, s[0:1]
	global_store_b8 v8, v1, s[0:1] offset:192
	global_store_b8 v8, v2, s[0:1] offset:384
	;; [unrolled: 1-line block ×3, first 2 shown]
	s_nop 0
	s_sendmsg sendmsg(MSG_DEALLOC_VGPRS)
	s_endpgm
	.section	.rodata,"a",@progbits
	.p2align	6, 0x0
	.amdhsa_kernel _Z17sort_pairs_kernelI22helper_blocked_stripedaLj192ELj4ELj10EEvPKT0_PS1_
		.amdhsa_group_segment_fixed_size 6176
		.amdhsa_private_segment_fixed_size 0
		.amdhsa_kernarg_size 272
		.amdhsa_user_sgpr_count 15
		.amdhsa_user_sgpr_dispatch_ptr 0
		.amdhsa_user_sgpr_queue_ptr 0
		.amdhsa_user_sgpr_kernarg_segment_ptr 1
		.amdhsa_user_sgpr_dispatch_id 0
		.amdhsa_user_sgpr_private_segment_size 0
		.amdhsa_wavefront_size32 1
		.amdhsa_uses_dynamic_stack 0
		.amdhsa_enable_private_segment 0
		.amdhsa_system_sgpr_workgroup_id_x 1
		.amdhsa_system_sgpr_workgroup_id_y 0
		.amdhsa_system_sgpr_workgroup_id_z 0
		.amdhsa_system_sgpr_workgroup_info 0
		.amdhsa_system_vgpr_workitem_id 2
		.amdhsa_next_free_vgpr 57
		.amdhsa_next_free_sgpr 22
		.amdhsa_reserve_vcc 1
		.amdhsa_float_round_mode_32 0
		.amdhsa_float_round_mode_16_64 0
		.amdhsa_float_denorm_mode_32 3
		.amdhsa_float_denorm_mode_16_64 3
		.amdhsa_dx10_clamp 1
		.amdhsa_ieee_mode 1
		.amdhsa_fp16_overflow 0
		.amdhsa_workgroup_processor_mode 1
		.amdhsa_memory_ordered 1
		.amdhsa_forward_progress 0
		.amdhsa_shared_vgpr_count 0
		.amdhsa_exception_fp_ieee_invalid_op 0
		.amdhsa_exception_fp_denorm_src 0
		.amdhsa_exception_fp_ieee_div_zero 0
		.amdhsa_exception_fp_ieee_overflow 0
		.amdhsa_exception_fp_ieee_underflow 0
		.amdhsa_exception_fp_ieee_inexact 0
		.amdhsa_exception_int_div_zero 0
	.end_amdhsa_kernel
	.section	.text._Z17sort_pairs_kernelI22helper_blocked_stripedaLj192ELj4ELj10EEvPKT0_PS1_,"axG",@progbits,_Z17sort_pairs_kernelI22helper_blocked_stripedaLj192ELj4ELj10EEvPKT0_PS1_,comdat
.Lfunc_end261:
	.size	_Z17sort_pairs_kernelI22helper_blocked_stripedaLj192ELj4ELj10EEvPKT0_PS1_, .Lfunc_end261-_Z17sort_pairs_kernelI22helper_blocked_stripedaLj192ELj4ELj10EEvPKT0_PS1_
                                        ; -- End function
	.section	.AMDGPU.csdata,"",@progbits
; Kernel info:
; codeLenInByte = 4800
; NumSgprs: 24
; NumVgprs: 57
; ScratchSize: 0
; MemoryBound: 0
; FloatMode: 240
; IeeeMode: 1
; LDSByteSize: 6176 bytes/workgroup (compile time only)
; SGPRBlocks: 2
; VGPRBlocks: 7
; NumSGPRsForWavesPerEU: 24
; NumVGPRsForWavesPerEU: 57
; Occupancy: 15
; WaveLimiterHint : 1
; COMPUTE_PGM_RSRC2:SCRATCH_EN: 0
; COMPUTE_PGM_RSRC2:USER_SGPR: 15
; COMPUTE_PGM_RSRC2:TRAP_HANDLER: 0
; COMPUTE_PGM_RSRC2:TGID_X_EN: 1
; COMPUTE_PGM_RSRC2:TGID_Y_EN: 0
; COMPUTE_PGM_RSRC2:TGID_Z_EN: 0
; COMPUTE_PGM_RSRC2:TIDIG_COMP_CNT: 2
	.section	.text._Z16sort_keys_kernelI22helper_blocked_stripedaLj192ELj8ELj10EEvPKT0_PS1_,"axG",@progbits,_Z16sort_keys_kernelI22helper_blocked_stripedaLj192ELj8ELj10EEvPKT0_PS1_,comdat
	.protected	_Z16sort_keys_kernelI22helper_blocked_stripedaLj192ELj8ELj10EEvPKT0_PS1_ ; -- Begin function _Z16sort_keys_kernelI22helper_blocked_stripedaLj192ELj8ELj10EEvPKT0_PS1_
	.globl	_Z16sort_keys_kernelI22helper_blocked_stripedaLj192ELj8ELj10EEvPKT0_PS1_
	.p2align	8
	.type	_Z16sort_keys_kernelI22helper_blocked_stripedaLj192ELj8ELj10EEvPKT0_PS1_,@function
_Z16sort_keys_kernelI22helper_blocked_stripedaLj192ELj8ELj10EEvPKT0_PS1_: ; @_Z16sort_keys_kernelI22helper_blocked_stripedaLj192ELj8ELj10EEvPKT0_PS1_
; %bb.0:
	s_clause 0x1
	s_load_b128 s[16:19], s[0:1], 0x0
	s_load_b32 s2, s[0:1], 0x1c
	s_mov_b32 s12, 0
	s_mul_i32 s14, s15, 0x600
	s_mov_b32 s13, s12
	v_and_b32_e32 v8, 0x3ff, v0
	v_bfe_u32 v3, v0, 10, 10
	v_bfe_u32 v0, v0, 20, 10
	v_mbcnt_lo_u32_b32 v6, -1, 0
	s_mov_b32 s15, 10
	v_lshlrev_b32_e32 v5, 3, v8
	s_delay_alu instid0(VALU_DEP_2)
	v_cmp_eq_u32_e64 s7, 0, v6
	s_waitcnt lgkmcnt(0)
	s_add_u32 s0, s16, s14
	s_addc_u32 s1, s17, 0
	s_mov_b32 s16, s12
	global_load_b64 v[1:2], v5, s[0:1]
	s_mov_b32 s17, s12
	v_and_b32_e32 v7, 0xe0, v8
	s_lshr_b32 s0, s2, 16
	v_dual_mov_b32 v11, s16 :: v_dual_mov_b32 v12, s17
	v_mad_u32_u24 v0, v0, s0, v3
	s_delay_alu instid0(VALU_DEP_3)
	v_or_b32_e32 v9, v6, v7
	s_and_b32 s0, s2, 0xffff
	s_delay_alu instid0(VALU_DEP_1) | instid1(SALU_CYCLE_1)
	v_mad_u64_u32 v[3:4], null, v0, s0, v[8:9]
	v_dual_mov_b32 v9, s12 :: v_dual_lshlrev_b32 v14, 3, v9
	v_mov_b32_e32 v10, s13
	v_and_or_b32 v15, 0x700, v5, v6
	v_add_nc_u32_e32 v5, -1, v6
	v_and_b32_e32 v0, 15, v6
	v_lshrrev_b32_e32 v17, 5, v3
	v_min_u32_e32 v3, 0xa0, v7
	v_lshlrev_b32_e32 v13, 5, v8
	v_cmp_gt_i32_e64 s4, 0, v5
	v_cmp_eq_u32_e32 vcc_lo, 0, v0
	v_cmp_lt_u32_e64 s0, 1, v0
	v_or_b32_e32 v3, 31, v3
	v_cmp_lt_u32_e64 s1, 3, v0
	v_cmp_lt_u32_e64 s2, 7, v0
	v_cndmask_b32_e64 v0, v5, v6, s4
	v_and_b32_e32 v4, 16, v6
	v_cmp_eq_u32_e64 s4, v3, v8
	v_lshrrev_b32_e32 v3, 3, v8
	v_or_b32_e32 v16, 24, v13
	v_lshlrev_b32_e32 v18, 2, v0
	v_and_b32_e32 v0, 7, v6
	v_cmp_eq_u32_e64 s3, 0, v4
	v_and_b32_e32 v19, 28, v3
	v_mul_u32_u24_e32 v3, 3, v8
	v_cmp_gt_u32_e64 s5, 6, v8
	v_cmp_lt_u32_e64 s6, 31, v8
	v_cmp_eq_u32_e64 s8, 0, v8
	v_cmp_eq_u32_e64 s9, 0, v0
	v_cmp_lt_u32_e64 s10, 1, v0
	v_cmp_lt_u32_e64 s11, 3, v0
	v_add_nc_u32_e32 v20, -4, v19
	v_add_nc_u32_e32 v21, v8, v3
	s_branch .LBB262_2
.LBB262_1:                              ;   in Loop: Header=BB262_2 Depth=1
	s_or_b32 exec_lo, exec_lo, s12
	s_waitcnt lgkmcnt(0)
	v_add_nc_u32_e32 v3, v53, v3
	s_add_i32 s15, s15, -1
	s_delay_alu instid0(SALU_CYCLE_1) | instskip(SKIP_3) | instid1(VALU_DEP_1)
	s_cmp_eq_u32 s15, 0
	ds_bpermute_b32 v3, v18, v3
	s_waitcnt lgkmcnt(0)
	v_cndmask_b32_e64 v3, v3, v53, s7
	v_cndmask_b32_e64 v3, v3, 0, s8
	s_delay_alu instid0(VALU_DEP_1) | instskip(NEXT) | instid1(VALU_DEP_1)
	v_add_nc_u32_e32 v4, v3, v4
	v_add_nc_u32_e32 v5, v4, v5
	s_delay_alu instid0(VALU_DEP_1) | instskip(NEXT) | instid1(VALU_DEP_1)
	v_add_nc_u32_e32 v6, v5, v6
	v_add_nc_u32_e32 v53, v6, v7
	;; [unrolled: 3-line block ×3, first 2 shown]
	s_delay_alu instid0(VALU_DEP_1)
	v_add_nc_u32_e32 v1, v0, v2
	ds_store_2addr_b64 v13, v[3:4], v[5:6] offset0:3 offset1:4
	ds_store_2addr_b64 v16, v[53:54], v[0:1] offset0:2 offset1:3
	s_waitcnt lgkmcnt(0)
	s_barrier
	buffer_gl0_inv
	ds_load_b32 v0, v31
	ds_load_b32 v1, v34
	;; [unrolled: 1-line block ×8, first 2 shown]
	s_waitcnt lgkmcnt(0)
	s_barrier
	buffer_gl0_inv
	v_add_nc_u32_e32 v0, v0, v30
	v_add3_u32 v1, v33, v32, v1
	v_add3_u32 v2, v36, v35, v2
	;; [unrolled: 1-line block ×7, first 2 shown]
	ds_store_b8 v0, v22
	ds_store_b8 v1, v23
	;; [unrolled: 1-line block ×8, first 2 shown]
	s_waitcnt lgkmcnt(0)
	s_barrier
	buffer_gl0_inv
	ds_load_u8 v0, v8
	ds_load_u8 v1, v8 offset:192
	ds_load_u8 v2, v8 offset:384
	;; [unrolled: 1-line block ×7, first 2 shown]
	s_waitcnt lgkmcnt(7)
	v_xor_b32_e32 v0, 0xffffff80, v0
	s_waitcnt lgkmcnt(6)
	v_xor_b32_e32 v3, 0xffffff80, v1
	;; [unrolled: 2-line block ×8, first 2 shown]
	v_lshlrev_b16 v1, 8, v3
	v_and_b32_e32 v2, 0xff, v0
	v_lshlrev_b16 v24, 8, v5
	v_and_b32_e32 v25, 0xff, v4
	;; [unrolled: 2-line block ×4, first 2 shown]
	v_or_b32_e32 v1, v2, v1
	v_or_b32_e32 v2, v25, v24
	;; [unrolled: 1-line block ×3, first 2 shown]
	s_delay_alu instid0(VALU_DEP_4) | instskip(NEXT) | instid1(VALU_DEP_4)
	v_or_b32_e32 v25, v29, v28
	v_and_b32_e32 v1, 0xffff, v1
	s_delay_alu instid0(VALU_DEP_4) | instskip(NEXT) | instid1(VALU_DEP_4)
	v_lshlrev_b32_e32 v2, 16, v2
	v_and_b32_e32 v24, 0xffff, v24
	s_delay_alu instid0(VALU_DEP_4) | instskip(NEXT) | instid1(VALU_DEP_3)
	v_lshlrev_b32_e32 v25, 16, v25
	v_or_b32_e32 v1, v1, v2
	s_delay_alu instid0(VALU_DEP_2)
	v_or_b32_e32 v2, v24, v25
	s_cbranch_scc1 .LBB262_24
.LBB262_2:                              ; =>This Inner Loop Header: Depth=1
	s_waitcnt vmcnt(0)
	s_delay_alu instid0(VALU_DEP_1)
	v_lshrrev_b32_e32 v0, 16, v2
	v_lshrrev_b32_e32 v3, 16, v1
	v_xor_b32_e32 v4, 0x80, v2
	v_and_b32_e32 v5, 0xffffff00, v1
	v_xor_b32_e32 v1, 0x80, v1
	v_xor_b32_e32 v6, 0x80, v0
	;; [unrolled: 1-line block ×3, first 2 shown]
	v_and_b32_e32 v2, 0xffffff00, v2
	v_and_b32_e32 v4, 0xff, v4
	;; [unrolled: 1-line block ×7, first 2 shown]
	v_or_b32_e32 v2, v4, v2
	v_or_b32_e32 v0, v6, v0
	;; [unrolled: 1-line block ×3, first 2 shown]
	s_delay_alu instid0(VALU_DEP_4) | instskip(NEXT) | instid1(VALU_DEP_4)
	v_or_b32_e32 v3, v7, v3
	v_add_nc_u16 v2, v2, 0x8000
	s_delay_alu instid0(VALU_DEP_4) | instskip(NEXT) | instid1(VALU_DEP_4)
	v_add_nc_u16 v0, v0, 0x8000
	v_add_nc_u16 v1, v1, 0x8000
	s_delay_alu instid0(VALU_DEP_4) | instskip(NEXT) | instid1(VALU_DEP_4)
	v_add_nc_u16 v3, v3, 0x8000
	v_and_b32_e32 v2, 0xffff, v2
	s_delay_alu instid0(VALU_DEP_4) | instskip(NEXT) | instid1(VALU_DEP_4)
	v_lshlrev_b32_e32 v0, 16, v0
	v_and_b32_e32 v4, 0xffff, v1
	s_delay_alu instid0(VALU_DEP_4) | instskip(NEXT) | instid1(VALU_DEP_3)
	v_lshlrev_b32_e32 v3, 16, v3
	v_or_b32_e32 v1, v2, v0
	s_delay_alu instid0(VALU_DEP_2)
	v_or_b32_e32 v0, v4, v3
	ds_store_b64 v14, v[0:1]
	; wave barrier
	ds_load_u8 v22, v15
	ds_load_u8 v23, v15 offset:32
	ds_load_u8 v24, v15 offset:64
	ds_load_u8 v25, v15 offset:96
	ds_load_u8 v26, v15 offset:128
	ds_load_u8 v27, v15 offset:160
	ds_load_u8 v28, v15 offset:192
	ds_load_u8 v29, v15 offset:224
	; wave barrier
	; wave barrier
	s_waitcnt lgkmcnt(0)
	s_barrier
	buffer_gl0_inv
	ds_store_2addr_b64 v13, v[9:10], v[11:12] offset0:3 offset1:4
	ds_store_2addr_b64 v16, v[9:10], v[11:12] offset0:2 offset1:3
	s_waitcnt lgkmcnt(0)
	s_barrier
	buffer_gl0_inv
	v_and_b32_e32 v0, 1, v22
	v_lshlrev_b32_e32 v1, 30, v22
	v_lshlrev_b32_e32 v2, 29, v22
	;; [unrolled: 1-line block ×4, first 2 shown]
	v_add_co_u32 v0, s12, v0, -1
	s_delay_alu instid0(VALU_DEP_1)
	v_cndmask_b32_e64 v4, 0, 1, s12
	v_not_b32_e32 v30, v1
	v_cmp_gt_i32_e64 s13, 0, v1
	v_not_b32_e32 v1, v2
	v_lshlrev_b32_e32 v6, 26, v22
	v_cmp_ne_u32_e64 s12, 0, v4
	v_ashrrev_i32_e32 v30, 31, v30
	v_lshlrev_b32_e32 v7, 25, v22
	v_ashrrev_i32_e32 v1, 31, v1
	v_lshlrev_b32_e32 v4, 24, v22
	v_xor_b32_e32 v0, s12, v0
	v_cmp_gt_i32_e64 s12, 0, v2
	v_not_b32_e32 v2, v3
	v_xor_b32_e32 v30, s13, v30
	v_cmp_gt_i32_e64 s13, 0, v3
	v_and_b32_e32 v0, exec_lo, v0
	v_not_b32_e32 v3, v5
	v_ashrrev_i32_e32 v2, 31, v2
	v_xor_b32_e32 v1, s12, v1
	v_cmp_gt_i32_e64 s12, 0, v5
	v_and_b32_e32 v0, v0, v30
	v_not_b32_e32 v5, v6
	v_ashrrev_i32_e32 v3, 31, v3
	v_xor_b32_e32 v2, s13, v2
	v_cmp_gt_i32_e64 s13, 0, v6
	v_and_b32_e32 v0, v0, v1
	;; [unrolled: 5-line block ×4, first 2 shown]
	v_ashrrev_i32_e32 v2, 31, v2
	v_xor_b32_e32 v1, s12, v1
	; wave barrier
	s_delay_alu instid0(VALU_DEP_3) | instskip(NEXT) | instid1(VALU_DEP_3)
	v_and_b32_e32 v0, v0, v5
	v_xor_b32_e32 v2, s13, v2
	s_delay_alu instid0(VALU_DEP_2) | instskip(SKIP_1) | instid1(VALU_DEP_2)
	v_and_b32_e32 v0, v0, v1
	v_and_b32_e32 v1, 0xff, v22
	;; [unrolled: 1-line block ×3, first 2 shown]
	s_delay_alu instid0(VALU_DEP_2) | instskip(NEXT) | instid1(VALU_DEP_2)
	v_mad_u32_u24 v1, v1, 6, v17
	v_mbcnt_lo_u32_b32 v30, v0, 0
	v_cmp_ne_u32_e64 s13, 0, v0
	s_delay_alu instid0(VALU_DEP_3) | instskip(NEXT) | instid1(VALU_DEP_3)
	v_lshl_add_u32 v31, v1, 2, 24
	v_cmp_eq_u32_e64 s12, 0, v30
	s_delay_alu instid0(VALU_DEP_1) | instskip(NEXT) | instid1(SALU_CYCLE_1)
	s_and_b32 s13, s13, s12
	s_and_saveexec_b32 s12, s13
	s_cbranch_execz .LBB262_4
; %bb.3:                                ;   in Loop: Header=BB262_2 Depth=1
	v_bcnt_u32_b32 v0, v0, 0
	ds_store_b32 v31, v0
.LBB262_4:                              ;   in Loop: Header=BB262_2 Depth=1
	s_or_b32 exec_lo, exec_lo, s12
	v_and_b32_e32 v0, 1, v23
	v_lshlrev_b32_e32 v2, 30, v23
	v_lshlrev_b32_e32 v4, 29, v23
	;; [unrolled: 1-line block ×4, first 2 shown]
	v_add_co_u32 v0, s12, v0, -1
	s_delay_alu instid0(VALU_DEP_1)
	v_cndmask_b32_e64 v3, 0, 1, s12
	v_not_b32_e32 v7, v2
	v_cmp_gt_i32_e64 s13, 0, v2
	v_not_b32_e32 v2, v4
	v_and_b32_e32 v1, 0xff, v23
	v_cmp_ne_u32_e64 s12, 0, v3
	v_ashrrev_i32_e32 v7, 31, v7
	v_lshlrev_b32_e32 v3, 26, v23
	v_ashrrev_i32_e32 v2, 31, v2
	v_mul_u32_u24_e32 v1, 6, v1
	v_xor_b32_e32 v0, s12, v0
	v_cmp_gt_i32_e64 s12, 0, v4
	v_not_b32_e32 v4, v5
	v_xor_b32_e32 v7, s13, v7
	v_cmp_gt_i32_e64 s13, 0, v5
	v_and_b32_e32 v0, exec_lo, v0
	v_not_b32_e32 v5, v6
	v_ashrrev_i32_e32 v4, 31, v4
	v_xor_b32_e32 v2, s12, v2
	v_cmp_gt_i32_e64 s12, 0, v6
	v_and_b32_e32 v0, v0, v7
	v_lshlrev_b32_e32 v7, 25, v23
	v_ashrrev_i32_e32 v5, 31, v5
	v_xor_b32_e32 v4, s13, v4
	v_not_b32_e32 v6, v3
	v_and_b32_e32 v0, v0, v2
	v_lshlrev_b32_e32 v2, 24, v23
	v_not_b32_e32 v32, v7
	v_xor_b32_e32 v5, s12, v5
	v_cmp_gt_i32_e64 s12, 0, v3
	v_and_b32_e32 v0, v0, v4
	v_ashrrev_i32_e32 v3, 31, v6
	v_cmp_gt_i32_e64 s13, 0, v7
	v_ashrrev_i32_e32 v4, 31, v32
	v_add_lshl_u32 v1, v17, v1, 2
	v_and_b32_e32 v0, v0, v5
	v_not_b32_e32 v5, v2
	v_xor_b32_e32 v3, s12, v3
	v_xor_b32_e32 v4, s13, v4
	v_cmp_gt_i32_e64 s12, 0, v2
	s_delay_alu instid0(VALU_DEP_4) | instskip(NEXT) | instid1(VALU_DEP_4)
	v_ashrrev_i32_e32 v2, 31, v5
	v_and_b32_e32 v0, v0, v3
	; wave barrier
	ds_load_b32 v32, v1 offset:24
	v_add_nc_u32_e32 v34, 24, v1
	v_xor_b32_e32 v2, s12, v2
	v_and_b32_e32 v0, v0, v4
	; wave barrier
	s_delay_alu instid0(VALU_DEP_1) | instskip(NEXT) | instid1(VALU_DEP_1)
	v_and_b32_e32 v0, v0, v2
	v_mbcnt_lo_u32_b32 v33, v0, 0
	v_cmp_ne_u32_e64 s13, 0, v0
	s_delay_alu instid0(VALU_DEP_2) | instskip(NEXT) | instid1(VALU_DEP_1)
	v_cmp_eq_u32_e64 s12, 0, v33
	s_and_b32 s13, s13, s12
	s_delay_alu instid0(SALU_CYCLE_1)
	s_and_saveexec_b32 s12, s13
	s_cbranch_execz .LBB262_6
; %bb.5:                                ;   in Loop: Header=BB262_2 Depth=1
	s_waitcnt lgkmcnt(0)
	v_bcnt_u32_b32 v0, v0, v32
	ds_store_b32 v34, v0
.LBB262_6:                              ;   in Loop: Header=BB262_2 Depth=1
	s_or_b32 exec_lo, exec_lo, s12
	v_and_b32_e32 v0, 1, v24
	v_lshlrev_b32_e32 v2, 30, v24
	v_lshlrev_b32_e32 v4, 29, v24
	;; [unrolled: 1-line block ×4, first 2 shown]
	v_add_co_u32 v0, s12, v0, -1
	s_delay_alu instid0(VALU_DEP_1)
	v_cndmask_b32_e64 v3, 0, 1, s12
	v_not_b32_e32 v7, v2
	v_cmp_gt_i32_e64 s13, 0, v2
	v_not_b32_e32 v2, v4
	v_and_b32_e32 v1, 0xff, v24
	v_cmp_ne_u32_e64 s12, 0, v3
	v_ashrrev_i32_e32 v7, 31, v7
	v_lshlrev_b32_e32 v3, 26, v24
	v_ashrrev_i32_e32 v2, 31, v2
	v_mul_u32_u24_e32 v1, 6, v1
	v_xor_b32_e32 v0, s12, v0
	v_cmp_gt_i32_e64 s12, 0, v4
	v_not_b32_e32 v4, v5
	v_xor_b32_e32 v7, s13, v7
	v_cmp_gt_i32_e64 s13, 0, v5
	v_and_b32_e32 v0, exec_lo, v0
	v_not_b32_e32 v5, v6
	v_ashrrev_i32_e32 v4, 31, v4
	v_xor_b32_e32 v2, s12, v2
	v_cmp_gt_i32_e64 s12, 0, v6
	v_and_b32_e32 v0, v0, v7
	v_lshlrev_b32_e32 v7, 25, v24
	v_ashrrev_i32_e32 v5, 31, v5
	v_xor_b32_e32 v4, s13, v4
	v_not_b32_e32 v6, v3
	v_and_b32_e32 v0, v0, v2
	v_lshlrev_b32_e32 v2, 24, v24
	v_not_b32_e32 v35, v7
	v_xor_b32_e32 v5, s12, v5
	v_cmp_gt_i32_e64 s12, 0, v3
	v_and_b32_e32 v0, v0, v4
	v_ashrrev_i32_e32 v3, 31, v6
	v_cmp_gt_i32_e64 s13, 0, v7
	v_ashrrev_i32_e32 v4, 31, v35
	v_add_lshl_u32 v1, v17, v1, 2
	v_and_b32_e32 v0, v0, v5
	v_not_b32_e32 v5, v2
	v_xor_b32_e32 v3, s12, v3
	v_xor_b32_e32 v4, s13, v4
	v_cmp_gt_i32_e64 s12, 0, v2
	s_delay_alu instid0(VALU_DEP_4) | instskip(NEXT) | instid1(VALU_DEP_4)
	v_ashrrev_i32_e32 v2, 31, v5
	v_and_b32_e32 v0, v0, v3
	; wave barrier
	ds_load_b32 v35, v1 offset:24
	v_add_nc_u32_e32 v37, 24, v1
	v_xor_b32_e32 v2, s12, v2
	v_and_b32_e32 v0, v0, v4
	; wave barrier
	s_delay_alu instid0(VALU_DEP_1) | instskip(NEXT) | instid1(VALU_DEP_1)
	v_and_b32_e32 v0, v0, v2
	v_mbcnt_lo_u32_b32 v36, v0, 0
	v_cmp_ne_u32_e64 s13, 0, v0
	s_delay_alu instid0(VALU_DEP_2) | instskip(NEXT) | instid1(VALU_DEP_1)
	v_cmp_eq_u32_e64 s12, 0, v36
	s_and_b32 s13, s13, s12
	s_delay_alu instid0(SALU_CYCLE_1)
	s_and_saveexec_b32 s12, s13
	s_cbranch_execz .LBB262_8
; %bb.7:                                ;   in Loop: Header=BB262_2 Depth=1
	s_waitcnt lgkmcnt(0)
	v_bcnt_u32_b32 v0, v0, v35
	ds_store_b32 v37, v0
.LBB262_8:                              ;   in Loop: Header=BB262_2 Depth=1
	s_or_b32 exec_lo, exec_lo, s12
	v_and_b32_e32 v0, 1, v25
	v_lshlrev_b32_e32 v2, 30, v25
	v_lshlrev_b32_e32 v4, 29, v25
	;; [unrolled: 1-line block ×4, first 2 shown]
	v_add_co_u32 v0, s12, v0, -1
	s_delay_alu instid0(VALU_DEP_1)
	v_cndmask_b32_e64 v3, 0, 1, s12
	v_not_b32_e32 v7, v2
	v_cmp_gt_i32_e64 s13, 0, v2
	v_not_b32_e32 v2, v4
	v_and_b32_e32 v1, 0xff, v25
	v_cmp_ne_u32_e64 s12, 0, v3
	v_ashrrev_i32_e32 v7, 31, v7
	v_lshlrev_b32_e32 v3, 26, v25
	v_ashrrev_i32_e32 v2, 31, v2
	v_mul_u32_u24_e32 v1, 6, v1
	v_xor_b32_e32 v0, s12, v0
	v_cmp_gt_i32_e64 s12, 0, v4
	v_not_b32_e32 v4, v5
	v_xor_b32_e32 v7, s13, v7
	v_cmp_gt_i32_e64 s13, 0, v5
	v_and_b32_e32 v0, exec_lo, v0
	v_not_b32_e32 v5, v6
	v_ashrrev_i32_e32 v4, 31, v4
	v_xor_b32_e32 v2, s12, v2
	v_cmp_gt_i32_e64 s12, 0, v6
	v_and_b32_e32 v0, v0, v7
	v_lshlrev_b32_e32 v7, 25, v25
	v_ashrrev_i32_e32 v5, 31, v5
	v_xor_b32_e32 v4, s13, v4
	v_not_b32_e32 v6, v3
	v_and_b32_e32 v0, v0, v2
	v_lshlrev_b32_e32 v2, 24, v25
	v_not_b32_e32 v38, v7
	v_xor_b32_e32 v5, s12, v5
	v_cmp_gt_i32_e64 s12, 0, v3
	v_and_b32_e32 v0, v0, v4
	v_ashrrev_i32_e32 v3, 31, v6
	v_cmp_gt_i32_e64 s13, 0, v7
	v_ashrrev_i32_e32 v4, 31, v38
	v_add_lshl_u32 v1, v17, v1, 2
	v_and_b32_e32 v0, v0, v5
	v_not_b32_e32 v5, v2
	v_xor_b32_e32 v3, s12, v3
	v_xor_b32_e32 v4, s13, v4
	v_cmp_gt_i32_e64 s12, 0, v2
	s_delay_alu instid0(VALU_DEP_4) | instskip(NEXT) | instid1(VALU_DEP_4)
	v_ashrrev_i32_e32 v2, 31, v5
	v_and_b32_e32 v0, v0, v3
	; wave barrier
	ds_load_b32 v38, v1 offset:24
	v_add_nc_u32_e32 v40, 24, v1
	v_xor_b32_e32 v2, s12, v2
	v_and_b32_e32 v0, v0, v4
	; wave barrier
	s_delay_alu instid0(VALU_DEP_1) | instskip(NEXT) | instid1(VALU_DEP_1)
	v_and_b32_e32 v0, v0, v2
	v_mbcnt_lo_u32_b32 v39, v0, 0
	v_cmp_ne_u32_e64 s13, 0, v0
	s_delay_alu instid0(VALU_DEP_2) | instskip(NEXT) | instid1(VALU_DEP_1)
	v_cmp_eq_u32_e64 s12, 0, v39
	s_and_b32 s13, s13, s12
	s_delay_alu instid0(SALU_CYCLE_1)
	s_and_saveexec_b32 s12, s13
	s_cbranch_execz .LBB262_10
; %bb.9:                                ;   in Loop: Header=BB262_2 Depth=1
	s_waitcnt lgkmcnt(0)
	v_bcnt_u32_b32 v0, v0, v38
	ds_store_b32 v40, v0
.LBB262_10:                             ;   in Loop: Header=BB262_2 Depth=1
	s_or_b32 exec_lo, exec_lo, s12
	v_and_b32_e32 v0, 1, v26
	v_lshlrev_b32_e32 v2, 30, v26
	v_lshlrev_b32_e32 v4, 29, v26
	;; [unrolled: 1-line block ×4, first 2 shown]
	v_add_co_u32 v0, s12, v0, -1
	s_delay_alu instid0(VALU_DEP_1)
	v_cndmask_b32_e64 v3, 0, 1, s12
	v_not_b32_e32 v7, v2
	v_cmp_gt_i32_e64 s13, 0, v2
	v_not_b32_e32 v2, v4
	v_and_b32_e32 v1, 0xff, v26
	v_cmp_ne_u32_e64 s12, 0, v3
	v_ashrrev_i32_e32 v7, 31, v7
	v_lshlrev_b32_e32 v3, 26, v26
	v_ashrrev_i32_e32 v2, 31, v2
	v_mul_u32_u24_e32 v1, 6, v1
	v_xor_b32_e32 v0, s12, v0
	v_cmp_gt_i32_e64 s12, 0, v4
	v_not_b32_e32 v4, v5
	v_xor_b32_e32 v7, s13, v7
	v_cmp_gt_i32_e64 s13, 0, v5
	v_and_b32_e32 v0, exec_lo, v0
	v_not_b32_e32 v5, v6
	v_ashrrev_i32_e32 v4, 31, v4
	v_xor_b32_e32 v2, s12, v2
	v_cmp_gt_i32_e64 s12, 0, v6
	v_and_b32_e32 v0, v0, v7
	v_lshlrev_b32_e32 v7, 25, v26
	v_ashrrev_i32_e32 v5, 31, v5
	v_xor_b32_e32 v4, s13, v4
	v_not_b32_e32 v6, v3
	v_and_b32_e32 v0, v0, v2
	v_lshlrev_b32_e32 v2, 24, v26
	v_not_b32_e32 v41, v7
	v_xor_b32_e32 v5, s12, v5
	v_cmp_gt_i32_e64 s12, 0, v3
	v_and_b32_e32 v0, v0, v4
	v_ashrrev_i32_e32 v3, 31, v6
	v_cmp_gt_i32_e64 s13, 0, v7
	v_ashrrev_i32_e32 v4, 31, v41
	v_add_lshl_u32 v1, v17, v1, 2
	v_and_b32_e32 v0, v0, v5
	v_not_b32_e32 v5, v2
	v_xor_b32_e32 v3, s12, v3
	v_xor_b32_e32 v4, s13, v4
	v_cmp_gt_i32_e64 s12, 0, v2
	s_delay_alu instid0(VALU_DEP_4) | instskip(NEXT) | instid1(VALU_DEP_4)
	v_ashrrev_i32_e32 v2, 31, v5
	v_and_b32_e32 v0, v0, v3
	; wave barrier
	ds_load_b32 v41, v1 offset:24
	v_add_nc_u32_e32 v43, 24, v1
	v_xor_b32_e32 v2, s12, v2
	v_and_b32_e32 v0, v0, v4
	; wave barrier
	s_delay_alu instid0(VALU_DEP_1) | instskip(NEXT) | instid1(VALU_DEP_1)
	v_and_b32_e32 v0, v0, v2
	v_mbcnt_lo_u32_b32 v42, v0, 0
	v_cmp_ne_u32_e64 s13, 0, v0
	s_delay_alu instid0(VALU_DEP_2) | instskip(NEXT) | instid1(VALU_DEP_1)
	v_cmp_eq_u32_e64 s12, 0, v42
	s_and_b32 s13, s13, s12
	s_delay_alu instid0(SALU_CYCLE_1)
	s_and_saveexec_b32 s12, s13
	s_cbranch_execz .LBB262_12
; %bb.11:                               ;   in Loop: Header=BB262_2 Depth=1
	s_waitcnt lgkmcnt(0)
	v_bcnt_u32_b32 v0, v0, v41
	ds_store_b32 v43, v0
.LBB262_12:                             ;   in Loop: Header=BB262_2 Depth=1
	s_or_b32 exec_lo, exec_lo, s12
	v_and_b32_e32 v0, 1, v27
	v_lshlrev_b32_e32 v2, 30, v27
	v_lshlrev_b32_e32 v4, 29, v27
	;; [unrolled: 1-line block ×4, first 2 shown]
	v_add_co_u32 v0, s12, v0, -1
	s_delay_alu instid0(VALU_DEP_1)
	v_cndmask_b32_e64 v3, 0, 1, s12
	v_not_b32_e32 v7, v2
	v_cmp_gt_i32_e64 s13, 0, v2
	v_not_b32_e32 v2, v4
	v_and_b32_e32 v1, 0xff, v27
	v_cmp_ne_u32_e64 s12, 0, v3
	v_ashrrev_i32_e32 v7, 31, v7
	v_lshlrev_b32_e32 v3, 26, v27
	v_ashrrev_i32_e32 v2, 31, v2
	v_mul_u32_u24_e32 v1, 6, v1
	v_xor_b32_e32 v0, s12, v0
	v_cmp_gt_i32_e64 s12, 0, v4
	v_not_b32_e32 v4, v5
	v_xor_b32_e32 v7, s13, v7
	v_cmp_gt_i32_e64 s13, 0, v5
	v_and_b32_e32 v0, exec_lo, v0
	v_not_b32_e32 v5, v6
	v_ashrrev_i32_e32 v4, 31, v4
	v_xor_b32_e32 v2, s12, v2
	v_cmp_gt_i32_e64 s12, 0, v6
	v_and_b32_e32 v0, v0, v7
	v_lshlrev_b32_e32 v7, 25, v27
	v_ashrrev_i32_e32 v5, 31, v5
	v_xor_b32_e32 v4, s13, v4
	v_not_b32_e32 v6, v3
	v_and_b32_e32 v0, v0, v2
	v_lshlrev_b32_e32 v2, 24, v27
	v_not_b32_e32 v44, v7
	v_xor_b32_e32 v5, s12, v5
	v_cmp_gt_i32_e64 s12, 0, v3
	v_and_b32_e32 v0, v0, v4
	v_ashrrev_i32_e32 v3, 31, v6
	v_cmp_gt_i32_e64 s13, 0, v7
	v_ashrrev_i32_e32 v4, 31, v44
	v_add_lshl_u32 v1, v17, v1, 2
	v_and_b32_e32 v0, v0, v5
	v_not_b32_e32 v5, v2
	v_xor_b32_e32 v3, s12, v3
	v_xor_b32_e32 v4, s13, v4
	v_cmp_gt_i32_e64 s12, 0, v2
	s_delay_alu instid0(VALU_DEP_4) | instskip(NEXT) | instid1(VALU_DEP_4)
	v_ashrrev_i32_e32 v2, 31, v5
	v_and_b32_e32 v0, v0, v3
	; wave barrier
	ds_load_b32 v44, v1 offset:24
	v_add_nc_u32_e32 v46, 24, v1
	v_xor_b32_e32 v2, s12, v2
	v_and_b32_e32 v0, v0, v4
	; wave barrier
	s_delay_alu instid0(VALU_DEP_1) | instskip(NEXT) | instid1(VALU_DEP_1)
	v_and_b32_e32 v0, v0, v2
	v_mbcnt_lo_u32_b32 v45, v0, 0
	v_cmp_ne_u32_e64 s13, 0, v0
	s_delay_alu instid0(VALU_DEP_2) | instskip(NEXT) | instid1(VALU_DEP_1)
	v_cmp_eq_u32_e64 s12, 0, v45
	s_and_b32 s13, s13, s12
	s_delay_alu instid0(SALU_CYCLE_1)
	s_and_saveexec_b32 s12, s13
	s_cbranch_execz .LBB262_14
; %bb.13:                               ;   in Loop: Header=BB262_2 Depth=1
	s_waitcnt lgkmcnt(0)
	v_bcnt_u32_b32 v0, v0, v44
	ds_store_b32 v46, v0
.LBB262_14:                             ;   in Loop: Header=BB262_2 Depth=1
	s_or_b32 exec_lo, exec_lo, s12
	v_and_b32_e32 v0, 1, v28
	v_lshlrev_b32_e32 v2, 30, v28
	v_lshlrev_b32_e32 v4, 29, v28
	;; [unrolled: 1-line block ×4, first 2 shown]
	v_add_co_u32 v0, s12, v0, -1
	s_delay_alu instid0(VALU_DEP_1)
	v_cndmask_b32_e64 v3, 0, 1, s12
	v_not_b32_e32 v7, v2
	v_cmp_gt_i32_e64 s13, 0, v2
	v_not_b32_e32 v2, v4
	v_and_b32_e32 v1, 0xff, v28
	v_cmp_ne_u32_e64 s12, 0, v3
	v_ashrrev_i32_e32 v7, 31, v7
	v_lshlrev_b32_e32 v3, 26, v28
	v_ashrrev_i32_e32 v2, 31, v2
	v_mul_u32_u24_e32 v1, 6, v1
	v_xor_b32_e32 v0, s12, v0
	v_cmp_gt_i32_e64 s12, 0, v4
	v_not_b32_e32 v4, v5
	v_xor_b32_e32 v7, s13, v7
	v_cmp_gt_i32_e64 s13, 0, v5
	v_and_b32_e32 v0, exec_lo, v0
	v_not_b32_e32 v5, v6
	v_ashrrev_i32_e32 v4, 31, v4
	v_xor_b32_e32 v2, s12, v2
	v_cmp_gt_i32_e64 s12, 0, v6
	v_and_b32_e32 v0, v0, v7
	v_lshlrev_b32_e32 v7, 25, v28
	v_ashrrev_i32_e32 v5, 31, v5
	v_xor_b32_e32 v4, s13, v4
	v_not_b32_e32 v6, v3
	v_and_b32_e32 v0, v0, v2
	v_lshlrev_b32_e32 v2, 24, v28
	v_not_b32_e32 v47, v7
	v_xor_b32_e32 v5, s12, v5
	v_cmp_gt_i32_e64 s12, 0, v3
	v_and_b32_e32 v0, v0, v4
	v_ashrrev_i32_e32 v3, 31, v6
	v_cmp_gt_i32_e64 s13, 0, v7
	v_ashrrev_i32_e32 v4, 31, v47
	v_add_lshl_u32 v1, v17, v1, 2
	v_and_b32_e32 v0, v0, v5
	v_not_b32_e32 v5, v2
	v_xor_b32_e32 v3, s12, v3
	v_xor_b32_e32 v4, s13, v4
	v_cmp_gt_i32_e64 s12, 0, v2
	s_delay_alu instid0(VALU_DEP_4) | instskip(NEXT) | instid1(VALU_DEP_4)
	v_ashrrev_i32_e32 v2, 31, v5
	v_and_b32_e32 v0, v0, v3
	; wave barrier
	ds_load_b32 v47, v1 offset:24
	v_add_nc_u32_e32 v49, 24, v1
	v_xor_b32_e32 v2, s12, v2
	v_and_b32_e32 v0, v0, v4
	; wave barrier
	s_delay_alu instid0(VALU_DEP_1) | instskip(NEXT) | instid1(VALU_DEP_1)
	v_and_b32_e32 v0, v0, v2
	v_mbcnt_lo_u32_b32 v48, v0, 0
	v_cmp_ne_u32_e64 s13, 0, v0
	s_delay_alu instid0(VALU_DEP_2) | instskip(NEXT) | instid1(VALU_DEP_1)
	v_cmp_eq_u32_e64 s12, 0, v48
	s_and_b32 s13, s13, s12
	s_delay_alu instid0(SALU_CYCLE_1)
	s_and_saveexec_b32 s12, s13
	s_cbranch_execz .LBB262_16
; %bb.15:                               ;   in Loop: Header=BB262_2 Depth=1
	s_waitcnt lgkmcnt(0)
	v_bcnt_u32_b32 v0, v0, v47
	ds_store_b32 v49, v0
.LBB262_16:                             ;   in Loop: Header=BB262_2 Depth=1
	s_or_b32 exec_lo, exec_lo, s12
	v_and_b32_e32 v0, 1, v29
	v_lshlrev_b32_e32 v2, 30, v29
	v_lshlrev_b32_e32 v4, 29, v29
	;; [unrolled: 1-line block ×4, first 2 shown]
	v_add_co_u32 v0, s12, v0, -1
	s_delay_alu instid0(VALU_DEP_1)
	v_cndmask_b32_e64 v3, 0, 1, s12
	v_not_b32_e32 v7, v2
	v_cmp_gt_i32_e64 s13, 0, v2
	v_not_b32_e32 v2, v4
	v_and_b32_e32 v1, 0xff, v29
	v_cmp_ne_u32_e64 s12, 0, v3
	v_ashrrev_i32_e32 v7, 31, v7
	v_lshlrev_b32_e32 v3, 26, v29
	v_ashrrev_i32_e32 v2, 31, v2
	v_mul_u32_u24_e32 v1, 6, v1
	v_xor_b32_e32 v0, s12, v0
	v_cmp_gt_i32_e64 s12, 0, v4
	v_not_b32_e32 v4, v5
	v_xor_b32_e32 v7, s13, v7
	v_cmp_gt_i32_e64 s13, 0, v5
	v_and_b32_e32 v0, exec_lo, v0
	v_not_b32_e32 v5, v6
	v_ashrrev_i32_e32 v4, 31, v4
	v_xor_b32_e32 v2, s12, v2
	v_cmp_gt_i32_e64 s12, 0, v6
	v_and_b32_e32 v0, v0, v7
	v_lshlrev_b32_e32 v7, 25, v29
	v_ashrrev_i32_e32 v5, 31, v5
	v_xor_b32_e32 v4, s13, v4
	v_not_b32_e32 v6, v3
	v_and_b32_e32 v0, v0, v2
	v_lshlrev_b32_e32 v2, 24, v29
	v_not_b32_e32 v50, v7
	v_xor_b32_e32 v5, s12, v5
	v_cmp_gt_i32_e64 s12, 0, v3
	v_and_b32_e32 v0, v0, v4
	v_ashrrev_i32_e32 v3, 31, v6
	v_cmp_gt_i32_e64 s13, 0, v7
	v_ashrrev_i32_e32 v4, 31, v50
	v_add_lshl_u32 v1, v17, v1, 2
	v_and_b32_e32 v0, v0, v5
	v_not_b32_e32 v5, v2
	v_xor_b32_e32 v3, s12, v3
	v_xor_b32_e32 v4, s13, v4
	v_cmp_gt_i32_e64 s12, 0, v2
	s_delay_alu instid0(VALU_DEP_4) | instskip(NEXT) | instid1(VALU_DEP_4)
	v_ashrrev_i32_e32 v2, 31, v5
	v_and_b32_e32 v0, v0, v3
	; wave barrier
	ds_load_b32 v50, v1 offset:24
	v_add_nc_u32_e32 v52, 24, v1
	v_xor_b32_e32 v2, s12, v2
	v_and_b32_e32 v0, v0, v4
	; wave barrier
	s_delay_alu instid0(VALU_DEP_1) | instskip(NEXT) | instid1(VALU_DEP_1)
	v_and_b32_e32 v0, v0, v2
	v_mbcnt_lo_u32_b32 v51, v0, 0
	v_cmp_ne_u32_e64 s13, 0, v0
	s_delay_alu instid0(VALU_DEP_2) | instskip(NEXT) | instid1(VALU_DEP_1)
	v_cmp_eq_u32_e64 s12, 0, v51
	s_and_b32 s13, s13, s12
	s_delay_alu instid0(SALU_CYCLE_1)
	s_and_saveexec_b32 s12, s13
	s_cbranch_execz .LBB262_18
; %bb.17:                               ;   in Loop: Header=BB262_2 Depth=1
	s_waitcnt lgkmcnt(0)
	v_bcnt_u32_b32 v0, v0, v50
	ds_store_b32 v52, v0
.LBB262_18:                             ;   in Loop: Header=BB262_2 Depth=1
	s_or_b32 exec_lo, exec_lo, s12
	; wave barrier
	s_waitcnt lgkmcnt(0)
	s_barrier
	buffer_gl0_inv
	ds_load_2addr_b64 v[4:7], v13 offset0:3 offset1:4
	ds_load_2addr_b64 v[0:3], v16 offset0:2 offset1:3
	s_waitcnt lgkmcnt(1)
	v_add_nc_u32_e32 v53, v5, v4
	s_delay_alu instid0(VALU_DEP_1) | instskip(SKIP_1) | instid1(VALU_DEP_1)
	v_add3_u32 v53, v53, v6, v7
	s_waitcnt lgkmcnt(0)
	v_add3_u32 v53, v53, v0, v1
	s_delay_alu instid0(VALU_DEP_1) | instskip(NEXT) | instid1(VALU_DEP_1)
	v_add3_u32 v3, v53, v2, v3
	v_mov_b32_dpp v53, v3 row_shr:1 row_mask:0xf bank_mask:0xf
	s_delay_alu instid0(VALU_DEP_1) | instskip(NEXT) | instid1(VALU_DEP_1)
	v_cndmask_b32_e64 v53, v53, 0, vcc_lo
	v_add_nc_u32_e32 v3, v53, v3
	s_delay_alu instid0(VALU_DEP_1) | instskip(NEXT) | instid1(VALU_DEP_1)
	v_mov_b32_dpp v53, v3 row_shr:2 row_mask:0xf bank_mask:0xf
	v_cndmask_b32_e64 v53, 0, v53, s0
	s_delay_alu instid0(VALU_DEP_1) | instskip(NEXT) | instid1(VALU_DEP_1)
	v_add_nc_u32_e32 v3, v3, v53
	v_mov_b32_dpp v53, v3 row_shr:4 row_mask:0xf bank_mask:0xf
	s_delay_alu instid0(VALU_DEP_1) | instskip(NEXT) | instid1(VALU_DEP_1)
	v_cndmask_b32_e64 v53, 0, v53, s1
	v_add_nc_u32_e32 v3, v3, v53
	s_delay_alu instid0(VALU_DEP_1) | instskip(NEXT) | instid1(VALU_DEP_1)
	v_mov_b32_dpp v53, v3 row_shr:8 row_mask:0xf bank_mask:0xf
	v_cndmask_b32_e64 v53, 0, v53, s2
	s_delay_alu instid0(VALU_DEP_1) | instskip(SKIP_3) | instid1(VALU_DEP_1)
	v_add_nc_u32_e32 v3, v3, v53
	ds_swizzle_b32 v53, v3 offset:swizzle(BROADCAST,32,15)
	s_waitcnt lgkmcnt(0)
	v_cndmask_b32_e64 v53, v53, 0, s3
	v_add_nc_u32_e32 v3, v3, v53
	s_and_saveexec_b32 s12, s4
	s_cbranch_execz .LBB262_20
; %bb.19:                               ;   in Loop: Header=BB262_2 Depth=1
	ds_store_b32 v19, v3
.LBB262_20:                             ;   in Loop: Header=BB262_2 Depth=1
	s_or_b32 exec_lo, exec_lo, s12
	s_waitcnt lgkmcnt(0)
	s_barrier
	buffer_gl0_inv
	s_and_saveexec_b32 s12, s5
	s_cbranch_execz .LBB262_22
; %bb.21:                               ;   in Loop: Header=BB262_2 Depth=1
	ds_load_b32 v53, v21
	s_waitcnt lgkmcnt(0)
	v_mov_b32_dpp v54, v53 row_shr:1 row_mask:0xf bank_mask:0xf
	s_delay_alu instid0(VALU_DEP_1) | instskip(NEXT) | instid1(VALU_DEP_1)
	v_cndmask_b32_e64 v54, v54, 0, s9
	v_add_nc_u32_e32 v53, v54, v53
	s_delay_alu instid0(VALU_DEP_1) | instskip(NEXT) | instid1(VALU_DEP_1)
	v_mov_b32_dpp v54, v53 row_shr:2 row_mask:0xf bank_mask:0xf
	v_cndmask_b32_e64 v54, 0, v54, s10
	s_delay_alu instid0(VALU_DEP_1) | instskip(NEXT) | instid1(VALU_DEP_1)
	v_add_nc_u32_e32 v53, v53, v54
	v_mov_b32_dpp v54, v53 row_shr:4 row_mask:0xf bank_mask:0xf
	s_delay_alu instid0(VALU_DEP_1) | instskip(NEXT) | instid1(VALU_DEP_1)
	v_cndmask_b32_e64 v54, 0, v54, s11
	v_add_nc_u32_e32 v53, v53, v54
	ds_store_b32 v21, v53
.LBB262_22:                             ;   in Loop: Header=BB262_2 Depth=1
	s_or_b32 exec_lo, exec_lo, s12
	v_mov_b32_e32 v53, 0
	s_waitcnt lgkmcnt(0)
	s_barrier
	buffer_gl0_inv
	s_and_saveexec_b32 s12, s6
	s_cbranch_execz .LBB262_1
; %bb.23:                               ;   in Loop: Header=BB262_2 Depth=1
	ds_load_b32 v53, v20
	s_branch .LBB262_1
.LBB262_24:
	s_add_u32 s0, s18, s14
	s_addc_u32 s1, s19, 0
	s_clause 0x7
	global_store_b8 v8, v0, s[0:1]
	global_store_b8 v8, v3, s[0:1] offset:192
	global_store_b8 v8, v4, s[0:1] offset:384
	;; [unrolled: 1-line block ×7, first 2 shown]
	s_nop 0
	s_sendmsg sendmsg(MSG_DEALLOC_VGPRS)
	s_endpgm
	.section	.rodata,"a",@progbits
	.p2align	6, 0x0
	.amdhsa_kernel _Z16sort_keys_kernelI22helper_blocked_stripedaLj192ELj8ELj10EEvPKT0_PS1_
		.amdhsa_group_segment_fixed_size 6176
		.amdhsa_private_segment_fixed_size 0
		.amdhsa_kernarg_size 272
		.amdhsa_user_sgpr_count 15
		.amdhsa_user_sgpr_dispatch_ptr 0
		.amdhsa_user_sgpr_queue_ptr 0
		.amdhsa_user_sgpr_kernarg_segment_ptr 1
		.amdhsa_user_sgpr_dispatch_id 0
		.amdhsa_user_sgpr_private_segment_size 0
		.amdhsa_wavefront_size32 1
		.amdhsa_uses_dynamic_stack 0
		.amdhsa_enable_private_segment 0
		.amdhsa_system_sgpr_workgroup_id_x 1
		.amdhsa_system_sgpr_workgroup_id_y 0
		.amdhsa_system_sgpr_workgroup_id_z 0
		.amdhsa_system_sgpr_workgroup_info 0
		.amdhsa_system_vgpr_workitem_id 2
		.amdhsa_next_free_vgpr 55
		.amdhsa_next_free_sgpr 20
		.amdhsa_reserve_vcc 1
		.amdhsa_float_round_mode_32 0
		.amdhsa_float_round_mode_16_64 0
		.amdhsa_float_denorm_mode_32 3
		.amdhsa_float_denorm_mode_16_64 3
		.amdhsa_dx10_clamp 1
		.amdhsa_ieee_mode 1
		.amdhsa_fp16_overflow 0
		.amdhsa_workgroup_processor_mode 1
		.amdhsa_memory_ordered 1
		.amdhsa_forward_progress 0
		.amdhsa_shared_vgpr_count 0
		.amdhsa_exception_fp_ieee_invalid_op 0
		.amdhsa_exception_fp_denorm_src 0
		.amdhsa_exception_fp_ieee_div_zero 0
		.amdhsa_exception_fp_ieee_overflow 0
		.amdhsa_exception_fp_ieee_underflow 0
		.amdhsa_exception_fp_ieee_inexact 0
		.amdhsa_exception_int_div_zero 0
	.end_amdhsa_kernel
	.section	.text._Z16sort_keys_kernelI22helper_blocked_stripedaLj192ELj8ELj10EEvPKT0_PS1_,"axG",@progbits,_Z16sort_keys_kernelI22helper_blocked_stripedaLj192ELj8ELj10EEvPKT0_PS1_,comdat
.Lfunc_end262:
	.size	_Z16sort_keys_kernelI22helper_blocked_stripedaLj192ELj8ELj10EEvPKT0_PS1_, .Lfunc_end262-_Z16sort_keys_kernelI22helper_blocked_stripedaLj192ELj8ELj10EEvPKT0_PS1_
                                        ; -- End function
	.section	.AMDGPU.csdata,"",@progbits
; Kernel info:
; codeLenInByte = 4584
; NumSgprs: 22
; NumVgprs: 55
; ScratchSize: 0
; MemoryBound: 0
; FloatMode: 240
; IeeeMode: 1
; LDSByteSize: 6176 bytes/workgroup (compile time only)
; SGPRBlocks: 2
; VGPRBlocks: 6
; NumSGPRsForWavesPerEU: 22
; NumVGPRsForWavesPerEU: 55
; Occupancy: 15
; WaveLimiterHint : 1
; COMPUTE_PGM_RSRC2:SCRATCH_EN: 0
; COMPUTE_PGM_RSRC2:USER_SGPR: 15
; COMPUTE_PGM_RSRC2:TRAP_HANDLER: 0
; COMPUTE_PGM_RSRC2:TGID_X_EN: 1
; COMPUTE_PGM_RSRC2:TGID_Y_EN: 0
; COMPUTE_PGM_RSRC2:TGID_Z_EN: 0
; COMPUTE_PGM_RSRC2:TIDIG_COMP_CNT: 2
	.section	.text._Z17sort_pairs_kernelI22helper_blocked_stripedaLj192ELj8ELj10EEvPKT0_PS1_,"axG",@progbits,_Z17sort_pairs_kernelI22helper_blocked_stripedaLj192ELj8ELj10EEvPKT0_PS1_,comdat
	.protected	_Z17sort_pairs_kernelI22helper_blocked_stripedaLj192ELj8ELj10EEvPKT0_PS1_ ; -- Begin function _Z17sort_pairs_kernelI22helper_blocked_stripedaLj192ELj8ELj10EEvPKT0_PS1_
	.globl	_Z17sort_pairs_kernelI22helper_blocked_stripedaLj192ELj8ELj10EEvPKT0_PS1_
	.p2align	8
	.type	_Z17sort_pairs_kernelI22helper_blocked_stripedaLj192ELj8ELj10EEvPKT0_PS1_,@function
_Z17sort_pairs_kernelI22helper_blocked_stripedaLj192ELj8ELj10EEvPKT0_PS1_: ; @_Z17sort_pairs_kernelI22helper_blocked_stripedaLj192ELj8ELj10EEvPKT0_PS1_
; %bb.0:
	s_clause 0x1
	s_load_b128 s[16:19], s[0:1], 0x0
	s_load_b32 s11, s[0:1], 0x1c
	v_and_b32_e32 v8, 0x3ff, v0
	s_mul_i32 s14, s15, 0x600
	v_mbcnt_lo_u32_b32 v4, -1, 0
	v_bfe_u32 v5, v0, 10, 10
	v_bfe_u32 v0, v0, 20, 10
	v_lshlrev_b32_e32 v3, 3, v8
	s_mov_b32 s15, 10
	v_add_nc_u32_e32 v14, -1, v4
	v_and_b32_e32 v6, 15, v4
	v_and_b32_e32 v7, 16, v4
	v_cmp_eq_u32_e32 vcc_lo, 0, v4
	v_and_b32_e32 v15, 7, v4
	v_cmp_gt_i32_e64 s7, 0, v14
	s_delay_alu instid0(VALU_DEP_4) | instskip(NEXT) | instid1(VALU_DEP_3)
	v_cmp_eq_u32_e64 s4, 0, v7
	v_cmp_eq_u32_e64 s8, 0, v15
	v_cmp_lt_u32_e64 s9, 1, v15
	s_waitcnt lgkmcnt(0)
	s_add_u32 s0, s16, s14
	s_addc_u32 s1, s17, 0
	s_lshr_b32 s12, s11, 16
	global_load_b64 v[1:2], v3, s[0:1]
	s_mov_b32 s0, 0
	v_mad_u32_u24 v0, v0, s12, v5
	s_mov_b32 s1, s0
	s_mov_b32 s2, s0
	v_dual_mov_b32 v10, s1 :: v_dual_mov_b32 v9, s0
	v_and_b32_e32 v16, 0xe0, v8
	s_mov_b32 s3, s0
	v_cmp_eq_u32_e64 s0, 0, v6
	v_dual_mov_b32 v12, s3 :: v_dual_mov_b32 v11, s2
	v_cmp_lt_u32_e64 s1, 1, v6
	v_cmp_lt_u32_e64 s2, 3, v6
	;; [unrolled: 1-line block ×3, first 2 shown]
	v_cndmask_b32_e64 v6, v14, v4, s7
	v_lshrrev_b32_e32 v7, 3, v8
	v_or_b32_e32 v18, v4, v16
	v_and_or_b32 v14, 0x700, v3, v4
	v_min_u32_e32 v19, 0xa0, v16
	v_lshlrev_b32_e32 v16, 2, v6
	v_and_b32_e32 v17, 28, v7
	s_and_b32 s11, s11, 0xffff
	v_lshlrev_b32_e32 v13, 5, v8
	v_mul_u32_u24_e32 v21, 3, v8
	v_cmp_gt_u32_e64 s5, 6, v8
	v_cmp_lt_u32_e64 s6, 31, v8
	v_cmp_eq_u32_e64 s7, 0, v8
	v_cmp_lt_u32_e64 s10, 3, v15
	v_or_b32_e32 v15, 24, v13
	v_lshlrev_b32_e32 v18, 3, v18
	v_add_nc_u32_e32 v21, v8, v21
	s_waitcnt vmcnt(0)
	v_lshrrev_b32_e32 v4, 16, v1
	v_lshrrev_b32_e32 v20, 16, v2
	;; [unrolled: 1-line block ×6, first 2 shown]
	v_add_nc_u16 v23, v1, 1
	v_add_nc_u16 v24, v2, 1
	;; [unrolled: 1-line block ×4, first 2 shown]
	v_lshlrev_b16 v3, 8, v3
	v_lshlrev_b16 v6, 8, v6
	;; [unrolled: 1-line block ×4, first 2 shown]
	v_and_b32_e32 v23, 0xff, v23
	v_and_b32_e32 v24, 0xff, v24
	;; [unrolled: 1-line block ×4, first 2 shown]
	s_delay_alu instid0(VALU_DEP_4) | instskip(NEXT) | instid1(VALU_DEP_4)
	v_or_b32_e32 v5, v3, v23
	v_or_b32_e32 v7, v7, v24
	s_delay_alu instid0(VALU_DEP_4) | instskip(NEXT) | instid1(VALU_DEP_4)
	v_or_b32_e32 v6, v6, v4
	v_or_b32_e32 v20, v22, v20
	v_mad_u64_u32 v[3:4], null, v0, s11, v[8:9]
	v_add_nc_u16 v0, v5, 0x100
	v_add_nc_u16 v4, v7, 0x100
	;; [unrolled: 1-line block ×4, first 2 shown]
	v_or_b32_e32 v7, 31, v19
	v_and_b32_e32 v0, 0xffff, v0
	v_and_b32_e32 v4, 0xffff, v4
	v_lshlrev_b32_e32 v5, 16, v5
	v_lshlrev_b32_e32 v6, 16, v6
	v_add_nc_u32_e32 v19, -4, v17
	v_cmp_eq_u32_e64 s11, v7, v8
	v_lshrrev_b32_e32 v20, 5, v3
	v_or_b32_e32 v3, v0, v5
	v_or_b32_e32 v4, v4, v6
	s_branch .LBB263_2
.LBB263_1:                              ;   in Loop: Header=BB263_2 Depth=1
	s_or_b32 exec_lo, exec_lo, s12
	s_waitcnt lgkmcnt(0)
	v_add_nc_u32_e32 v3, v61, v3
	s_add_i32 s15, s15, -1
	s_delay_alu instid0(SALU_CYCLE_1) | instskip(SKIP_3) | instid1(VALU_DEP_1)
	s_cmp_eq_u32 s15, 0
	ds_bpermute_b32 v3, v16, v3
	s_waitcnt lgkmcnt(0)
	v_cndmask_b32_e32 v3, v3, v61, vcc_lo
	v_cndmask_b32_e64 v3, v3, 0, s7
	s_delay_alu instid0(VALU_DEP_1) | instskip(NEXT) | instid1(VALU_DEP_1)
	v_add_nc_u32_e32 v4, v3, v4
	v_add_nc_u32_e32 v5, v4, v5
	s_delay_alu instid0(VALU_DEP_1) | instskip(NEXT) | instid1(VALU_DEP_1)
	v_add_nc_u32_e32 v6, v5, v6
	v_add_nc_u32_e32 v61, v6, v7
	;; [unrolled: 3-line block ×3, first 2 shown]
	s_delay_alu instid0(VALU_DEP_1)
	v_add_nc_u32_e32 v1, v0, v2
	ds_store_2addr_b64 v13, v[3:4], v[5:6] offset0:3 offset1:4
	ds_store_2addr_b64 v15, v[61:62], v[0:1] offset0:2 offset1:3
	s_waitcnt lgkmcnt(0)
	s_barrier
	buffer_gl0_inv
	ds_load_b32 v0, v39
	ds_load_b32 v1, v42
	;; [unrolled: 1-line block ×8, first 2 shown]
	s_waitcnt lgkmcnt(0)
	s_barrier
	buffer_gl0_inv
	v_add_nc_u32_e32 v0, v0, v38
	v_add3_u32 v1, v41, v40, v1
	v_add3_u32 v2, v44, v43, v2
	;; [unrolled: 1-line block ×7, first 2 shown]
	ds_store_b8 v0, v22
	ds_store_b8 v1, v23
	ds_store_b8 v2, v24
	ds_store_b8 v3, v25
	ds_store_b8 v4, v26
	ds_store_b8 v5, v27
	ds_store_b8 v6, v28
	ds_store_b8 v7, v29
	s_waitcnt lgkmcnt(0)
	s_barrier
	buffer_gl0_inv
	ds_load_u8 v26, v8
	ds_load_u8 v28, v8 offset:192
	ds_load_u8 v29, v8 offset:384
	;; [unrolled: 1-line block ×7, first 2 shown]
	s_waitcnt lgkmcnt(0)
	s_barrier
	buffer_gl0_inv
	ds_store_b8 v0, v30
	ds_store_b8 v1, v31
	;; [unrolled: 1-line block ×8, first 2 shown]
	s_waitcnt lgkmcnt(0)
	s_barrier
	buffer_gl0_inv
	ds_load_u8 v5, v8 offset:192
	ds_load_u8 v6, v8 offset:576
	ds_load_u8 v7, v8 offset:960
	ds_load_u8 v0, v8 offset:1344
	ds_load_u8 v25, v8
	ds_load_u8 v24, v8 offset:384
	ds_load_u8 v23, v8 offset:768
	;; [unrolled: 1-line block ×3, first 2 shown]
	v_xor_b32_e32 v27, 0xffffff80, v26
	v_xor_b32_e32 v28, 0xffffff80, v28
	v_xor_b32_e32 v29, 0xffffff80, v29
	v_xor_b32_e32 v30, 0xffffff80, v38
	v_xor_b32_e32 v31, 0xffffff80, v39
	v_xor_b32_e32 v32, 0xffffff80, v40
	v_xor_b32_e32 v33, 0xffffff80, v41
	v_xor_b32_e32 v26, 0xffffff80, v42
	s_waitcnt lgkmcnt(7)
	v_lshlrev_b16 v1, 8, v5
	s_waitcnt lgkmcnt(6)
	v_lshlrev_b16 v2, 8, v6
	;; [unrolled: 2-line block ×4, first 2 shown]
	v_lshlrev_b16 v34, 8, v28
	v_and_b32_e32 v35, 0xff, v27
	v_lshlrev_b16 v36, 8, v30
	v_and_b32_e32 v37, 0xff, v29
	;; [unrolled: 2-line block ×4, first 2 shown]
	s_waitcnt lgkmcnt(3)
	v_or_b32_e32 v1, v25, v1
	s_waitcnt lgkmcnt(2)
	v_or_b32_e32 v2, v24, v2
	;; [unrolled: 2-line block ×4, first 2 shown]
	v_or_b32_e32 v34, v35, v34
	v_or_b32_e32 v35, v37, v36
	;; [unrolled: 1-line block ×4, first 2 shown]
	v_and_b32_e32 v1, 0xffff, v1
	v_lshlrev_b32_e32 v2, 16, v2
	v_and_b32_e32 v38, 0xffff, v3
	v_lshlrev_b32_e32 v4, 16, v4
	;; [unrolled: 2-line block ×4, first 2 shown]
	v_or_b32_e32 v3, v1, v2
	v_or_b32_e32 v4, v38, v4
	;; [unrolled: 1-line block ×3, first 2 shown]
	s_delay_alu instid0(VALU_DEP_4)
	v_or_b32_e32 v2, v36, v37
	s_cbranch_scc1 .LBB263_24
.LBB263_2:                              ; =>This Inner Loop Header: Depth=1
	s_delay_alu instid0(VALU_DEP_1) | instskip(NEXT) | instid1(VALU_DEP_3)
	v_lshrrev_b32_e32 v0, 16, v2
	v_lshrrev_b32_e32 v5, 16, v1
	v_xor_b32_e32 v6, 0x80, v2
	v_and_b32_e32 v7, 0xffffff00, v1
	v_xor_b32_e32 v1, 0x80, v1
	v_xor_b32_e32 v22, 0x80, v0
	;; [unrolled: 1-line block ×3, first 2 shown]
	v_and_b32_e32 v2, 0xffffff00, v2
	v_and_b32_e32 v6, 0xff, v6
	;; [unrolled: 1-line block ×7, first 2 shown]
	v_or_b32_e32 v2, v6, v2
	v_or_b32_e32 v0, v22, v0
	;; [unrolled: 1-line block ×3, first 2 shown]
	s_delay_alu instid0(VALU_DEP_4) | instskip(NEXT) | instid1(VALU_DEP_4)
	v_or_b32_e32 v5, v23, v5
	v_add_nc_u16 v2, v2, 0x8000
	s_delay_alu instid0(VALU_DEP_4) | instskip(NEXT) | instid1(VALU_DEP_4)
	v_add_nc_u16 v0, v0, 0x8000
	v_add_nc_u16 v1, v1, 0x8000
	s_delay_alu instid0(VALU_DEP_4) | instskip(NEXT) | instid1(VALU_DEP_4)
	v_add_nc_u16 v5, v5, 0x8000
	v_and_b32_e32 v2, 0xffff, v2
	s_delay_alu instid0(VALU_DEP_4) | instskip(NEXT) | instid1(VALU_DEP_4)
	v_lshlrev_b32_e32 v0, 16, v0
	v_and_b32_e32 v6, 0xffff, v1
	s_delay_alu instid0(VALU_DEP_4) | instskip(NEXT) | instid1(VALU_DEP_3)
	v_lshlrev_b32_e32 v5, 16, v5
	v_or_b32_e32 v1, v2, v0
	s_delay_alu instid0(VALU_DEP_2)
	v_or_b32_e32 v0, v6, v5
	ds_store_b64 v18, v[0:1]
	; wave barrier
	ds_load_u8 v22, v14
	ds_load_u8 v23, v14 offset:32
	ds_load_u8 v24, v14 offset:64
	;; [unrolled: 1-line block ×7, first 2 shown]
	; wave barrier
	ds_store_b64 v18, v[3:4]
	; wave barrier
	s_waitcnt lgkmcnt(8)
	v_and_b32_e32 v0, 1, v22
	v_lshlrev_b32_e32 v1, 30, v22
	v_lshlrev_b32_e32 v2, 29, v22
	;; [unrolled: 1-line block ×4, first 2 shown]
	v_add_co_u32 v0, s12, v0, -1
	s_delay_alu instid0(VALU_DEP_1)
	v_cndmask_b32_e64 v6, 0, 1, s12
	v_not_b32_e32 v32, v1
	v_cmp_gt_i32_e64 s13, 0, v1
	v_not_b32_e32 v1, v2
	v_lshlrev_b32_e32 v30, 26, v22
	v_cmp_ne_u32_e64 s12, 0, v6
	v_ashrrev_i32_e32 v32, 31, v32
	v_lshlrev_b32_e32 v31, 25, v22
	v_ashrrev_i32_e32 v1, 31, v1
	v_lshlrev_b32_e32 v6, 24, v22
	v_xor_b32_e32 v0, s12, v0
	v_cmp_gt_i32_e64 s12, 0, v2
	v_not_b32_e32 v2, v5
	v_xor_b32_e32 v32, s13, v32
	v_cmp_gt_i32_e64 s13, 0, v5
	v_and_b32_e32 v0, exec_lo, v0
	v_not_b32_e32 v5, v7
	v_ashrrev_i32_e32 v2, 31, v2
	v_xor_b32_e32 v1, s12, v1
	v_cmp_gt_i32_e64 s12, 0, v7
	v_and_b32_e32 v0, v0, v32
	v_not_b32_e32 v7, v30
	v_ashrrev_i32_e32 v5, 31, v5
	v_xor_b32_e32 v2, s13, v2
	v_cmp_gt_i32_e64 s13, 0, v30
	v_and_b32_e32 v0, v0, v1
	;; [unrolled: 5-line block ×4, first 2 shown]
	v_ashrrev_i32_e32 v2, 31, v2
	v_xor_b32_e32 v1, s12, v1
	ds_load_u8 v30, v14
	ds_load_u8 v31, v14 offset:32
	ds_load_u8 v32, v14 offset:64
	;; [unrolled: 1-line block ×7, first 2 shown]
	s_waitcnt lgkmcnt(0)
	v_and_b32_e32 v0, v0, v7
	v_xor_b32_e32 v2, s13, v2
	s_barrier
	buffer_gl0_inv
	ds_store_2addr_b64 v13, v[9:10], v[11:12] offset0:3 offset1:4
	ds_store_2addr_b64 v15, v[9:10], v[11:12] offset0:2 offset1:3
	v_and_b32_e32 v0, v0, v1
	v_and_b32_e32 v1, 0xff, v22
	s_waitcnt lgkmcnt(0)
	s_barrier
	buffer_gl0_inv
	v_and_b32_e32 v0, v0, v2
	v_mad_u32_u24 v1, v1, 6, v20
	; wave barrier
	s_delay_alu instid0(VALU_DEP_2) | instskip(SKIP_1) | instid1(VALU_DEP_3)
	v_mbcnt_lo_u32_b32 v38, v0, 0
	v_cmp_ne_u32_e64 s13, 0, v0
	v_lshl_add_u32 v39, v1, 2, 24
	s_delay_alu instid0(VALU_DEP_3) | instskip(NEXT) | instid1(VALU_DEP_1)
	v_cmp_eq_u32_e64 s12, 0, v38
	s_and_b32 s13, s13, s12
	s_delay_alu instid0(SALU_CYCLE_1)
	s_and_saveexec_b32 s12, s13
	s_cbranch_execz .LBB263_4
; %bb.3:                                ;   in Loop: Header=BB263_2 Depth=1
	v_bcnt_u32_b32 v0, v0, 0
	ds_store_b32 v39, v0
.LBB263_4:                              ;   in Loop: Header=BB263_2 Depth=1
	s_or_b32 exec_lo, exec_lo, s12
	v_and_b32_e32 v0, 1, v23
	v_lshlrev_b32_e32 v2, 30, v23
	v_lshlrev_b32_e32 v4, 29, v23
	;; [unrolled: 1-line block ×4, first 2 shown]
	v_add_co_u32 v0, s12, v0, -1
	s_delay_alu instid0(VALU_DEP_1)
	v_cndmask_b32_e64 v3, 0, 1, s12
	v_not_b32_e32 v7, v2
	v_cmp_gt_i32_e64 s13, 0, v2
	v_not_b32_e32 v2, v4
	v_and_b32_e32 v1, 0xff, v23
	v_cmp_ne_u32_e64 s12, 0, v3
	v_ashrrev_i32_e32 v7, 31, v7
	v_lshlrev_b32_e32 v3, 26, v23
	v_ashrrev_i32_e32 v2, 31, v2
	v_mul_u32_u24_e32 v1, 6, v1
	v_xor_b32_e32 v0, s12, v0
	v_cmp_gt_i32_e64 s12, 0, v4
	v_not_b32_e32 v4, v5
	v_xor_b32_e32 v7, s13, v7
	v_cmp_gt_i32_e64 s13, 0, v5
	v_and_b32_e32 v0, exec_lo, v0
	v_not_b32_e32 v5, v6
	v_ashrrev_i32_e32 v4, 31, v4
	v_xor_b32_e32 v2, s12, v2
	v_cmp_gt_i32_e64 s12, 0, v6
	v_and_b32_e32 v0, v0, v7
	v_lshlrev_b32_e32 v7, 25, v23
	v_ashrrev_i32_e32 v5, 31, v5
	v_xor_b32_e32 v4, s13, v4
	v_not_b32_e32 v6, v3
	v_and_b32_e32 v0, v0, v2
	v_lshlrev_b32_e32 v2, 24, v23
	v_not_b32_e32 v40, v7
	v_xor_b32_e32 v5, s12, v5
	v_cmp_gt_i32_e64 s12, 0, v3
	v_and_b32_e32 v0, v0, v4
	v_ashrrev_i32_e32 v3, 31, v6
	v_cmp_gt_i32_e64 s13, 0, v7
	v_ashrrev_i32_e32 v4, 31, v40
	v_add_lshl_u32 v1, v20, v1, 2
	v_and_b32_e32 v0, v0, v5
	v_not_b32_e32 v5, v2
	v_xor_b32_e32 v3, s12, v3
	v_xor_b32_e32 v4, s13, v4
	v_cmp_gt_i32_e64 s12, 0, v2
	s_delay_alu instid0(VALU_DEP_4) | instskip(NEXT) | instid1(VALU_DEP_4)
	v_ashrrev_i32_e32 v2, 31, v5
	v_and_b32_e32 v0, v0, v3
	; wave barrier
	ds_load_b32 v40, v1 offset:24
	v_add_nc_u32_e32 v42, 24, v1
	v_xor_b32_e32 v2, s12, v2
	v_and_b32_e32 v0, v0, v4
	; wave barrier
	s_delay_alu instid0(VALU_DEP_1) | instskip(NEXT) | instid1(VALU_DEP_1)
	v_and_b32_e32 v0, v0, v2
	v_mbcnt_lo_u32_b32 v41, v0, 0
	v_cmp_ne_u32_e64 s13, 0, v0
	s_delay_alu instid0(VALU_DEP_2) | instskip(NEXT) | instid1(VALU_DEP_1)
	v_cmp_eq_u32_e64 s12, 0, v41
	s_and_b32 s13, s13, s12
	s_delay_alu instid0(SALU_CYCLE_1)
	s_and_saveexec_b32 s12, s13
	s_cbranch_execz .LBB263_6
; %bb.5:                                ;   in Loop: Header=BB263_2 Depth=1
	s_waitcnt lgkmcnt(0)
	v_bcnt_u32_b32 v0, v0, v40
	ds_store_b32 v42, v0
.LBB263_6:                              ;   in Loop: Header=BB263_2 Depth=1
	s_or_b32 exec_lo, exec_lo, s12
	v_and_b32_e32 v0, 1, v24
	v_lshlrev_b32_e32 v2, 30, v24
	v_lshlrev_b32_e32 v4, 29, v24
	;; [unrolled: 1-line block ×4, first 2 shown]
	v_add_co_u32 v0, s12, v0, -1
	s_delay_alu instid0(VALU_DEP_1)
	v_cndmask_b32_e64 v3, 0, 1, s12
	v_not_b32_e32 v7, v2
	v_cmp_gt_i32_e64 s13, 0, v2
	v_not_b32_e32 v2, v4
	v_and_b32_e32 v1, 0xff, v24
	v_cmp_ne_u32_e64 s12, 0, v3
	v_ashrrev_i32_e32 v7, 31, v7
	v_lshlrev_b32_e32 v3, 26, v24
	v_ashrrev_i32_e32 v2, 31, v2
	v_mul_u32_u24_e32 v1, 6, v1
	v_xor_b32_e32 v0, s12, v0
	v_cmp_gt_i32_e64 s12, 0, v4
	v_not_b32_e32 v4, v5
	v_xor_b32_e32 v7, s13, v7
	v_cmp_gt_i32_e64 s13, 0, v5
	v_and_b32_e32 v0, exec_lo, v0
	v_not_b32_e32 v5, v6
	v_ashrrev_i32_e32 v4, 31, v4
	v_xor_b32_e32 v2, s12, v2
	v_cmp_gt_i32_e64 s12, 0, v6
	v_and_b32_e32 v0, v0, v7
	v_lshlrev_b32_e32 v7, 25, v24
	v_ashrrev_i32_e32 v5, 31, v5
	v_xor_b32_e32 v4, s13, v4
	v_not_b32_e32 v6, v3
	v_and_b32_e32 v0, v0, v2
	v_lshlrev_b32_e32 v2, 24, v24
	v_not_b32_e32 v43, v7
	v_xor_b32_e32 v5, s12, v5
	v_cmp_gt_i32_e64 s12, 0, v3
	v_and_b32_e32 v0, v0, v4
	v_ashrrev_i32_e32 v3, 31, v6
	v_cmp_gt_i32_e64 s13, 0, v7
	v_ashrrev_i32_e32 v4, 31, v43
	v_add_lshl_u32 v1, v20, v1, 2
	v_and_b32_e32 v0, v0, v5
	v_not_b32_e32 v5, v2
	v_xor_b32_e32 v3, s12, v3
	v_xor_b32_e32 v4, s13, v4
	v_cmp_gt_i32_e64 s12, 0, v2
	s_delay_alu instid0(VALU_DEP_4) | instskip(NEXT) | instid1(VALU_DEP_4)
	v_ashrrev_i32_e32 v2, 31, v5
	v_and_b32_e32 v0, v0, v3
	; wave barrier
	ds_load_b32 v43, v1 offset:24
	v_add_nc_u32_e32 v45, 24, v1
	v_xor_b32_e32 v2, s12, v2
	v_and_b32_e32 v0, v0, v4
	; wave barrier
	s_delay_alu instid0(VALU_DEP_1) | instskip(NEXT) | instid1(VALU_DEP_1)
	v_and_b32_e32 v0, v0, v2
	v_mbcnt_lo_u32_b32 v44, v0, 0
	v_cmp_ne_u32_e64 s13, 0, v0
	s_delay_alu instid0(VALU_DEP_2) | instskip(NEXT) | instid1(VALU_DEP_1)
	v_cmp_eq_u32_e64 s12, 0, v44
	s_and_b32 s13, s13, s12
	s_delay_alu instid0(SALU_CYCLE_1)
	s_and_saveexec_b32 s12, s13
	s_cbranch_execz .LBB263_8
; %bb.7:                                ;   in Loop: Header=BB263_2 Depth=1
	s_waitcnt lgkmcnt(0)
	v_bcnt_u32_b32 v0, v0, v43
	ds_store_b32 v45, v0
.LBB263_8:                              ;   in Loop: Header=BB263_2 Depth=1
	s_or_b32 exec_lo, exec_lo, s12
	v_and_b32_e32 v0, 1, v25
	v_lshlrev_b32_e32 v2, 30, v25
	v_lshlrev_b32_e32 v4, 29, v25
	;; [unrolled: 1-line block ×4, first 2 shown]
	v_add_co_u32 v0, s12, v0, -1
	s_delay_alu instid0(VALU_DEP_1)
	v_cndmask_b32_e64 v3, 0, 1, s12
	v_not_b32_e32 v7, v2
	v_cmp_gt_i32_e64 s13, 0, v2
	v_not_b32_e32 v2, v4
	v_and_b32_e32 v1, 0xff, v25
	v_cmp_ne_u32_e64 s12, 0, v3
	v_ashrrev_i32_e32 v7, 31, v7
	v_lshlrev_b32_e32 v3, 26, v25
	v_ashrrev_i32_e32 v2, 31, v2
	v_mul_u32_u24_e32 v1, 6, v1
	v_xor_b32_e32 v0, s12, v0
	v_cmp_gt_i32_e64 s12, 0, v4
	v_not_b32_e32 v4, v5
	v_xor_b32_e32 v7, s13, v7
	v_cmp_gt_i32_e64 s13, 0, v5
	v_and_b32_e32 v0, exec_lo, v0
	v_not_b32_e32 v5, v6
	v_ashrrev_i32_e32 v4, 31, v4
	v_xor_b32_e32 v2, s12, v2
	v_cmp_gt_i32_e64 s12, 0, v6
	v_and_b32_e32 v0, v0, v7
	v_lshlrev_b32_e32 v7, 25, v25
	v_ashrrev_i32_e32 v5, 31, v5
	v_xor_b32_e32 v4, s13, v4
	v_not_b32_e32 v6, v3
	v_and_b32_e32 v0, v0, v2
	v_lshlrev_b32_e32 v2, 24, v25
	v_not_b32_e32 v46, v7
	v_xor_b32_e32 v5, s12, v5
	v_cmp_gt_i32_e64 s12, 0, v3
	v_and_b32_e32 v0, v0, v4
	v_ashrrev_i32_e32 v3, 31, v6
	v_cmp_gt_i32_e64 s13, 0, v7
	v_ashrrev_i32_e32 v4, 31, v46
	v_add_lshl_u32 v1, v20, v1, 2
	v_and_b32_e32 v0, v0, v5
	v_not_b32_e32 v5, v2
	v_xor_b32_e32 v3, s12, v3
	v_xor_b32_e32 v4, s13, v4
	v_cmp_gt_i32_e64 s12, 0, v2
	s_delay_alu instid0(VALU_DEP_4) | instskip(NEXT) | instid1(VALU_DEP_4)
	v_ashrrev_i32_e32 v2, 31, v5
	v_and_b32_e32 v0, v0, v3
	; wave barrier
	ds_load_b32 v46, v1 offset:24
	v_add_nc_u32_e32 v48, 24, v1
	v_xor_b32_e32 v2, s12, v2
	v_and_b32_e32 v0, v0, v4
	; wave barrier
	s_delay_alu instid0(VALU_DEP_1) | instskip(NEXT) | instid1(VALU_DEP_1)
	v_and_b32_e32 v0, v0, v2
	v_mbcnt_lo_u32_b32 v47, v0, 0
	v_cmp_ne_u32_e64 s13, 0, v0
	s_delay_alu instid0(VALU_DEP_2) | instskip(NEXT) | instid1(VALU_DEP_1)
	v_cmp_eq_u32_e64 s12, 0, v47
	s_and_b32 s13, s13, s12
	s_delay_alu instid0(SALU_CYCLE_1)
	s_and_saveexec_b32 s12, s13
	s_cbranch_execz .LBB263_10
; %bb.9:                                ;   in Loop: Header=BB263_2 Depth=1
	s_waitcnt lgkmcnt(0)
	v_bcnt_u32_b32 v0, v0, v46
	ds_store_b32 v48, v0
.LBB263_10:                             ;   in Loop: Header=BB263_2 Depth=1
	s_or_b32 exec_lo, exec_lo, s12
	v_and_b32_e32 v0, 1, v26
	v_lshlrev_b32_e32 v2, 30, v26
	v_lshlrev_b32_e32 v4, 29, v26
	;; [unrolled: 1-line block ×4, first 2 shown]
	v_add_co_u32 v0, s12, v0, -1
	s_delay_alu instid0(VALU_DEP_1)
	v_cndmask_b32_e64 v3, 0, 1, s12
	v_not_b32_e32 v7, v2
	v_cmp_gt_i32_e64 s13, 0, v2
	v_not_b32_e32 v2, v4
	v_and_b32_e32 v1, 0xff, v26
	v_cmp_ne_u32_e64 s12, 0, v3
	v_ashrrev_i32_e32 v7, 31, v7
	v_lshlrev_b32_e32 v3, 26, v26
	v_ashrrev_i32_e32 v2, 31, v2
	v_mul_u32_u24_e32 v1, 6, v1
	v_xor_b32_e32 v0, s12, v0
	v_cmp_gt_i32_e64 s12, 0, v4
	v_not_b32_e32 v4, v5
	v_xor_b32_e32 v7, s13, v7
	v_cmp_gt_i32_e64 s13, 0, v5
	v_and_b32_e32 v0, exec_lo, v0
	v_not_b32_e32 v5, v6
	v_ashrrev_i32_e32 v4, 31, v4
	v_xor_b32_e32 v2, s12, v2
	v_cmp_gt_i32_e64 s12, 0, v6
	v_and_b32_e32 v0, v0, v7
	v_lshlrev_b32_e32 v7, 25, v26
	v_ashrrev_i32_e32 v5, 31, v5
	v_xor_b32_e32 v4, s13, v4
	v_not_b32_e32 v6, v3
	v_and_b32_e32 v0, v0, v2
	v_lshlrev_b32_e32 v2, 24, v26
	v_not_b32_e32 v49, v7
	v_xor_b32_e32 v5, s12, v5
	v_cmp_gt_i32_e64 s12, 0, v3
	v_and_b32_e32 v0, v0, v4
	v_ashrrev_i32_e32 v3, 31, v6
	v_cmp_gt_i32_e64 s13, 0, v7
	v_ashrrev_i32_e32 v4, 31, v49
	v_add_lshl_u32 v1, v20, v1, 2
	v_and_b32_e32 v0, v0, v5
	v_not_b32_e32 v5, v2
	v_xor_b32_e32 v3, s12, v3
	v_xor_b32_e32 v4, s13, v4
	v_cmp_gt_i32_e64 s12, 0, v2
	s_delay_alu instid0(VALU_DEP_4) | instskip(NEXT) | instid1(VALU_DEP_4)
	v_ashrrev_i32_e32 v2, 31, v5
	v_and_b32_e32 v0, v0, v3
	; wave barrier
	ds_load_b32 v49, v1 offset:24
	v_add_nc_u32_e32 v51, 24, v1
	v_xor_b32_e32 v2, s12, v2
	v_and_b32_e32 v0, v0, v4
	; wave barrier
	s_delay_alu instid0(VALU_DEP_1) | instskip(NEXT) | instid1(VALU_DEP_1)
	v_and_b32_e32 v0, v0, v2
	v_mbcnt_lo_u32_b32 v50, v0, 0
	v_cmp_ne_u32_e64 s13, 0, v0
	s_delay_alu instid0(VALU_DEP_2) | instskip(NEXT) | instid1(VALU_DEP_1)
	v_cmp_eq_u32_e64 s12, 0, v50
	s_and_b32 s13, s13, s12
	s_delay_alu instid0(SALU_CYCLE_1)
	s_and_saveexec_b32 s12, s13
	s_cbranch_execz .LBB263_12
; %bb.11:                               ;   in Loop: Header=BB263_2 Depth=1
	s_waitcnt lgkmcnt(0)
	v_bcnt_u32_b32 v0, v0, v49
	ds_store_b32 v51, v0
.LBB263_12:                             ;   in Loop: Header=BB263_2 Depth=1
	s_or_b32 exec_lo, exec_lo, s12
	v_and_b32_e32 v0, 1, v27
	v_lshlrev_b32_e32 v2, 30, v27
	v_lshlrev_b32_e32 v4, 29, v27
	v_lshlrev_b32_e32 v5, 28, v27
	v_lshlrev_b32_e32 v6, 27, v27
	v_add_co_u32 v0, s12, v0, -1
	s_delay_alu instid0(VALU_DEP_1)
	v_cndmask_b32_e64 v3, 0, 1, s12
	v_not_b32_e32 v7, v2
	v_cmp_gt_i32_e64 s13, 0, v2
	v_not_b32_e32 v2, v4
	v_and_b32_e32 v1, 0xff, v27
	v_cmp_ne_u32_e64 s12, 0, v3
	v_ashrrev_i32_e32 v7, 31, v7
	v_lshlrev_b32_e32 v3, 26, v27
	v_ashrrev_i32_e32 v2, 31, v2
	v_mul_u32_u24_e32 v1, 6, v1
	v_xor_b32_e32 v0, s12, v0
	v_cmp_gt_i32_e64 s12, 0, v4
	v_not_b32_e32 v4, v5
	v_xor_b32_e32 v7, s13, v7
	v_cmp_gt_i32_e64 s13, 0, v5
	v_and_b32_e32 v0, exec_lo, v0
	v_not_b32_e32 v5, v6
	v_ashrrev_i32_e32 v4, 31, v4
	v_xor_b32_e32 v2, s12, v2
	v_cmp_gt_i32_e64 s12, 0, v6
	v_and_b32_e32 v0, v0, v7
	v_lshlrev_b32_e32 v7, 25, v27
	v_ashrrev_i32_e32 v5, 31, v5
	v_xor_b32_e32 v4, s13, v4
	v_not_b32_e32 v6, v3
	v_and_b32_e32 v0, v0, v2
	v_lshlrev_b32_e32 v2, 24, v27
	v_not_b32_e32 v52, v7
	v_xor_b32_e32 v5, s12, v5
	v_cmp_gt_i32_e64 s12, 0, v3
	v_and_b32_e32 v0, v0, v4
	v_ashrrev_i32_e32 v3, 31, v6
	v_cmp_gt_i32_e64 s13, 0, v7
	v_ashrrev_i32_e32 v4, 31, v52
	v_add_lshl_u32 v1, v20, v1, 2
	v_and_b32_e32 v0, v0, v5
	v_not_b32_e32 v5, v2
	v_xor_b32_e32 v3, s12, v3
	v_xor_b32_e32 v4, s13, v4
	v_cmp_gt_i32_e64 s12, 0, v2
	s_delay_alu instid0(VALU_DEP_4) | instskip(NEXT) | instid1(VALU_DEP_4)
	v_ashrrev_i32_e32 v2, 31, v5
	v_and_b32_e32 v0, v0, v3
	; wave barrier
	ds_load_b32 v52, v1 offset:24
	v_add_nc_u32_e32 v54, 24, v1
	v_xor_b32_e32 v2, s12, v2
	v_and_b32_e32 v0, v0, v4
	; wave barrier
	s_delay_alu instid0(VALU_DEP_1) | instskip(NEXT) | instid1(VALU_DEP_1)
	v_and_b32_e32 v0, v0, v2
	v_mbcnt_lo_u32_b32 v53, v0, 0
	v_cmp_ne_u32_e64 s13, 0, v0
	s_delay_alu instid0(VALU_DEP_2) | instskip(NEXT) | instid1(VALU_DEP_1)
	v_cmp_eq_u32_e64 s12, 0, v53
	s_and_b32 s13, s13, s12
	s_delay_alu instid0(SALU_CYCLE_1)
	s_and_saveexec_b32 s12, s13
	s_cbranch_execz .LBB263_14
; %bb.13:                               ;   in Loop: Header=BB263_2 Depth=1
	s_waitcnt lgkmcnt(0)
	v_bcnt_u32_b32 v0, v0, v52
	ds_store_b32 v54, v0
.LBB263_14:                             ;   in Loop: Header=BB263_2 Depth=1
	s_or_b32 exec_lo, exec_lo, s12
	v_and_b32_e32 v0, 1, v28
	v_lshlrev_b32_e32 v2, 30, v28
	v_lshlrev_b32_e32 v4, 29, v28
	;; [unrolled: 1-line block ×4, first 2 shown]
	v_add_co_u32 v0, s12, v0, -1
	s_delay_alu instid0(VALU_DEP_1)
	v_cndmask_b32_e64 v3, 0, 1, s12
	v_not_b32_e32 v7, v2
	v_cmp_gt_i32_e64 s13, 0, v2
	v_not_b32_e32 v2, v4
	v_and_b32_e32 v1, 0xff, v28
	v_cmp_ne_u32_e64 s12, 0, v3
	v_ashrrev_i32_e32 v7, 31, v7
	v_lshlrev_b32_e32 v3, 26, v28
	v_ashrrev_i32_e32 v2, 31, v2
	v_mul_u32_u24_e32 v1, 6, v1
	v_xor_b32_e32 v0, s12, v0
	v_cmp_gt_i32_e64 s12, 0, v4
	v_not_b32_e32 v4, v5
	v_xor_b32_e32 v7, s13, v7
	v_cmp_gt_i32_e64 s13, 0, v5
	v_and_b32_e32 v0, exec_lo, v0
	v_not_b32_e32 v5, v6
	v_ashrrev_i32_e32 v4, 31, v4
	v_xor_b32_e32 v2, s12, v2
	v_cmp_gt_i32_e64 s12, 0, v6
	v_and_b32_e32 v0, v0, v7
	v_lshlrev_b32_e32 v7, 25, v28
	v_ashrrev_i32_e32 v5, 31, v5
	v_xor_b32_e32 v4, s13, v4
	v_not_b32_e32 v6, v3
	v_and_b32_e32 v0, v0, v2
	v_lshlrev_b32_e32 v2, 24, v28
	v_not_b32_e32 v55, v7
	v_xor_b32_e32 v5, s12, v5
	v_cmp_gt_i32_e64 s12, 0, v3
	v_and_b32_e32 v0, v0, v4
	v_ashrrev_i32_e32 v3, 31, v6
	v_cmp_gt_i32_e64 s13, 0, v7
	v_ashrrev_i32_e32 v4, 31, v55
	v_add_lshl_u32 v1, v20, v1, 2
	v_and_b32_e32 v0, v0, v5
	v_not_b32_e32 v5, v2
	v_xor_b32_e32 v3, s12, v3
	v_xor_b32_e32 v4, s13, v4
	v_cmp_gt_i32_e64 s12, 0, v2
	s_delay_alu instid0(VALU_DEP_4) | instskip(NEXT) | instid1(VALU_DEP_4)
	v_ashrrev_i32_e32 v2, 31, v5
	v_and_b32_e32 v0, v0, v3
	; wave barrier
	ds_load_b32 v55, v1 offset:24
	v_add_nc_u32_e32 v57, 24, v1
	v_xor_b32_e32 v2, s12, v2
	v_and_b32_e32 v0, v0, v4
	; wave barrier
	s_delay_alu instid0(VALU_DEP_1) | instskip(NEXT) | instid1(VALU_DEP_1)
	v_and_b32_e32 v0, v0, v2
	v_mbcnt_lo_u32_b32 v56, v0, 0
	v_cmp_ne_u32_e64 s13, 0, v0
	s_delay_alu instid0(VALU_DEP_2) | instskip(NEXT) | instid1(VALU_DEP_1)
	v_cmp_eq_u32_e64 s12, 0, v56
	s_and_b32 s13, s13, s12
	s_delay_alu instid0(SALU_CYCLE_1)
	s_and_saveexec_b32 s12, s13
	s_cbranch_execz .LBB263_16
; %bb.15:                               ;   in Loop: Header=BB263_2 Depth=1
	s_waitcnt lgkmcnt(0)
	v_bcnt_u32_b32 v0, v0, v55
	ds_store_b32 v57, v0
.LBB263_16:                             ;   in Loop: Header=BB263_2 Depth=1
	s_or_b32 exec_lo, exec_lo, s12
	v_and_b32_e32 v0, 1, v29
	v_lshlrev_b32_e32 v2, 30, v29
	v_lshlrev_b32_e32 v4, 29, v29
	;; [unrolled: 1-line block ×4, first 2 shown]
	v_add_co_u32 v0, s12, v0, -1
	s_delay_alu instid0(VALU_DEP_1)
	v_cndmask_b32_e64 v3, 0, 1, s12
	v_not_b32_e32 v7, v2
	v_cmp_gt_i32_e64 s13, 0, v2
	v_not_b32_e32 v2, v4
	v_and_b32_e32 v1, 0xff, v29
	v_cmp_ne_u32_e64 s12, 0, v3
	v_ashrrev_i32_e32 v7, 31, v7
	v_lshlrev_b32_e32 v3, 26, v29
	v_ashrrev_i32_e32 v2, 31, v2
	v_mul_u32_u24_e32 v1, 6, v1
	v_xor_b32_e32 v0, s12, v0
	v_cmp_gt_i32_e64 s12, 0, v4
	v_not_b32_e32 v4, v5
	v_xor_b32_e32 v7, s13, v7
	v_cmp_gt_i32_e64 s13, 0, v5
	v_and_b32_e32 v0, exec_lo, v0
	v_not_b32_e32 v5, v6
	v_ashrrev_i32_e32 v4, 31, v4
	v_xor_b32_e32 v2, s12, v2
	v_cmp_gt_i32_e64 s12, 0, v6
	v_and_b32_e32 v0, v0, v7
	v_lshlrev_b32_e32 v7, 25, v29
	v_ashrrev_i32_e32 v5, 31, v5
	v_xor_b32_e32 v4, s13, v4
	v_not_b32_e32 v6, v3
	v_and_b32_e32 v0, v0, v2
	v_lshlrev_b32_e32 v2, 24, v29
	v_not_b32_e32 v58, v7
	v_xor_b32_e32 v5, s12, v5
	v_cmp_gt_i32_e64 s12, 0, v3
	v_and_b32_e32 v0, v0, v4
	v_ashrrev_i32_e32 v3, 31, v6
	v_cmp_gt_i32_e64 s13, 0, v7
	v_ashrrev_i32_e32 v4, 31, v58
	v_add_lshl_u32 v1, v20, v1, 2
	v_and_b32_e32 v0, v0, v5
	v_not_b32_e32 v5, v2
	v_xor_b32_e32 v3, s12, v3
	v_xor_b32_e32 v4, s13, v4
	v_cmp_gt_i32_e64 s12, 0, v2
	s_delay_alu instid0(VALU_DEP_4) | instskip(NEXT) | instid1(VALU_DEP_4)
	v_ashrrev_i32_e32 v2, 31, v5
	v_and_b32_e32 v0, v0, v3
	; wave barrier
	ds_load_b32 v58, v1 offset:24
	v_add_nc_u32_e32 v60, 24, v1
	v_xor_b32_e32 v2, s12, v2
	v_and_b32_e32 v0, v0, v4
	; wave barrier
	s_delay_alu instid0(VALU_DEP_1) | instskip(NEXT) | instid1(VALU_DEP_1)
	v_and_b32_e32 v0, v0, v2
	v_mbcnt_lo_u32_b32 v59, v0, 0
	v_cmp_ne_u32_e64 s13, 0, v0
	s_delay_alu instid0(VALU_DEP_2) | instskip(NEXT) | instid1(VALU_DEP_1)
	v_cmp_eq_u32_e64 s12, 0, v59
	s_and_b32 s13, s13, s12
	s_delay_alu instid0(SALU_CYCLE_1)
	s_and_saveexec_b32 s12, s13
	s_cbranch_execz .LBB263_18
; %bb.17:                               ;   in Loop: Header=BB263_2 Depth=1
	s_waitcnt lgkmcnt(0)
	v_bcnt_u32_b32 v0, v0, v58
	ds_store_b32 v60, v0
.LBB263_18:                             ;   in Loop: Header=BB263_2 Depth=1
	s_or_b32 exec_lo, exec_lo, s12
	; wave barrier
	s_waitcnt lgkmcnt(0)
	s_barrier
	buffer_gl0_inv
	ds_load_2addr_b64 v[4:7], v13 offset0:3 offset1:4
	ds_load_2addr_b64 v[0:3], v15 offset0:2 offset1:3
	s_waitcnt lgkmcnt(1)
	v_add_nc_u32_e32 v61, v5, v4
	s_delay_alu instid0(VALU_DEP_1) | instskip(SKIP_1) | instid1(VALU_DEP_1)
	v_add3_u32 v61, v61, v6, v7
	s_waitcnt lgkmcnt(0)
	v_add3_u32 v61, v61, v0, v1
	s_delay_alu instid0(VALU_DEP_1) | instskip(NEXT) | instid1(VALU_DEP_1)
	v_add3_u32 v3, v61, v2, v3
	v_mov_b32_dpp v61, v3 row_shr:1 row_mask:0xf bank_mask:0xf
	s_delay_alu instid0(VALU_DEP_1) | instskip(NEXT) | instid1(VALU_DEP_1)
	v_cndmask_b32_e64 v61, v61, 0, s0
	v_add_nc_u32_e32 v3, v61, v3
	s_delay_alu instid0(VALU_DEP_1) | instskip(NEXT) | instid1(VALU_DEP_1)
	v_mov_b32_dpp v61, v3 row_shr:2 row_mask:0xf bank_mask:0xf
	v_cndmask_b32_e64 v61, 0, v61, s1
	s_delay_alu instid0(VALU_DEP_1) | instskip(NEXT) | instid1(VALU_DEP_1)
	v_add_nc_u32_e32 v3, v3, v61
	v_mov_b32_dpp v61, v3 row_shr:4 row_mask:0xf bank_mask:0xf
	s_delay_alu instid0(VALU_DEP_1) | instskip(NEXT) | instid1(VALU_DEP_1)
	v_cndmask_b32_e64 v61, 0, v61, s2
	v_add_nc_u32_e32 v3, v3, v61
	s_delay_alu instid0(VALU_DEP_1) | instskip(NEXT) | instid1(VALU_DEP_1)
	v_mov_b32_dpp v61, v3 row_shr:8 row_mask:0xf bank_mask:0xf
	v_cndmask_b32_e64 v61, 0, v61, s3
	s_delay_alu instid0(VALU_DEP_1) | instskip(SKIP_3) | instid1(VALU_DEP_1)
	v_add_nc_u32_e32 v3, v3, v61
	ds_swizzle_b32 v61, v3 offset:swizzle(BROADCAST,32,15)
	s_waitcnt lgkmcnt(0)
	v_cndmask_b32_e64 v61, v61, 0, s4
	v_add_nc_u32_e32 v3, v3, v61
	s_and_saveexec_b32 s12, s11
	s_cbranch_execz .LBB263_20
; %bb.19:                               ;   in Loop: Header=BB263_2 Depth=1
	ds_store_b32 v17, v3
.LBB263_20:                             ;   in Loop: Header=BB263_2 Depth=1
	s_or_b32 exec_lo, exec_lo, s12
	s_waitcnt lgkmcnt(0)
	s_barrier
	buffer_gl0_inv
	s_and_saveexec_b32 s12, s5
	s_cbranch_execz .LBB263_22
; %bb.21:                               ;   in Loop: Header=BB263_2 Depth=1
	ds_load_b32 v61, v21
	s_waitcnt lgkmcnt(0)
	v_mov_b32_dpp v62, v61 row_shr:1 row_mask:0xf bank_mask:0xf
	s_delay_alu instid0(VALU_DEP_1) | instskip(NEXT) | instid1(VALU_DEP_1)
	v_cndmask_b32_e64 v62, v62, 0, s8
	v_add_nc_u32_e32 v61, v62, v61
	s_delay_alu instid0(VALU_DEP_1) | instskip(NEXT) | instid1(VALU_DEP_1)
	v_mov_b32_dpp v62, v61 row_shr:2 row_mask:0xf bank_mask:0xf
	v_cndmask_b32_e64 v62, 0, v62, s9
	s_delay_alu instid0(VALU_DEP_1) | instskip(NEXT) | instid1(VALU_DEP_1)
	v_add_nc_u32_e32 v61, v61, v62
	v_mov_b32_dpp v62, v61 row_shr:4 row_mask:0xf bank_mask:0xf
	s_delay_alu instid0(VALU_DEP_1) | instskip(NEXT) | instid1(VALU_DEP_1)
	v_cndmask_b32_e64 v62, 0, v62, s10
	v_add_nc_u32_e32 v61, v61, v62
	ds_store_b32 v21, v61
.LBB263_22:                             ;   in Loop: Header=BB263_2 Depth=1
	s_or_b32 exec_lo, exec_lo, s12
	v_mov_b32_e32 v61, 0
	s_waitcnt lgkmcnt(0)
	s_barrier
	buffer_gl0_inv
	s_and_saveexec_b32 s12, s6
	s_cbranch_execz .LBB263_1
; %bb.23:                               ;   in Loop: Header=BB263_2 Depth=1
	ds_load_b32 v61, v19
	s_branch .LBB263_1
.LBB263_24:
	v_add_nc_u16 v1, v27, v25
	v_add_nc_u16 v2, v28, v5
	;; [unrolled: 1-line block ×3, first 2 shown]
	s_add_u32 s0, s18, s14
	v_add_nc_u16 v4, v30, v6
	s_addc_u32 s1, s19, 0
	v_add_nc_u16 v5, v31, v23
	v_add_nc_u16 v6, v32, v7
	;; [unrolled: 1-line block ×4, first 2 shown]
	s_clause 0x7
	global_store_b8 v8, v1, s[0:1]
	global_store_b8 v8, v2, s[0:1] offset:192
	global_store_b8 v8, v3, s[0:1] offset:384
	;; [unrolled: 1-line block ×7, first 2 shown]
	s_nop 0
	s_sendmsg sendmsg(MSG_DEALLOC_VGPRS)
	s_endpgm
	.section	.rodata,"a",@progbits
	.p2align	6, 0x0
	.amdhsa_kernel _Z17sort_pairs_kernelI22helper_blocked_stripedaLj192ELj8ELj10EEvPKT0_PS1_
		.amdhsa_group_segment_fixed_size 6176
		.amdhsa_private_segment_fixed_size 0
		.amdhsa_kernarg_size 272
		.amdhsa_user_sgpr_count 15
		.amdhsa_user_sgpr_dispatch_ptr 0
		.amdhsa_user_sgpr_queue_ptr 0
		.amdhsa_user_sgpr_kernarg_segment_ptr 1
		.amdhsa_user_sgpr_dispatch_id 0
		.amdhsa_user_sgpr_private_segment_size 0
		.amdhsa_wavefront_size32 1
		.amdhsa_uses_dynamic_stack 0
		.amdhsa_enable_private_segment 0
		.amdhsa_system_sgpr_workgroup_id_x 1
		.amdhsa_system_sgpr_workgroup_id_y 0
		.amdhsa_system_sgpr_workgroup_id_z 0
		.amdhsa_system_sgpr_workgroup_info 0
		.amdhsa_system_vgpr_workitem_id 2
		.amdhsa_next_free_vgpr 63
		.amdhsa_next_free_sgpr 20
		.amdhsa_reserve_vcc 1
		.amdhsa_float_round_mode_32 0
		.amdhsa_float_round_mode_16_64 0
		.amdhsa_float_denorm_mode_32 3
		.amdhsa_float_denorm_mode_16_64 3
		.amdhsa_dx10_clamp 1
		.amdhsa_ieee_mode 1
		.amdhsa_fp16_overflow 0
		.amdhsa_workgroup_processor_mode 1
		.amdhsa_memory_ordered 1
		.amdhsa_forward_progress 0
		.amdhsa_shared_vgpr_count 0
		.amdhsa_exception_fp_ieee_invalid_op 0
		.amdhsa_exception_fp_denorm_src 0
		.amdhsa_exception_fp_ieee_div_zero 0
		.amdhsa_exception_fp_ieee_overflow 0
		.amdhsa_exception_fp_ieee_underflow 0
		.amdhsa_exception_fp_ieee_inexact 0
		.amdhsa_exception_int_div_zero 0
	.end_amdhsa_kernel
	.section	.text._Z17sort_pairs_kernelI22helper_blocked_stripedaLj192ELj8ELj10EEvPKT0_PS1_,"axG",@progbits,_Z17sort_pairs_kernelI22helper_blocked_stripedaLj192ELj8ELj10EEvPKT0_PS1_,comdat
.Lfunc_end263:
	.size	_Z17sort_pairs_kernelI22helper_blocked_stripedaLj192ELj8ELj10EEvPKT0_PS1_, .Lfunc_end263-_Z17sort_pairs_kernelI22helper_blocked_stripedaLj192ELj8ELj10EEvPKT0_PS1_
                                        ; -- End function
	.section	.AMDGPU.csdata,"",@progbits
; Kernel info:
; codeLenInByte = 5156
; NumSgprs: 22
; NumVgprs: 63
; ScratchSize: 0
; MemoryBound: 0
; FloatMode: 240
; IeeeMode: 1
; LDSByteSize: 6176 bytes/workgroup (compile time only)
; SGPRBlocks: 2
; VGPRBlocks: 7
; NumSGPRsForWavesPerEU: 22
; NumVGPRsForWavesPerEU: 63
; Occupancy: 15
; WaveLimiterHint : 1
; COMPUTE_PGM_RSRC2:SCRATCH_EN: 0
; COMPUTE_PGM_RSRC2:USER_SGPR: 15
; COMPUTE_PGM_RSRC2:TRAP_HANDLER: 0
; COMPUTE_PGM_RSRC2:TGID_X_EN: 1
; COMPUTE_PGM_RSRC2:TGID_Y_EN: 0
; COMPUTE_PGM_RSRC2:TGID_Z_EN: 0
; COMPUTE_PGM_RSRC2:TIDIG_COMP_CNT: 2
	.section	.text._Z16sort_keys_kernelI22helper_blocked_stripedaLj256ELj1ELj10EEvPKT0_PS1_,"axG",@progbits,_Z16sort_keys_kernelI22helper_blocked_stripedaLj256ELj1ELj10EEvPKT0_PS1_,comdat
	.protected	_Z16sort_keys_kernelI22helper_blocked_stripedaLj256ELj1ELj10EEvPKT0_PS1_ ; -- Begin function _Z16sort_keys_kernelI22helper_blocked_stripedaLj256ELj1ELj10EEvPKT0_PS1_
	.globl	_Z16sort_keys_kernelI22helper_blocked_stripedaLj256ELj1ELj10EEvPKT0_PS1_
	.p2align	8
	.type	_Z16sort_keys_kernelI22helper_blocked_stripedaLj256ELj1ELj10EEvPKT0_PS1_,@function
_Z16sort_keys_kernelI22helper_blocked_stripedaLj256ELj1ELj10EEvPKT0_PS1_: ; @_Z16sort_keys_kernelI22helper_blocked_stripedaLj256ELj1ELj10EEvPKT0_PS1_
; %bb.0:
	s_clause 0x1
	s_load_b128 s[16:19], s[0:1], 0x0
	s_load_b32 s9, s[0:1], 0x1c
	s_lshl_b32 s15, s15, 8
	v_and_b32_e32 v8, 0x3ff, v0
	v_mbcnt_lo_u32_b32 v1, -1, 0
	v_bfe_u32 v3, v0, 10, 10
	v_bfe_u32 v0, v0, 20, 10
	s_delay_alu instid0(VALU_DEP_3)
	v_add_nc_u32_e32 v6, -1, v1
	v_and_b32_e32 v4, 15, v1
	v_cmp_eq_u32_e32 vcc_lo, 0, v1
	v_and_b32_e32 v7, 7, v1
	v_and_b32_e32 v5, 16, v1
	v_cmp_gt_i32_e64 s7, 0, v6
	s_delay_alu instid0(VALU_DEP_3) | instskip(NEXT) | instid1(VALU_DEP_3)
	v_cmp_lt_u32_e64 s10, 3, v7
	v_cmp_eq_u32_e64 s4, 0, v5
	s_delay_alu instid0(VALU_DEP_3)
	v_cndmask_b32_e64 v5, v6, v1, s7
	s_waitcnt lgkmcnt(0)
	s_add_u32 s0, s16, s15
	s_addc_u32 s1, s17, 0
	s_lshr_b32 s8, s9, 16
	global_load_u8 v2, v8, s[0:1]
	s_mov_b32 s0, 0
	v_mad_u32_u24 v3, v0, s8, v3
	s_mov_b32 s3, s0
	s_mov_b32 s1, s0
	;; [unrolled: 1-line block ×3, first 2 shown]
	v_mov_b32_e32 v12, s3
	v_dual_mov_b32 v10, s1 :: v_dual_mov_b32 v11, s2
	v_mov_b32_e32 v9, s0
	v_lshrrev_b32_e32 v6, 3, v8
	s_and_b32 s9, s9, 0xffff
	v_lshlrev_b32_e32 v13, 5, v8
	v_cmp_eq_u32_e64 s0, 0, v4
	v_mad_u64_u32 v[0:1], null, v3, s9, v[8:9]
	v_cmp_lt_u32_e64 s1, 1, v4
	v_cmp_lt_u32_e64 s2, 3, v4
	;; [unrolled: 1-line block ×3, first 2 shown]
	v_or_b32_e32 v4, 31, v8
	v_mul_u32_u24_e32 v19, 3, v8
	v_and_b32_e32 v14, 28, v6
	v_cmp_gt_u32_e64 s5, 8, v8
	v_cmp_lt_u32_e64 s6, 31, v8
	v_cmp_eq_u32_e64 s7, 0, v8
	v_cmp_eq_u32_e64 s8, 0, v7
	v_cmp_lt_u32_e64 s9, 1, v7
	v_add_nc_u32_e32 v15, 32, v13
	v_cmp_eq_u32_e64 s11, v4, v8
	v_lshlrev_b32_e32 v16, 2, v5
	v_add_nc_u32_e32 v17, -4, v14
	v_lshrrev_b32_e32 v18, 5, v0
	v_add_nc_u32_e32 v19, v8, v19
	s_mov_b32 s16, 10
	s_waitcnt vmcnt(0)
	v_xor_b32_e32 v20, 0xffffff80, v2
	s_branch .LBB264_2
.LBB264_1:                              ;   in Loop: Header=BB264_2 Depth=1
	s_or_b32 exec_lo, exec_lo, s12
	s_waitcnt lgkmcnt(0)
	v_add_nc_u32_e32 v3, v23, v3
	s_add_i32 s16, s16, -1
	s_delay_alu instid0(SALU_CYCLE_1) | instskip(SKIP_3) | instid1(VALU_DEP_1)
	s_cmp_eq_u32 s16, 0
	ds_bpermute_b32 v3, v16, v3
	s_waitcnt lgkmcnt(0)
	v_cndmask_b32_e32 v3, v3, v23, vcc_lo
	v_cndmask_b32_e64 v3, v3, 0, s7
	s_delay_alu instid0(VALU_DEP_1) | instskip(NEXT) | instid1(VALU_DEP_1)
	v_add_nc_u32_e32 v4, v3, v4
	v_add_nc_u32_e32 v5, v4, v5
	s_delay_alu instid0(VALU_DEP_1) | instskip(NEXT) | instid1(VALU_DEP_1)
	v_add_nc_u32_e32 v6, v5, v6
	v_add_nc_u32_e32 v23, v6, v7
	;; [unrolled: 3-line block ×3, first 2 shown]
	s_delay_alu instid0(VALU_DEP_1)
	v_add_nc_u32_e32 v1, v0, v2
	ds_store_2addr_b64 v13, v[3:4], v[5:6] offset0:4 offset1:5
	ds_store_2addr_b64 v15, v[23:24], v[0:1] offset0:2 offset1:3
	s_waitcnt lgkmcnt(0)
	s_barrier
	buffer_gl0_inv
	ds_load_b32 v0, v22
	s_waitcnt lgkmcnt(0)
	s_barrier
	buffer_gl0_inv
	v_add_nc_u32_e32 v0, v0, v21
	ds_store_b8 v0, v20
	s_waitcnt lgkmcnt(0)
	s_barrier
	buffer_gl0_inv
	ds_load_u8 v20, v8
	s_cbranch_scc1 .LBB264_10
.LBB264_2:                              ; =>This Inner Loop Header: Depth=1
	s_waitcnt lgkmcnt(0)
	s_delay_alu instid0(VALU_DEP_1)
	v_and_b32_e32 v0, 1, v20
	v_lshlrev_b32_e32 v1, 30, v20
	v_lshlrev_b32_e32 v2, 29, v20
	;; [unrolled: 1-line block ×4, first 2 shown]
	v_add_co_u32 v0, s12, v0, -1
	s_delay_alu instid0(VALU_DEP_1)
	v_cndmask_b32_e64 v3, 0, 1, s12
	v_not_b32_e32 v7, v1
	v_cmp_gt_i32_e64 s13, 0, v1
	v_not_b32_e32 v1, v2
	v_lshlrev_b32_e32 v6, 26, v20
	v_cmp_ne_u32_e64 s12, 0, v3
	v_ashrrev_i32_e32 v7, 31, v7
	v_lshlrev_b32_e32 v3, 25, v20
	v_ashrrev_i32_e32 v1, 31, v1
	v_cmp_gt_i32_e64 s14, 0, v5
	v_xor_b32_e32 v0, s12, v0
	v_cmp_gt_i32_e64 s12, 0, v2
	v_not_b32_e32 v2, v4
	v_xor_b32_e32 v7, s13, v7
	v_cmp_gt_i32_e64 s13, 0, v4
	v_and_b32_e32 v0, exec_lo, v0
	v_xor_b32_e32 v1, s12, v1
	v_ashrrev_i32_e32 v2, 31, v2
	v_not_b32_e32 v4, v5
	v_not_b32_e32 v5, v6
	v_and_b32_e32 v0, v0, v7
	v_cmp_gt_i32_e64 s12, 0, v6
	v_xor_b32_e32 v2, s13, v2
	v_not_b32_e32 v6, v3
	ds_store_2addr_b64 v13, v[9:10], v[11:12] offset0:4 offset1:5
	ds_store_2addr_b64 v15, v[9:10], v[11:12] offset0:2 offset1:3
	v_and_b32_e32 v0, v0, v1
	v_ashrrev_i32_e32 v1, 31, v4
	v_ashrrev_i32_e32 v4, 31, v5
	v_lshlrev_b32_e32 v5, 24, v20
	s_waitcnt lgkmcnt(0)
	v_and_b32_e32 v0, v0, v2
	v_xor_b32_e32 v1, s14, v1
	v_xor_b32_e32 v2, s12, v4
	v_cmp_gt_i32_e64 s12, 0, v3
	v_not_b32_e32 v3, v5
	v_ashrrev_i32_e32 v4, 31, v6
	v_and_b32_e32 v0, v0, v1
	v_cmp_gt_i32_e64 s13, 0, v5
	s_barrier
	v_ashrrev_i32_e32 v1, 31, v3
	v_xor_b32_e32 v3, s12, v4
	v_and_b32_e32 v0, v0, v2
	buffer_gl0_inv
	v_xor_b32_e32 v1, s13, v1
	; wave barrier
	v_and_b32_e32 v0, v0, v3
	s_delay_alu instid0(VALU_DEP_1) | instskip(SKIP_1) | instid1(VALU_DEP_2)
	v_and_b32_e32 v0, v0, v1
	v_and_b32_e32 v1, 0xff, v20
	v_mbcnt_lo_u32_b32 v21, v0, 0
	s_delay_alu instid0(VALU_DEP_2) | instskip(SKIP_1) | instid1(VALU_DEP_3)
	v_lshl_add_u32 v1, v1, 3, v18
	v_cmp_ne_u32_e64 s13, 0, v0
	v_cmp_eq_u32_e64 s12, 0, v21
	s_delay_alu instid0(VALU_DEP_3) | instskip(NEXT) | instid1(VALU_DEP_2)
	v_lshl_add_u32 v22, v1, 2, 32
	s_and_b32 s13, s13, s12
	s_delay_alu instid0(SALU_CYCLE_1)
	s_and_saveexec_b32 s12, s13
	s_cbranch_execz .LBB264_4
; %bb.3:                                ;   in Loop: Header=BB264_2 Depth=1
	v_bcnt_u32_b32 v0, v0, 0
	ds_store_b32 v22, v0
.LBB264_4:                              ;   in Loop: Header=BB264_2 Depth=1
	s_or_b32 exec_lo, exec_lo, s12
	; wave barrier
	s_waitcnt lgkmcnt(0)
	s_barrier
	buffer_gl0_inv
	ds_load_2addr_b64 v[4:7], v13 offset0:4 offset1:5
	ds_load_2addr_b64 v[0:3], v15 offset0:2 offset1:3
	s_waitcnt lgkmcnt(1)
	v_add_nc_u32_e32 v23, v5, v4
	s_delay_alu instid0(VALU_DEP_1) | instskip(SKIP_1) | instid1(VALU_DEP_1)
	v_add3_u32 v23, v23, v6, v7
	s_waitcnt lgkmcnt(0)
	v_add3_u32 v23, v23, v0, v1
	s_delay_alu instid0(VALU_DEP_1) | instskip(NEXT) | instid1(VALU_DEP_1)
	v_add3_u32 v3, v23, v2, v3
	v_mov_b32_dpp v23, v3 row_shr:1 row_mask:0xf bank_mask:0xf
	s_delay_alu instid0(VALU_DEP_1) | instskip(NEXT) | instid1(VALU_DEP_1)
	v_cndmask_b32_e64 v23, v23, 0, s0
	v_add_nc_u32_e32 v3, v23, v3
	s_delay_alu instid0(VALU_DEP_1) | instskip(NEXT) | instid1(VALU_DEP_1)
	v_mov_b32_dpp v23, v3 row_shr:2 row_mask:0xf bank_mask:0xf
	v_cndmask_b32_e64 v23, 0, v23, s1
	s_delay_alu instid0(VALU_DEP_1) | instskip(NEXT) | instid1(VALU_DEP_1)
	v_add_nc_u32_e32 v3, v3, v23
	v_mov_b32_dpp v23, v3 row_shr:4 row_mask:0xf bank_mask:0xf
	s_delay_alu instid0(VALU_DEP_1) | instskip(NEXT) | instid1(VALU_DEP_1)
	v_cndmask_b32_e64 v23, 0, v23, s2
	v_add_nc_u32_e32 v3, v3, v23
	s_delay_alu instid0(VALU_DEP_1) | instskip(NEXT) | instid1(VALU_DEP_1)
	v_mov_b32_dpp v23, v3 row_shr:8 row_mask:0xf bank_mask:0xf
	v_cndmask_b32_e64 v23, 0, v23, s3
	s_delay_alu instid0(VALU_DEP_1) | instskip(SKIP_3) | instid1(VALU_DEP_1)
	v_add_nc_u32_e32 v3, v3, v23
	ds_swizzle_b32 v23, v3 offset:swizzle(BROADCAST,32,15)
	s_waitcnt lgkmcnt(0)
	v_cndmask_b32_e64 v23, v23, 0, s4
	v_add_nc_u32_e32 v3, v3, v23
	s_and_saveexec_b32 s12, s11
	s_cbranch_execz .LBB264_6
; %bb.5:                                ;   in Loop: Header=BB264_2 Depth=1
	ds_store_b32 v14, v3
.LBB264_6:                              ;   in Loop: Header=BB264_2 Depth=1
	s_or_b32 exec_lo, exec_lo, s12
	s_waitcnt lgkmcnt(0)
	s_barrier
	buffer_gl0_inv
	s_and_saveexec_b32 s12, s5
	s_cbranch_execz .LBB264_8
; %bb.7:                                ;   in Loop: Header=BB264_2 Depth=1
	ds_load_b32 v23, v19
	s_waitcnt lgkmcnt(0)
	v_mov_b32_dpp v24, v23 row_shr:1 row_mask:0xf bank_mask:0xf
	s_delay_alu instid0(VALU_DEP_1) | instskip(NEXT) | instid1(VALU_DEP_1)
	v_cndmask_b32_e64 v24, v24, 0, s8
	v_add_nc_u32_e32 v23, v24, v23
	s_delay_alu instid0(VALU_DEP_1) | instskip(NEXT) | instid1(VALU_DEP_1)
	v_mov_b32_dpp v24, v23 row_shr:2 row_mask:0xf bank_mask:0xf
	v_cndmask_b32_e64 v24, 0, v24, s9
	s_delay_alu instid0(VALU_DEP_1) | instskip(NEXT) | instid1(VALU_DEP_1)
	v_add_nc_u32_e32 v23, v23, v24
	v_mov_b32_dpp v24, v23 row_shr:4 row_mask:0xf bank_mask:0xf
	s_delay_alu instid0(VALU_DEP_1) | instskip(NEXT) | instid1(VALU_DEP_1)
	v_cndmask_b32_e64 v24, 0, v24, s10
	v_add_nc_u32_e32 v23, v23, v24
	ds_store_b32 v19, v23
.LBB264_8:                              ;   in Loop: Header=BB264_2 Depth=1
	s_or_b32 exec_lo, exec_lo, s12
	v_mov_b32_e32 v23, 0
	s_waitcnt lgkmcnt(0)
	s_barrier
	buffer_gl0_inv
	s_and_saveexec_b32 s12, s6
	s_cbranch_execz .LBB264_1
; %bb.9:                                ;   in Loop: Header=BB264_2 Depth=1
	ds_load_b32 v23, v17
	s_branch .LBB264_1
.LBB264_10:
	s_add_u32 s0, s18, s15
	s_addc_u32 s1, s19, 0
	v_add_co_u32 v0, s0, s0, v8
	s_waitcnt lgkmcnt(0)
	v_xor_b32_e32 v2, 0x80, v20
	v_add_co_ci_u32_e64 v1, null, s1, 0, s0
	global_store_b8 v[0:1], v2, off
	s_nop 0
	s_sendmsg sendmsg(MSG_DEALLOC_VGPRS)
	s_endpgm
	.section	.rodata,"a",@progbits
	.p2align	6, 0x0
	.amdhsa_kernel _Z16sort_keys_kernelI22helper_blocked_stripedaLj256ELj1ELj10EEvPKT0_PS1_
		.amdhsa_group_segment_fixed_size 8224
		.amdhsa_private_segment_fixed_size 0
		.amdhsa_kernarg_size 272
		.amdhsa_user_sgpr_count 15
		.amdhsa_user_sgpr_dispatch_ptr 0
		.amdhsa_user_sgpr_queue_ptr 0
		.amdhsa_user_sgpr_kernarg_segment_ptr 1
		.amdhsa_user_sgpr_dispatch_id 0
		.amdhsa_user_sgpr_private_segment_size 0
		.amdhsa_wavefront_size32 1
		.amdhsa_uses_dynamic_stack 0
		.amdhsa_enable_private_segment 0
		.amdhsa_system_sgpr_workgroup_id_x 1
		.amdhsa_system_sgpr_workgroup_id_y 0
		.amdhsa_system_sgpr_workgroup_id_z 0
		.amdhsa_system_sgpr_workgroup_info 0
		.amdhsa_system_vgpr_workitem_id 2
		.amdhsa_next_free_vgpr 25
		.amdhsa_next_free_sgpr 20
		.amdhsa_reserve_vcc 1
		.amdhsa_float_round_mode_32 0
		.amdhsa_float_round_mode_16_64 0
		.amdhsa_float_denorm_mode_32 3
		.amdhsa_float_denorm_mode_16_64 3
		.amdhsa_dx10_clamp 1
		.amdhsa_ieee_mode 1
		.amdhsa_fp16_overflow 0
		.amdhsa_workgroup_processor_mode 1
		.amdhsa_memory_ordered 1
		.amdhsa_forward_progress 0
		.amdhsa_shared_vgpr_count 0
		.amdhsa_exception_fp_ieee_invalid_op 0
		.amdhsa_exception_fp_denorm_src 0
		.amdhsa_exception_fp_ieee_div_zero 0
		.amdhsa_exception_fp_ieee_overflow 0
		.amdhsa_exception_fp_ieee_underflow 0
		.amdhsa_exception_fp_ieee_inexact 0
		.amdhsa_exception_int_div_zero 0
	.end_amdhsa_kernel
	.section	.text._Z16sort_keys_kernelI22helper_blocked_stripedaLj256ELj1ELj10EEvPKT0_PS1_,"axG",@progbits,_Z16sort_keys_kernelI22helper_blocked_stripedaLj256ELj1ELj10EEvPKT0_PS1_,comdat
.Lfunc_end264:
	.size	_Z16sort_keys_kernelI22helper_blocked_stripedaLj256ELj1ELj10EEvPKT0_PS1_, .Lfunc_end264-_Z16sort_keys_kernelI22helper_blocked_stripedaLj256ELj1ELj10EEvPKT0_PS1_
                                        ; -- End function
	.section	.AMDGPU.csdata,"",@progbits
; Kernel info:
; codeLenInByte = 1344
; NumSgprs: 22
; NumVgprs: 25
; ScratchSize: 0
; MemoryBound: 0
; FloatMode: 240
; IeeeMode: 1
; LDSByteSize: 8224 bytes/workgroup (compile time only)
; SGPRBlocks: 2
; VGPRBlocks: 3
; NumSGPRsForWavesPerEU: 22
; NumVGPRsForWavesPerEU: 25
; Occupancy: 16
; WaveLimiterHint : 0
; COMPUTE_PGM_RSRC2:SCRATCH_EN: 0
; COMPUTE_PGM_RSRC2:USER_SGPR: 15
; COMPUTE_PGM_RSRC2:TRAP_HANDLER: 0
; COMPUTE_PGM_RSRC2:TGID_X_EN: 1
; COMPUTE_PGM_RSRC2:TGID_Y_EN: 0
; COMPUTE_PGM_RSRC2:TGID_Z_EN: 0
; COMPUTE_PGM_RSRC2:TIDIG_COMP_CNT: 2
	.section	.text._Z17sort_pairs_kernelI22helper_blocked_stripedaLj256ELj1ELj10EEvPKT0_PS1_,"axG",@progbits,_Z17sort_pairs_kernelI22helper_blocked_stripedaLj256ELj1ELj10EEvPKT0_PS1_,comdat
	.protected	_Z17sort_pairs_kernelI22helper_blocked_stripedaLj256ELj1ELj10EEvPKT0_PS1_ ; -- Begin function _Z17sort_pairs_kernelI22helper_blocked_stripedaLj256ELj1ELj10EEvPKT0_PS1_
	.globl	_Z17sort_pairs_kernelI22helper_blocked_stripedaLj256ELj1ELj10EEvPKT0_PS1_
	.p2align	8
	.type	_Z17sort_pairs_kernelI22helper_blocked_stripedaLj256ELj1ELj10EEvPKT0_PS1_,@function
_Z17sort_pairs_kernelI22helper_blocked_stripedaLj256ELj1ELj10EEvPKT0_PS1_: ; @_Z17sort_pairs_kernelI22helper_blocked_stripedaLj256ELj1ELj10EEvPKT0_PS1_
; %bb.0:
	s_clause 0x1
	s_load_b128 s[16:19], s[0:1], 0x0
	s_load_b32 s9, s[0:1], 0x1c
	s_lshl_b32 s15, s15, 8
	v_and_b32_e32 v8, 0x3ff, v0
	v_mbcnt_lo_u32_b32 v1, -1, 0
	v_bfe_u32 v3, v0, 10, 10
	v_bfe_u32 v0, v0, 20, 10
	s_delay_alu instid0(VALU_DEP_3)
	v_add_nc_u32_e32 v6, -1, v1
	v_and_b32_e32 v4, 15, v1
	v_cmp_eq_u32_e32 vcc_lo, 0, v1
	v_and_b32_e32 v7, 7, v1
	v_and_b32_e32 v5, 16, v1
	v_cmp_gt_i32_e64 s7, 0, v6
	s_delay_alu instid0(VALU_DEP_3) | instskip(NEXT) | instid1(VALU_DEP_3)
	v_cmp_lt_u32_e64 s10, 3, v7
	v_cmp_eq_u32_e64 s4, 0, v5
	s_delay_alu instid0(VALU_DEP_3)
	v_cndmask_b32_e64 v5, v6, v1, s7
	s_waitcnt lgkmcnt(0)
	s_add_u32 s0, s16, s15
	s_addc_u32 s1, s17, 0
	s_lshr_b32 s8, s9, 16
	global_load_u8 v2, v8, s[0:1]
	s_mov_b32 s0, 0
	v_mad_u32_u24 v3, v0, s8, v3
	s_mov_b32 s3, s0
	s_mov_b32 s1, s0
	s_mov_b32 s2, s0
	v_mov_b32_e32 v12, s3
	v_dual_mov_b32 v10, s1 :: v_dual_mov_b32 v11, s2
	v_mov_b32_e32 v9, s0
	v_lshrrev_b32_e32 v6, 3, v8
	s_and_b32 s9, s9, 0xffff
	v_lshlrev_b32_e32 v13, 5, v8
	v_cmp_eq_u32_e64 s0, 0, v4
	v_mad_u64_u32 v[0:1], null, v3, s9, v[8:9]
	v_cmp_lt_u32_e64 s1, 1, v4
	v_cmp_lt_u32_e64 s2, 3, v4
	;; [unrolled: 1-line block ×3, first 2 shown]
	v_or_b32_e32 v4, 31, v8
	v_mul_u32_u24_e32 v19, 3, v8
	v_and_b32_e32 v14, 28, v6
	v_cmp_gt_u32_e64 s5, 8, v8
	v_cmp_lt_u32_e64 s6, 31, v8
	v_cmp_eq_u32_e64 s7, 0, v8
	v_cmp_eq_u32_e64 s8, 0, v7
	v_cmp_lt_u32_e64 s9, 1, v7
	v_add_nc_u32_e32 v15, 32, v13
	v_cmp_eq_u32_e64 s11, v4, v8
	v_lshlrev_b32_e32 v16, 2, v5
	v_add_nc_u32_e32 v17, -4, v14
	v_lshrrev_b32_e32 v18, 5, v0
	v_add_nc_u32_e32 v19, v8, v19
	s_mov_b32 s16, 10
	s_waitcnt vmcnt(0)
	v_add_nc_u16 v20, v2, 1
	v_xor_b32_e32 v21, 0xffffff80, v2
	s_branch .LBB265_2
.LBB265_1:                              ;   in Loop: Header=BB265_2 Depth=1
	s_or_b32 exec_lo, exec_lo, s12
	s_waitcnt lgkmcnt(0)
	v_add_nc_u32_e32 v3, v24, v3
	s_add_i32 s16, s16, -1
	s_delay_alu instid0(SALU_CYCLE_1) | instskip(SKIP_3) | instid1(VALU_DEP_1)
	s_cmp_lg_u32 s16, 0
	ds_bpermute_b32 v3, v16, v3
	s_waitcnt lgkmcnt(0)
	v_cndmask_b32_e32 v3, v3, v24, vcc_lo
	v_cndmask_b32_e64 v3, v3, 0, s7
	s_delay_alu instid0(VALU_DEP_1) | instskip(NEXT) | instid1(VALU_DEP_1)
	v_add_nc_u32_e32 v4, v3, v4
	v_add_nc_u32_e32 v5, v4, v5
	s_delay_alu instid0(VALU_DEP_1) | instskip(NEXT) | instid1(VALU_DEP_1)
	v_add_nc_u32_e32 v6, v5, v6
	v_add_nc_u32_e32 v24, v6, v7
	s_delay_alu instid0(VALU_DEP_1) | instskip(NEXT) | instid1(VALU_DEP_1)
	v_add_nc_u32_e32 v25, v24, v0
	v_add_nc_u32_e32 v0, v25, v1
	s_delay_alu instid0(VALU_DEP_1)
	v_add_nc_u32_e32 v1, v0, v2
	ds_store_2addr_b64 v13, v[3:4], v[5:6] offset0:4 offset1:5
	ds_store_2addr_b64 v15, v[24:25], v[0:1] offset0:2 offset1:3
	s_waitcnt lgkmcnt(0)
	s_barrier
	buffer_gl0_inv
	ds_load_b32 v0, v23
	s_waitcnt lgkmcnt(0)
	s_barrier
	buffer_gl0_inv
	v_add_nc_u32_e32 v0, v0, v22
	ds_store_b8 v0, v21
	s_waitcnt lgkmcnt(0)
	s_barrier
	buffer_gl0_inv
	ds_load_u8 v21, v8
	s_waitcnt lgkmcnt(0)
	s_barrier
	buffer_gl0_inv
	ds_store_b8 v0, v20
	s_waitcnt lgkmcnt(0)
	s_barrier
	buffer_gl0_inv
	ds_load_u8 v20, v8
	s_cbranch_scc0 .LBB265_10
.LBB265_2:                              ; =>This Inner Loop Header: Depth=1
	s_delay_alu instid0(VALU_DEP_1)
	v_and_b32_e32 v0, 1, v21
	v_lshlrev_b32_e32 v1, 30, v21
	v_lshlrev_b32_e32 v2, 29, v21
	;; [unrolled: 1-line block ×4, first 2 shown]
	v_add_co_u32 v0, s12, v0, -1
	s_delay_alu instid0(VALU_DEP_1)
	v_cndmask_b32_e64 v3, 0, 1, s12
	v_not_b32_e32 v7, v1
	v_cmp_gt_i32_e64 s13, 0, v1
	v_not_b32_e32 v1, v2
	v_lshlrev_b32_e32 v6, 26, v21
	v_cmp_ne_u32_e64 s12, 0, v3
	v_ashrrev_i32_e32 v7, 31, v7
	v_lshlrev_b32_e32 v3, 25, v21
	v_ashrrev_i32_e32 v1, 31, v1
	v_cmp_gt_i32_e64 s14, 0, v5
	v_xor_b32_e32 v0, s12, v0
	v_cmp_gt_i32_e64 s12, 0, v2
	v_not_b32_e32 v2, v4
	v_xor_b32_e32 v7, s13, v7
	v_cmp_gt_i32_e64 s13, 0, v4
	v_and_b32_e32 v0, exec_lo, v0
	v_xor_b32_e32 v1, s12, v1
	v_ashrrev_i32_e32 v2, 31, v2
	v_not_b32_e32 v4, v5
	v_not_b32_e32 v5, v6
	v_and_b32_e32 v0, v0, v7
	v_cmp_gt_i32_e64 s12, 0, v6
	v_xor_b32_e32 v2, s13, v2
	v_not_b32_e32 v6, v3
	ds_store_2addr_b64 v13, v[9:10], v[11:12] offset0:4 offset1:5
	ds_store_2addr_b64 v15, v[9:10], v[11:12] offset0:2 offset1:3
	v_and_b32_e32 v0, v0, v1
	v_ashrrev_i32_e32 v1, 31, v4
	v_ashrrev_i32_e32 v4, 31, v5
	v_lshlrev_b32_e32 v5, 24, v21
	s_waitcnt lgkmcnt(0)
	v_and_b32_e32 v0, v0, v2
	v_xor_b32_e32 v1, s14, v1
	v_xor_b32_e32 v2, s12, v4
	v_cmp_gt_i32_e64 s12, 0, v3
	v_not_b32_e32 v3, v5
	v_ashrrev_i32_e32 v4, 31, v6
	v_and_b32_e32 v0, v0, v1
	v_cmp_gt_i32_e64 s13, 0, v5
	s_barrier
	v_ashrrev_i32_e32 v1, 31, v3
	v_xor_b32_e32 v3, s12, v4
	v_and_b32_e32 v0, v0, v2
	buffer_gl0_inv
	v_xor_b32_e32 v1, s13, v1
	; wave barrier
	v_and_b32_e32 v0, v0, v3
	s_delay_alu instid0(VALU_DEP_1) | instskip(SKIP_1) | instid1(VALU_DEP_2)
	v_and_b32_e32 v0, v0, v1
	v_and_b32_e32 v1, 0xff, v21
	v_mbcnt_lo_u32_b32 v22, v0, 0
	s_delay_alu instid0(VALU_DEP_2) | instskip(SKIP_1) | instid1(VALU_DEP_3)
	v_lshl_add_u32 v1, v1, 3, v18
	v_cmp_ne_u32_e64 s13, 0, v0
	v_cmp_eq_u32_e64 s12, 0, v22
	s_delay_alu instid0(VALU_DEP_3) | instskip(NEXT) | instid1(VALU_DEP_2)
	v_lshl_add_u32 v23, v1, 2, 32
	s_and_b32 s13, s13, s12
	s_delay_alu instid0(SALU_CYCLE_1)
	s_and_saveexec_b32 s12, s13
	s_cbranch_execz .LBB265_4
; %bb.3:                                ;   in Loop: Header=BB265_2 Depth=1
	v_bcnt_u32_b32 v0, v0, 0
	ds_store_b32 v23, v0
.LBB265_4:                              ;   in Loop: Header=BB265_2 Depth=1
	s_or_b32 exec_lo, exec_lo, s12
	; wave barrier
	s_waitcnt lgkmcnt(0)
	s_barrier
	buffer_gl0_inv
	ds_load_2addr_b64 v[4:7], v13 offset0:4 offset1:5
	ds_load_2addr_b64 v[0:3], v15 offset0:2 offset1:3
	s_waitcnt lgkmcnt(1)
	v_add_nc_u32_e32 v24, v5, v4
	s_delay_alu instid0(VALU_DEP_1) | instskip(SKIP_1) | instid1(VALU_DEP_1)
	v_add3_u32 v24, v24, v6, v7
	s_waitcnt lgkmcnt(0)
	v_add3_u32 v24, v24, v0, v1
	s_delay_alu instid0(VALU_DEP_1) | instskip(NEXT) | instid1(VALU_DEP_1)
	v_add3_u32 v3, v24, v2, v3
	v_mov_b32_dpp v24, v3 row_shr:1 row_mask:0xf bank_mask:0xf
	s_delay_alu instid0(VALU_DEP_1) | instskip(NEXT) | instid1(VALU_DEP_1)
	v_cndmask_b32_e64 v24, v24, 0, s0
	v_add_nc_u32_e32 v3, v24, v3
	s_delay_alu instid0(VALU_DEP_1) | instskip(NEXT) | instid1(VALU_DEP_1)
	v_mov_b32_dpp v24, v3 row_shr:2 row_mask:0xf bank_mask:0xf
	v_cndmask_b32_e64 v24, 0, v24, s1
	s_delay_alu instid0(VALU_DEP_1) | instskip(NEXT) | instid1(VALU_DEP_1)
	v_add_nc_u32_e32 v3, v3, v24
	v_mov_b32_dpp v24, v3 row_shr:4 row_mask:0xf bank_mask:0xf
	s_delay_alu instid0(VALU_DEP_1) | instskip(NEXT) | instid1(VALU_DEP_1)
	v_cndmask_b32_e64 v24, 0, v24, s2
	v_add_nc_u32_e32 v3, v3, v24
	s_delay_alu instid0(VALU_DEP_1) | instskip(NEXT) | instid1(VALU_DEP_1)
	v_mov_b32_dpp v24, v3 row_shr:8 row_mask:0xf bank_mask:0xf
	v_cndmask_b32_e64 v24, 0, v24, s3
	s_delay_alu instid0(VALU_DEP_1) | instskip(SKIP_3) | instid1(VALU_DEP_1)
	v_add_nc_u32_e32 v3, v3, v24
	ds_swizzle_b32 v24, v3 offset:swizzle(BROADCAST,32,15)
	s_waitcnt lgkmcnt(0)
	v_cndmask_b32_e64 v24, v24, 0, s4
	v_add_nc_u32_e32 v3, v3, v24
	s_and_saveexec_b32 s12, s11
	s_cbranch_execz .LBB265_6
; %bb.5:                                ;   in Loop: Header=BB265_2 Depth=1
	ds_store_b32 v14, v3
.LBB265_6:                              ;   in Loop: Header=BB265_2 Depth=1
	s_or_b32 exec_lo, exec_lo, s12
	s_waitcnt lgkmcnt(0)
	s_barrier
	buffer_gl0_inv
	s_and_saveexec_b32 s12, s5
	s_cbranch_execz .LBB265_8
; %bb.7:                                ;   in Loop: Header=BB265_2 Depth=1
	ds_load_b32 v24, v19
	s_waitcnt lgkmcnt(0)
	v_mov_b32_dpp v25, v24 row_shr:1 row_mask:0xf bank_mask:0xf
	s_delay_alu instid0(VALU_DEP_1) | instskip(NEXT) | instid1(VALU_DEP_1)
	v_cndmask_b32_e64 v25, v25, 0, s8
	v_add_nc_u32_e32 v24, v25, v24
	s_delay_alu instid0(VALU_DEP_1) | instskip(NEXT) | instid1(VALU_DEP_1)
	v_mov_b32_dpp v25, v24 row_shr:2 row_mask:0xf bank_mask:0xf
	v_cndmask_b32_e64 v25, 0, v25, s9
	s_delay_alu instid0(VALU_DEP_1) | instskip(NEXT) | instid1(VALU_DEP_1)
	v_add_nc_u32_e32 v24, v24, v25
	v_mov_b32_dpp v25, v24 row_shr:4 row_mask:0xf bank_mask:0xf
	s_delay_alu instid0(VALU_DEP_1) | instskip(NEXT) | instid1(VALU_DEP_1)
	v_cndmask_b32_e64 v25, 0, v25, s10
	v_add_nc_u32_e32 v24, v24, v25
	ds_store_b32 v19, v24
.LBB265_8:                              ;   in Loop: Header=BB265_2 Depth=1
	s_or_b32 exec_lo, exec_lo, s12
	v_mov_b32_e32 v24, 0
	s_waitcnt lgkmcnt(0)
	s_barrier
	buffer_gl0_inv
	s_and_saveexec_b32 s12, s6
	s_cbranch_execz .LBB265_1
; %bb.9:                                ;   in Loop: Header=BB265_2 Depth=1
	ds_load_b32 v24, v17
	s_branch .LBB265_1
.LBB265_10:
	s_waitcnt lgkmcnt(0)
	v_add_nc_u16 v0, v20, v21
	s_add_u32 s0, s18, s15
	s_addc_u32 s1, s19, 0
	s_delay_alu instid0(VALU_DEP_1) | instskip(SKIP_1) | instid1(VALU_DEP_1)
	v_add_nc_u16 v2, v0, 0xff80
	v_add_co_u32 v0, s0, s0, v8
	v_add_co_ci_u32_e64 v1, null, s1, 0, s0
	global_store_b8 v[0:1], v2, off
	s_nop 0
	s_sendmsg sendmsg(MSG_DEALLOC_VGPRS)
	s_endpgm
	.section	.rodata,"a",@progbits
	.p2align	6, 0x0
	.amdhsa_kernel _Z17sort_pairs_kernelI22helper_blocked_stripedaLj256ELj1ELj10EEvPKT0_PS1_
		.amdhsa_group_segment_fixed_size 8224
		.amdhsa_private_segment_fixed_size 0
		.amdhsa_kernarg_size 272
		.amdhsa_user_sgpr_count 15
		.amdhsa_user_sgpr_dispatch_ptr 0
		.amdhsa_user_sgpr_queue_ptr 0
		.amdhsa_user_sgpr_kernarg_segment_ptr 1
		.amdhsa_user_sgpr_dispatch_id 0
		.amdhsa_user_sgpr_private_segment_size 0
		.amdhsa_wavefront_size32 1
		.amdhsa_uses_dynamic_stack 0
		.amdhsa_enable_private_segment 0
		.amdhsa_system_sgpr_workgroup_id_x 1
		.amdhsa_system_sgpr_workgroup_id_y 0
		.amdhsa_system_sgpr_workgroup_id_z 0
		.amdhsa_system_sgpr_workgroup_info 0
		.amdhsa_system_vgpr_workitem_id 2
		.amdhsa_next_free_vgpr 26
		.amdhsa_next_free_sgpr 20
		.amdhsa_reserve_vcc 1
		.amdhsa_float_round_mode_32 0
		.amdhsa_float_round_mode_16_64 0
		.amdhsa_float_denorm_mode_32 3
		.amdhsa_float_denorm_mode_16_64 3
		.amdhsa_dx10_clamp 1
		.amdhsa_ieee_mode 1
		.amdhsa_fp16_overflow 0
		.amdhsa_workgroup_processor_mode 1
		.amdhsa_memory_ordered 1
		.amdhsa_forward_progress 0
		.amdhsa_shared_vgpr_count 0
		.amdhsa_exception_fp_ieee_invalid_op 0
		.amdhsa_exception_fp_denorm_src 0
		.amdhsa_exception_fp_ieee_div_zero 0
		.amdhsa_exception_fp_ieee_overflow 0
		.amdhsa_exception_fp_ieee_underflow 0
		.amdhsa_exception_fp_ieee_inexact 0
		.amdhsa_exception_int_div_zero 0
	.end_amdhsa_kernel
	.section	.text._Z17sort_pairs_kernelI22helper_blocked_stripedaLj256ELj1ELj10EEvPKT0_PS1_,"axG",@progbits,_Z17sort_pairs_kernelI22helper_blocked_stripedaLj256ELj1ELj10EEvPKT0_PS1_,comdat
.Lfunc_end265:
	.size	_Z17sort_pairs_kernelI22helper_blocked_stripedaLj256ELj1ELj10EEvPKT0_PS1_, .Lfunc_end265-_Z17sort_pairs_kernelI22helper_blocked_stripedaLj256ELj1ELj10EEvPKT0_PS1_
                                        ; -- End function
	.section	.AMDGPU.csdata,"",@progbits
; Kernel info:
; codeLenInByte = 1412
; NumSgprs: 22
; NumVgprs: 26
; ScratchSize: 0
; MemoryBound: 0
; FloatMode: 240
; IeeeMode: 1
; LDSByteSize: 8224 bytes/workgroup (compile time only)
; SGPRBlocks: 2
; VGPRBlocks: 3
; NumSGPRsForWavesPerEU: 22
; NumVGPRsForWavesPerEU: 26
; Occupancy: 16
; WaveLimiterHint : 0
; COMPUTE_PGM_RSRC2:SCRATCH_EN: 0
; COMPUTE_PGM_RSRC2:USER_SGPR: 15
; COMPUTE_PGM_RSRC2:TRAP_HANDLER: 0
; COMPUTE_PGM_RSRC2:TGID_X_EN: 1
; COMPUTE_PGM_RSRC2:TGID_Y_EN: 0
; COMPUTE_PGM_RSRC2:TGID_Z_EN: 0
; COMPUTE_PGM_RSRC2:TIDIG_COMP_CNT: 2
	.section	.text._Z16sort_keys_kernelI22helper_blocked_stripedaLj256ELj3ELj10EEvPKT0_PS1_,"axG",@progbits,_Z16sort_keys_kernelI22helper_blocked_stripedaLj256ELj3ELj10EEvPKT0_PS1_,comdat
	.protected	_Z16sort_keys_kernelI22helper_blocked_stripedaLj256ELj3ELj10EEvPKT0_PS1_ ; -- Begin function _Z16sort_keys_kernelI22helper_blocked_stripedaLj256ELj3ELj10EEvPKT0_PS1_
	.globl	_Z16sort_keys_kernelI22helper_blocked_stripedaLj256ELj3ELj10EEvPKT0_PS1_
	.p2align	8
	.type	_Z16sort_keys_kernelI22helper_blocked_stripedaLj256ELj3ELj10EEvPKT0_PS1_,@function
_Z16sort_keys_kernelI22helper_blocked_stripedaLj256ELj3ELj10EEvPKT0_PS1_: ; @_Z16sort_keys_kernelI22helper_blocked_stripedaLj256ELj3ELj10EEvPKT0_PS1_
; %bb.0:
	s_clause 0x1
	s_load_b128 s[16:19], s[0:1], 0x0
	s_load_b32 s11, s[0:1], 0x1c
	v_and_b32_e32 v8, 0x3ff, v0
	s_mul_i32 s14, s15, 0x300
	v_mbcnt_lo_u32_b32 v4, -1, 0
	v_bfe_u32 v6, v0, 10, 10
	v_bfe_u32 v0, v0, 20, 10
	v_mul_u32_u24_e32 v2, 3, v8
	s_mov_b32 s15, 10
	v_and_b32_e32 v14, 16, v4
	v_add_nc_u32_e32 v15, -1, v4
	v_mul_u32_u24_e32 v5, 3, v4
	v_and_b32_e32 v16, 7, v4
	v_cmp_eq_u32_e32 vcc_lo, 0, v4
	v_cmp_eq_u32_e64 s4, 0, v14
	v_cmp_gt_i32_e64 s7, 0, v15
	v_and_b32_e32 v7, 15, v4
	v_cmp_eq_u32_e64 s8, 0, v16
	v_cmp_lt_u32_e64 s9, 1, v16
	v_cmp_lt_u32_e64 s10, 3, v16
	s_waitcnt lgkmcnt(0)
	s_add_u32 s0, s16, s14
	s_addc_u32 s1, s17, 0
	s_clause 0x1
	global_load_u16 v1, v2, s[0:1]
	global_load_u8 v3, v2, s[0:1] offset:2
	s_mov_b32 s0, 0
	v_cndmask_b32_e64 v18, v15, v4, s7
	s_mov_b32 s1, s0
	s_lshr_b32 s12, s11, 16
	s_mov_b32 s2, s0
	s_mov_b32 s3, s0
	v_dual_mov_b32 v10, s1 :: v_dual_mov_b32 v9, s0
	v_mad_u32_u24 v6, v0, s12, v6
	v_mov_b32_e32 v12, s3
	v_lshrrev_b32_e32 v17, 5, v8
	s_and_b32 s11, s11, 0xffff
	v_mov_b32_e32 v11, s2
	v_lshlrev_b32_e32 v13, 5, v8
	v_cmp_eq_u32_e64 s0, 0, v7
	v_cmp_lt_u32_e64 s1, 1, v7
	v_cmp_lt_u32_e64 s2, 3, v7
	;; [unrolled: 1-line block ×3, first 2 shown]
	v_or_b32_e32 v7, 31, v8
	v_mul_u32_u24_e32 v19, 0x60, v17
	v_cmp_gt_u32_e64 s5, 8, v8
	v_cmp_lt_u32_e64 s6, 31, v8
	v_cmp_eq_u32_e64 s7, 0, v8
	v_lshlrev_b32_e32 v16, 2, v18
	v_add_nc_u32_e32 v21, v8, v2
	s_waitcnt vmcnt(1)
	v_lshrrev_b32_e32 v14, 8, v1
	v_and_b32_e32 v1, 0xff, v1
	s_delay_alu instid0(VALU_DEP_2) | instskip(SKIP_1) | instid1(VALU_DEP_2)
	v_lshlrev_b16 v15, 8, v14
	v_add_nc_u32_e32 v14, 32, v13
	v_or_b32_e32 v20, v1, v15
	v_mad_u64_u32 v[0:1], null, v6, s11, v[8:9]
	v_lshlrev_b32_e32 v15, 2, v17
	v_cmp_eq_u32_e64 s11, v7, v8
	s_delay_alu instid0(VALU_DEP_4)
	v_and_b32_e32 v1, 0xffff, v20
	v_or_b32_e32 v17, v4, v19
	v_add_nc_u32_e32 v19, v5, v19
	v_add_nc_u32_e32 v18, -4, v15
	v_lshrrev_b32_e32 v20, 5, v0
	s_waitcnt vmcnt(0)
	v_lshl_or_b32 v3, v3, 16, v1
	s_branch .LBB266_2
.LBB266_1:                              ;   in Loop: Header=BB266_2 Depth=1
	s_or_b32 exec_lo, exec_lo, s12
	s_waitcnt lgkmcnt(0)
	v_add_nc_u32_e32 v3, v33, v3
	s_add_i32 s15, s15, -1
	s_delay_alu instid0(SALU_CYCLE_1) | instskip(SKIP_3) | instid1(VALU_DEP_1)
	s_cmp_eq_u32 s15, 0
	ds_bpermute_b32 v3, v16, v3
	s_waitcnt lgkmcnt(0)
	v_cndmask_b32_e32 v3, v3, v33, vcc_lo
	v_cndmask_b32_e64 v3, v3, 0, s7
	s_delay_alu instid0(VALU_DEP_1) | instskip(NEXT) | instid1(VALU_DEP_1)
	v_add_nc_u32_e32 v4, v3, v4
	v_add_nc_u32_e32 v5, v4, v5
	s_delay_alu instid0(VALU_DEP_1) | instskip(NEXT) | instid1(VALU_DEP_1)
	v_add_nc_u32_e32 v6, v5, v6
	v_add_nc_u32_e32 v33, v6, v7
	s_delay_alu instid0(VALU_DEP_1) | instskip(NEXT) | instid1(VALU_DEP_1)
	v_add_nc_u32_e32 v34, v33, v0
	v_add_nc_u32_e32 v0, v34, v1
	s_delay_alu instid0(VALU_DEP_1)
	v_add_nc_u32_e32 v1, v0, v2
	ds_store_2addr_b64 v13, v[3:4], v[5:6] offset0:4 offset1:5
	ds_store_2addr_b64 v14, v[33:34], v[0:1] offset0:2 offset1:3
	s_waitcnt lgkmcnt(0)
	s_barrier
	buffer_gl0_inv
	ds_load_b32 v0, v26
	ds_load_b32 v1, v29
	ds_load_b32 v2, v32
	s_waitcnt lgkmcnt(0)
	s_barrier
	buffer_gl0_inv
	v_add_nc_u32_e32 v0, v0, v25
	v_add3_u32 v1, v28, v27, v1
	v_add3_u32 v2, v31, v30, v2
	ds_store_b8 v0, v22
	ds_store_b8 v1, v23
	;; [unrolled: 1-line block ×3, first 2 shown]
	s_waitcnt lgkmcnt(0)
	s_barrier
	buffer_gl0_inv
	ds_load_u8 v0, v8 offset:256
	ds_load_u8 v1, v8
	ds_load_u8 v3, v8 offset:512
	s_waitcnt lgkmcnt(2)
	v_xor_b32_e32 v0, 0xffffff80, v0
	s_waitcnt lgkmcnt(1)
	v_xor_b32_e32 v2, 0xffffff80, v1
	;; [unrolled: 2-line block ×3, first 2 shown]
	v_lshlrev_b16 v3, 8, v0
	s_delay_alu instid0(VALU_DEP_3) | instskip(NEXT) | instid1(VALU_DEP_3)
	v_and_b32_e32 v4, 0xff, v2
	v_and_b32_e32 v5, 0xff, v1
	s_delay_alu instid0(VALU_DEP_2) | instskip(NEXT) | instid1(VALU_DEP_2)
	v_or_b32_e32 v3, v4, v3
	v_lshlrev_b32_e32 v4, 16, v5
	s_delay_alu instid0(VALU_DEP_2) | instskip(NEXT) | instid1(VALU_DEP_1)
	v_and_b32_e32 v3, 0xffff, v3
	v_or_b32_e32 v3, v3, v4
	s_cbranch_scc1 .LBB266_14
.LBB266_2:                              ; =>This Inner Loop Header: Depth=1
	s_delay_alu instid0(VALU_DEP_1) | instskip(SKIP_2) | instid1(VALU_DEP_3)
	v_lshrrev_b32_e32 v0, 8, v3
	v_lshrrev_b32_e32 v1, 16, v3
	v_xor_b32_e32 v2, 0x80, v3
	v_xor_b32_e32 v0, 0x80, v0
	s_delay_alu instid0(VALU_DEP_3)
	v_xor_b32_e32 v1, 0x80, v1
	ds_store_b8 v19, v2
	ds_store_b8 v19, v0 offset:1
	ds_store_b8 v19, v1 offset:2
	; wave barrier
	ds_load_u8 v22, v17
	ds_load_u8 v23, v17 offset:32
	ds_load_u8 v24, v17 offset:64
	; wave barrier
	; wave barrier
	s_waitcnt lgkmcnt(0)
	s_barrier
	buffer_gl0_inv
	ds_store_2addr_b64 v13, v[9:10], v[11:12] offset0:4 offset1:5
	ds_store_2addr_b64 v14, v[9:10], v[11:12] offset0:2 offset1:3
	s_waitcnt lgkmcnt(0)
	s_barrier
	buffer_gl0_inv
	; wave barrier
	v_and_b32_e32 v0, 1, v22
	v_lshlrev_b32_e32 v1, 30, v22
	v_lshlrev_b32_e32 v2, 29, v22
	;; [unrolled: 1-line block ×4, first 2 shown]
	v_add_co_u32 v0, s12, v0, -1
	s_delay_alu instid0(VALU_DEP_1)
	v_cndmask_b32_e64 v4, 0, 1, s12
	v_not_b32_e32 v25, v1
	v_cmp_gt_i32_e64 s13, 0, v1
	v_not_b32_e32 v1, v2
	v_lshlrev_b32_e32 v6, 26, v22
	v_cmp_ne_u32_e64 s12, 0, v4
	v_ashrrev_i32_e32 v25, 31, v25
	v_lshlrev_b32_e32 v7, 25, v22
	v_ashrrev_i32_e32 v1, 31, v1
	v_lshlrev_b32_e32 v4, 24, v22
	v_xor_b32_e32 v0, s12, v0
	v_cmp_gt_i32_e64 s12, 0, v2
	v_not_b32_e32 v2, v3
	v_xor_b32_e32 v25, s13, v25
	v_cmp_gt_i32_e64 s13, 0, v3
	v_and_b32_e32 v0, exec_lo, v0
	v_not_b32_e32 v3, v5
	v_ashrrev_i32_e32 v2, 31, v2
	v_xor_b32_e32 v1, s12, v1
	v_cmp_gt_i32_e64 s12, 0, v5
	v_and_b32_e32 v0, v0, v25
	v_not_b32_e32 v5, v6
	v_ashrrev_i32_e32 v3, 31, v3
	v_xor_b32_e32 v2, s13, v2
	v_cmp_gt_i32_e64 s13, 0, v6
	v_and_b32_e32 v0, v0, v1
	;; [unrolled: 5-line block ×4, first 2 shown]
	v_ashrrev_i32_e32 v2, 31, v2
	v_xor_b32_e32 v1, s12, v1
	s_delay_alu instid0(VALU_DEP_3) | instskip(NEXT) | instid1(VALU_DEP_3)
	v_and_b32_e32 v0, v0, v5
	v_xor_b32_e32 v2, s13, v2
	s_delay_alu instid0(VALU_DEP_2) | instskip(SKIP_1) | instid1(VALU_DEP_2)
	v_and_b32_e32 v0, v0, v1
	v_and_b32_e32 v1, 0xff, v22
	;; [unrolled: 1-line block ×3, first 2 shown]
	s_delay_alu instid0(VALU_DEP_2) | instskip(NEXT) | instid1(VALU_DEP_2)
	v_lshl_add_u32 v1, v1, 3, v20
	v_mbcnt_lo_u32_b32 v25, v0, 0
	v_cmp_ne_u32_e64 s13, 0, v0
	s_delay_alu instid0(VALU_DEP_3) | instskip(NEXT) | instid1(VALU_DEP_3)
	v_lshl_add_u32 v26, v1, 2, 32
	v_cmp_eq_u32_e64 s12, 0, v25
	s_delay_alu instid0(VALU_DEP_1) | instskip(NEXT) | instid1(SALU_CYCLE_1)
	s_and_b32 s13, s13, s12
	s_and_saveexec_b32 s12, s13
	s_cbranch_execz .LBB266_4
; %bb.3:                                ;   in Loop: Header=BB266_2 Depth=1
	v_bcnt_u32_b32 v0, v0, 0
	ds_store_b32 v26, v0
.LBB266_4:                              ;   in Loop: Header=BB266_2 Depth=1
	s_or_b32 exec_lo, exec_lo, s12
	v_and_b32_e32 v0, 1, v23
	v_lshlrev_b32_e32 v2, 30, v23
	v_lshlrev_b32_e32 v4, 29, v23
	;; [unrolled: 1-line block ×4, first 2 shown]
	v_add_co_u32 v0, s12, v0, -1
	s_delay_alu instid0(VALU_DEP_1)
	v_cndmask_b32_e64 v3, 0, 1, s12
	v_not_b32_e32 v7, v2
	v_cmp_gt_i32_e64 s13, 0, v2
	v_not_b32_e32 v2, v4
	v_and_b32_e32 v1, 0xff, v23
	v_cmp_ne_u32_e64 s12, 0, v3
	v_ashrrev_i32_e32 v7, 31, v7
	v_lshlrev_b32_e32 v3, 26, v23
	v_ashrrev_i32_e32 v2, 31, v2
	v_lshlrev_b32_e32 v1, 3, v1
	v_xor_b32_e32 v0, s12, v0
	v_cmp_gt_i32_e64 s12, 0, v4
	v_not_b32_e32 v4, v5
	v_xor_b32_e32 v7, s13, v7
	v_cmp_gt_i32_e64 s13, 0, v5
	v_and_b32_e32 v0, exec_lo, v0
	v_not_b32_e32 v5, v6
	v_ashrrev_i32_e32 v4, 31, v4
	v_xor_b32_e32 v2, s12, v2
	v_cmp_gt_i32_e64 s12, 0, v6
	v_and_b32_e32 v0, v0, v7
	v_lshlrev_b32_e32 v7, 25, v23
	v_ashrrev_i32_e32 v5, 31, v5
	v_xor_b32_e32 v4, s13, v4
	v_not_b32_e32 v6, v3
	v_and_b32_e32 v0, v0, v2
	v_lshlrev_b32_e32 v2, 24, v23
	v_not_b32_e32 v27, v7
	v_xor_b32_e32 v5, s12, v5
	v_cmp_gt_i32_e64 s12, 0, v3
	v_and_b32_e32 v0, v0, v4
	v_ashrrev_i32_e32 v3, 31, v6
	v_cmp_gt_i32_e64 s13, 0, v7
	v_ashrrev_i32_e32 v4, 31, v27
	v_add_lshl_u32 v1, v20, v1, 2
	v_and_b32_e32 v0, v0, v5
	v_not_b32_e32 v5, v2
	v_xor_b32_e32 v3, s12, v3
	v_xor_b32_e32 v4, s13, v4
	v_cmp_gt_i32_e64 s12, 0, v2
	s_delay_alu instid0(VALU_DEP_4) | instskip(NEXT) | instid1(VALU_DEP_4)
	v_ashrrev_i32_e32 v2, 31, v5
	v_and_b32_e32 v0, v0, v3
	; wave barrier
	ds_load_b32 v27, v1 offset:32
	v_add_nc_u32_e32 v29, 32, v1
	v_xor_b32_e32 v2, s12, v2
	v_and_b32_e32 v0, v0, v4
	; wave barrier
	s_delay_alu instid0(VALU_DEP_1) | instskip(NEXT) | instid1(VALU_DEP_1)
	v_and_b32_e32 v0, v0, v2
	v_mbcnt_lo_u32_b32 v28, v0, 0
	v_cmp_ne_u32_e64 s13, 0, v0
	s_delay_alu instid0(VALU_DEP_2) | instskip(NEXT) | instid1(VALU_DEP_1)
	v_cmp_eq_u32_e64 s12, 0, v28
	s_and_b32 s13, s13, s12
	s_delay_alu instid0(SALU_CYCLE_1)
	s_and_saveexec_b32 s12, s13
	s_cbranch_execz .LBB266_6
; %bb.5:                                ;   in Loop: Header=BB266_2 Depth=1
	s_waitcnt lgkmcnt(0)
	v_bcnt_u32_b32 v0, v0, v27
	ds_store_b32 v29, v0
.LBB266_6:                              ;   in Loop: Header=BB266_2 Depth=1
	s_or_b32 exec_lo, exec_lo, s12
	v_and_b32_e32 v0, 1, v24
	v_lshlrev_b32_e32 v2, 30, v24
	v_lshlrev_b32_e32 v4, 29, v24
	;; [unrolled: 1-line block ×4, first 2 shown]
	v_add_co_u32 v0, s12, v0, -1
	s_delay_alu instid0(VALU_DEP_1)
	v_cndmask_b32_e64 v3, 0, 1, s12
	v_not_b32_e32 v7, v2
	v_cmp_gt_i32_e64 s13, 0, v2
	v_not_b32_e32 v2, v4
	v_and_b32_e32 v1, 0xff, v24
	v_cmp_ne_u32_e64 s12, 0, v3
	v_ashrrev_i32_e32 v7, 31, v7
	v_lshlrev_b32_e32 v3, 26, v24
	v_ashrrev_i32_e32 v2, 31, v2
	v_lshlrev_b32_e32 v1, 3, v1
	v_xor_b32_e32 v0, s12, v0
	v_cmp_gt_i32_e64 s12, 0, v4
	v_not_b32_e32 v4, v5
	v_xor_b32_e32 v7, s13, v7
	v_cmp_gt_i32_e64 s13, 0, v5
	v_and_b32_e32 v0, exec_lo, v0
	v_not_b32_e32 v5, v6
	v_ashrrev_i32_e32 v4, 31, v4
	v_xor_b32_e32 v2, s12, v2
	v_cmp_gt_i32_e64 s12, 0, v6
	v_and_b32_e32 v0, v0, v7
	v_lshlrev_b32_e32 v7, 25, v24
	v_ashrrev_i32_e32 v5, 31, v5
	v_xor_b32_e32 v4, s13, v4
	v_not_b32_e32 v6, v3
	v_and_b32_e32 v0, v0, v2
	v_lshlrev_b32_e32 v2, 24, v24
	v_not_b32_e32 v30, v7
	v_xor_b32_e32 v5, s12, v5
	v_cmp_gt_i32_e64 s12, 0, v3
	v_and_b32_e32 v0, v0, v4
	v_ashrrev_i32_e32 v3, 31, v6
	v_cmp_gt_i32_e64 s13, 0, v7
	v_ashrrev_i32_e32 v4, 31, v30
	v_add_lshl_u32 v1, v20, v1, 2
	v_and_b32_e32 v0, v0, v5
	v_not_b32_e32 v5, v2
	v_xor_b32_e32 v3, s12, v3
	v_xor_b32_e32 v4, s13, v4
	v_cmp_gt_i32_e64 s12, 0, v2
	s_delay_alu instid0(VALU_DEP_4) | instskip(NEXT) | instid1(VALU_DEP_4)
	v_ashrrev_i32_e32 v2, 31, v5
	v_and_b32_e32 v0, v0, v3
	; wave barrier
	ds_load_b32 v30, v1 offset:32
	v_add_nc_u32_e32 v32, 32, v1
	v_xor_b32_e32 v2, s12, v2
	v_and_b32_e32 v0, v0, v4
	; wave barrier
	s_delay_alu instid0(VALU_DEP_1) | instskip(NEXT) | instid1(VALU_DEP_1)
	v_and_b32_e32 v0, v0, v2
	v_mbcnt_lo_u32_b32 v31, v0, 0
	v_cmp_ne_u32_e64 s13, 0, v0
	s_delay_alu instid0(VALU_DEP_2) | instskip(NEXT) | instid1(VALU_DEP_1)
	v_cmp_eq_u32_e64 s12, 0, v31
	s_and_b32 s13, s13, s12
	s_delay_alu instid0(SALU_CYCLE_1)
	s_and_saveexec_b32 s12, s13
	s_cbranch_execz .LBB266_8
; %bb.7:                                ;   in Loop: Header=BB266_2 Depth=1
	s_waitcnt lgkmcnt(0)
	v_bcnt_u32_b32 v0, v0, v30
	ds_store_b32 v32, v0
.LBB266_8:                              ;   in Loop: Header=BB266_2 Depth=1
	s_or_b32 exec_lo, exec_lo, s12
	; wave barrier
	s_waitcnt lgkmcnt(0)
	s_barrier
	buffer_gl0_inv
	ds_load_2addr_b64 v[4:7], v13 offset0:4 offset1:5
	ds_load_2addr_b64 v[0:3], v14 offset0:2 offset1:3
	s_waitcnt lgkmcnt(1)
	v_add_nc_u32_e32 v33, v5, v4
	s_delay_alu instid0(VALU_DEP_1) | instskip(SKIP_1) | instid1(VALU_DEP_1)
	v_add3_u32 v33, v33, v6, v7
	s_waitcnt lgkmcnt(0)
	v_add3_u32 v33, v33, v0, v1
	s_delay_alu instid0(VALU_DEP_1) | instskip(NEXT) | instid1(VALU_DEP_1)
	v_add3_u32 v3, v33, v2, v3
	v_mov_b32_dpp v33, v3 row_shr:1 row_mask:0xf bank_mask:0xf
	s_delay_alu instid0(VALU_DEP_1) | instskip(NEXT) | instid1(VALU_DEP_1)
	v_cndmask_b32_e64 v33, v33, 0, s0
	v_add_nc_u32_e32 v3, v33, v3
	s_delay_alu instid0(VALU_DEP_1) | instskip(NEXT) | instid1(VALU_DEP_1)
	v_mov_b32_dpp v33, v3 row_shr:2 row_mask:0xf bank_mask:0xf
	v_cndmask_b32_e64 v33, 0, v33, s1
	s_delay_alu instid0(VALU_DEP_1) | instskip(NEXT) | instid1(VALU_DEP_1)
	v_add_nc_u32_e32 v3, v3, v33
	v_mov_b32_dpp v33, v3 row_shr:4 row_mask:0xf bank_mask:0xf
	s_delay_alu instid0(VALU_DEP_1) | instskip(NEXT) | instid1(VALU_DEP_1)
	v_cndmask_b32_e64 v33, 0, v33, s2
	v_add_nc_u32_e32 v3, v3, v33
	s_delay_alu instid0(VALU_DEP_1) | instskip(NEXT) | instid1(VALU_DEP_1)
	v_mov_b32_dpp v33, v3 row_shr:8 row_mask:0xf bank_mask:0xf
	v_cndmask_b32_e64 v33, 0, v33, s3
	s_delay_alu instid0(VALU_DEP_1) | instskip(SKIP_3) | instid1(VALU_DEP_1)
	v_add_nc_u32_e32 v3, v3, v33
	ds_swizzle_b32 v33, v3 offset:swizzle(BROADCAST,32,15)
	s_waitcnt lgkmcnt(0)
	v_cndmask_b32_e64 v33, v33, 0, s4
	v_add_nc_u32_e32 v3, v3, v33
	s_and_saveexec_b32 s12, s11
	s_cbranch_execz .LBB266_10
; %bb.9:                                ;   in Loop: Header=BB266_2 Depth=1
	ds_store_b32 v15, v3
.LBB266_10:                             ;   in Loop: Header=BB266_2 Depth=1
	s_or_b32 exec_lo, exec_lo, s12
	s_waitcnt lgkmcnt(0)
	s_barrier
	buffer_gl0_inv
	s_and_saveexec_b32 s12, s5
	s_cbranch_execz .LBB266_12
; %bb.11:                               ;   in Loop: Header=BB266_2 Depth=1
	ds_load_b32 v33, v21
	s_waitcnt lgkmcnt(0)
	v_mov_b32_dpp v34, v33 row_shr:1 row_mask:0xf bank_mask:0xf
	s_delay_alu instid0(VALU_DEP_1) | instskip(NEXT) | instid1(VALU_DEP_1)
	v_cndmask_b32_e64 v34, v34, 0, s8
	v_add_nc_u32_e32 v33, v34, v33
	s_delay_alu instid0(VALU_DEP_1) | instskip(NEXT) | instid1(VALU_DEP_1)
	v_mov_b32_dpp v34, v33 row_shr:2 row_mask:0xf bank_mask:0xf
	v_cndmask_b32_e64 v34, 0, v34, s9
	s_delay_alu instid0(VALU_DEP_1) | instskip(NEXT) | instid1(VALU_DEP_1)
	v_add_nc_u32_e32 v33, v33, v34
	v_mov_b32_dpp v34, v33 row_shr:4 row_mask:0xf bank_mask:0xf
	s_delay_alu instid0(VALU_DEP_1) | instskip(NEXT) | instid1(VALU_DEP_1)
	v_cndmask_b32_e64 v34, 0, v34, s10
	v_add_nc_u32_e32 v33, v33, v34
	ds_store_b32 v21, v33
.LBB266_12:                             ;   in Loop: Header=BB266_2 Depth=1
	s_or_b32 exec_lo, exec_lo, s12
	v_mov_b32_e32 v33, 0
	s_waitcnt lgkmcnt(0)
	s_barrier
	buffer_gl0_inv
	s_and_saveexec_b32 s12, s6
	s_cbranch_execz .LBB266_1
; %bb.13:                               ;   in Loop: Header=BB266_2 Depth=1
	ds_load_b32 v33, v18
	s_branch .LBB266_1
.LBB266_14:
	s_add_u32 s0, s18, s14
	s_addc_u32 s1, s19, 0
	s_clause 0x2
	global_store_b8 v8, v2, s[0:1]
	global_store_b8 v8, v0, s[0:1] offset:256
	global_store_b8 v8, v1, s[0:1] offset:512
	s_nop 0
	s_sendmsg sendmsg(MSG_DEALLOC_VGPRS)
	s_endpgm
	.section	.rodata,"a",@progbits
	.p2align	6, 0x0
	.amdhsa_kernel _Z16sort_keys_kernelI22helper_blocked_stripedaLj256ELj3ELj10EEvPKT0_PS1_
		.amdhsa_group_segment_fixed_size 8224
		.amdhsa_private_segment_fixed_size 0
		.amdhsa_kernarg_size 272
		.amdhsa_user_sgpr_count 15
		.amdhsa_user_sgpr_dispatch_ptr 0
		.amdhsa_user_sgpr_queue_ptr 0
		.amdhsa_user_sgpr_kernarg_segment_ptr 1
		.amdhsa_user_sgpr_dispatch_id 0
		.amdhsa_user_sgpr_private_segment_size 0
		.amdhsa_wavefront_size32 1
		.amdhsa_uses_dynamic_stack 0
		.amdhsa_enable_private_segment 0
		.amdhsa_system_sgpr_workgroup_id_x 1
		.amdhsa_system_sgpr_workgroup_id_y 0
		.amdhsa_system_sgpr_workgroup_id_z 0
		.amdhsa_system_sgpr_workgroup_info 0
		.amdhsa_system_vgpr_workitem_id 2
		.amdhsa_next_free_vgpr 35
		.amdhsa_next_free_sgpr 20
		.amdhsa_reserve_vcc 1
		.amdhsa_float_round_mode_32 0
		.amdhsa_float_round_mode_16_64 0
		.amdhsa_float_denorm_mode_32 3
		.amdhsa_float_denorm_mode_16_64 3
		.amdhsa_dx10_clamp 1
		.amdhsa_ieee_mode 1
		.amdhsa_fp16_overflow 0
		.amdhsa_workgroup_processor_mode 1
		.amdhsa_memory_ordered 1
		.amdhsa_forward_progress 0
		.amdhsa_shared_vgpr_count 0
		.amdhsa_exception_fp_ieee_invalid_op 0
		.amdhsa_exception_fp_denorm_src 0
		.amdhsa_exception_fp_ieee_div_zero 0
		.amdhsa_exception_fp_ieee_overflow 0
		.amdhsa_exception_fp_ieee_underflow 0
		.amdhsa_exception_fp_ieee_inexact 0
		.amdhsa_exception_int_div_zero 0
	.end_amdhsa_kernel
	.section	.text._Z16sort_keys_kernelI22helper_blocked_stripedaLj256ELj3ELj10EEvPKT0_PS1_,"axG",@progbits,_Z16sort_keys_kernelI22helper_blocked_stripedaLj256ELj3ELj10EEvPKT0_PS1_,comdat
.Lfunc_end266:
	.size	_Z16sort_keys_kernelI22helper_blocked_stripedaLj256ELj3ELj10EEvPKT0_PS1_, .Lfunc_end266-_Z16sort_keys_kernelI22helper_blocked_stripedaLj256ELj3ELj10EEvPKT0_PS1_
                                        ; -- End function
	.section	.AMDGPU.csdata,"",@progbits
; Kernel info:
; codeLenInByte = 2348
; NumSgprs: 22
; NumVgprs: 35
; ScratchSize: 0
; MemoryBound: 0
; FloatMode: 240
; IeeeMode: 1
; LDSByteSize: 8224 bytes/workgroup (compile time only)
; SGPRBlocks: 2
; VGPRBlocks: 4
; NumSGPRsForWavesPerEU: 22
; NumVGPRsForWavesPerEU: 35
; Occupancy: 16
; WaveLimiterHint : 1
; COMPUTE_PGM_RSRC2:SCRATCH_EN: 0
; COMPUTE_PGM_RSRC2:USER_SGPR: 15
; COMPUTE_PGM_RSRC2:TRAP_HANDLER: 0
; COMPUTE_PGM_RSRC2:TGID_X_EN: 1
; COMPUTE_PGM_RSRC2:TGID_Y_EN: 0
; COMPUTE_PGM_RSRC2:TGID_Z_EN: 0
; COMPUTE_PGM_RSRC2:TIDIG_COMP_CNT: 2
	.section	.text._Z17sort_pairs_kernelI22helper_blocked_stripedaLj256ELj3ELj10EEvPKT0_PS1_,"axG",@progbits,_Z17sort_pairs_kernelI22helper_blocked_stripedaLj256ELj3ELj10EEvPKT0_PS1_,comdat
	.protected	_Z17sort_pairs_kernelI22helper_blocked_stripedaLj256ELj3ELj10EEvPKT0_PS1_ ; -- Begin function _Z17sort_pairs_kernelI22helper_blocked_stripedaLj256ELj3ELj10EEvPKT0_PS1_
	.globl	_Z17sort_pairs_kernelI22helper_blocked_stripedaLj256ELj3ELj10EEvPKT0_PS1_
	.p2align	8
	.type	_Z17sort_pairs_kernelI22helper_blocked_stripedaLj256ELj3ELj10EEvPKT0_PS1_,@function
_Z17sort_pairs_kernelI22helper_blocked_stripedaLj256ELj3ELj10EEvPKT0_PS1_: ; @_Z17sort_pairs_kernelI22helper_blocked_stripedaLj256ELj3ELj10EEvPKT0_PS1_
; %bb.0:
	s_clause 0x1
	s_load_b128 s[16:19], s[0:1], 0x0
	s_load_b32 s12, s[0:1], 0x1c
	v_and_b32_e32 v8, 0x3ff, v0
	s_mul_i32 s14, s15, 0x300
	v_mbcnt_lo_u32_b32 v4, -1, 0
	v_bfe_u32 v6, v0, 10, 10
	v_bfe_u32 v0, v0, 20, 10
	v_mul_u32_u24_e32 v2, 3, v8
	s_mov_b32 s15, 10
	v_and_b32_e32 v16, 7, v4
	v_add_nc_u32_e32 v15, -1, v4
	v_mul_u32_u24_e32 v5, 3, v4
	v_and_b32_e32 v14, 16, v4
	v_cmp_eq_u32_e32 vcc_lo, 0, v4
	v_cmp_eq_u32_e64 s8, 0, v16
	v_cmp_lt_u32_e64 s9, 1, v16
	v_cmp_lt_u32_e64 s10, 3, v16
	v_cmp_gt_i32_e64 s7, 0, v15
	v_cmp_eq_u32_e64 s4, 0, v14
	v_and_b32_e32 v7, 15, v4
	s_waitcnt lgkmcnt(0)
	s_add_u32 s0, s16, s14
	s_addc_u32 s1, s17, 0
	s_clause 0x1
	global_load_u16 v1, v2, s[0:1]
	global_load_i8 v3, v2, s[0:1] offset:2
	s_mov_b32 s0, 0
	s_lshr_b32 s13, s12, 16
	s_mov_b32 s3, s0
	s_mov_b32 s2, s0
	v_mov_b32_e32 v12, s3
	s_mov_b32 s1, s0
	s_delay_alu instid0(SALU_CYCLE_1)
	v_dual_mov_b32 v11, s2 :: v_dual_mov_b32 v10, s1
	v_mov_b32_e32 v9, s0
	v_cmp_eq_u32_e64 s0, 0, v7
	v_cmp_lt_u32_e64 s1, 1, v7
	v_cmp_lt_u32_e64 s2, 3, v7
	;; [unrolled: 1-line block ×3, first 2 shown]
	v_or_b32_e32 v7, 31, v8
	v_lshrrev_b32_e32 v17, 5, v8
	v_mad_u32_u24 v6, v0, s13, v6
	s_and_b32 s12, s12, 0xffff
	v_lshlrev_b32_e32 v13, 5, v8
	v_cmp_eq_u32_e64 s11, v7, v8
	v_mul_u32_u24_e32 v19, 0x60, v17
	v_lshlrev_b32_e32 v16, 2, v17
	v_cndmask_b32_e64 v15, v15, v4, s7
	v_cmp_gt_u32_e64 s5, 8, v8
	v_cmp_lt_u32_e64 s6, 31, v8
	v_cmp_eq_u32_e64 s7, 0, v8
	v_add_nc_u32_e32 v14, 32, v13
	v_lshlrev_b32_e32 v15, 2, v15
	v_add_nc_u32_e32 v21, v8, v2
	s_waitcnt vmcnt(1)
	v_lshrrev_b32_e32 v7, 8, v1
	v_add_nc_u16 v18, v1, 1
	s_waitcnt vmcnt(0)
	v_add_nc_u16 v20, v3, 1
	s_delay_alu instid0(VALU_DEP_3) | instskip(NEXT) | instid1(VALU_DEP_3)
	v_lshlrev_b16 v7, 8, v7
	v_and_b32_e32 v17, 0xff, v18
	v_and_b32_e32 v18, 0xff, v1
	v_mad_u64_u32 v[0:1], null, v6, s12, v[8:9]
	v_and_b32_e32 v1, 0xff, v3
	s_delay_alu instid0(VALU_DEP_4)
	v_or_b32_e32 v17, v7, v17
	v_and_b32_e32 v3, 0xff, v20
	v_or_b32_e32 v6, v18, v7
	v_add_nc_u32_e32 v18, -4, v16
	v_lshlrev_b32_e32 v1, 16, v1
	v_add_nc_u16 v7, v17, 0x100
	v_or_b32_e32 v17, v4, v19
	v_lshlrev_b32_e32 v3, 16, v3
	v_and_b32_e32 v4, 0xffff, v6
	v_add_nc_u32_e32 v19, v5, v19
	v_and_b32_e32 v6, 0xffff, v7
	v_lshrrev_b32_e32 v20, 5, v0
	s_delay_alu instid0(VALU_DEP_4) | instskip(NEXT) | instid1(VALU_DEP_3)
	v_or_b32_e32 v7, v4, v1
	v_or_b32_e32 v0, v6, v3
	s_branch .LBB267_2
.LBB267_1:                              ;   in Loop: Header=BB267_2 Depth=1
	s_or_b32 exec_lo, exec_lo, s12
	s_waitcnt lgkmcnt(0)
	v_add_nc_u32_e32 v3, v36, v3
	s_add_i32 s15, s15, -1
	s_delay_alu instid0(SALU_CYCLE_1) | instskip(SKIP_3) | instid1(VALU_DEP_1)
	s_cmp_eq_u32 s15, 0
	ds_bpermute_b32 v3, v15, v3
	s_waitcnt lgkmcnt(0)
	v_cndmask_b32_e32 v3, v3, v36, vcc_lo
	v_cndmask_b32_e64 v3, v3, 0, s7
	s_delay_alu instid0(VALU_DEP_1) | instskip(NEXT) | instid1(VALU_DEP_1)
	v_add_nc_u32_e32 v4, v3, v4
	v_add_nc_u32_e32 v5, v4, v5
	s_delay_alu instid0(VALU_DEP_1) | instskip(NEXT) | instid1(VALU_DEP_1)
	v_add_nc_u32_e32 v6, v5, v6
	v_add_nc_u32_e32 v36, v6, v7
	;; [unrolled: 3-line block ×3, first 2 shown]
	s_delay_alu instid0(VALU_DEP_1)
	v_add_nc_u32_e32 v1, v0, v2
	ds_store_2addr_b64 v13, v[3:4], v[5:6] offset0:4 offset1:5
	ds_store_2addr_b64 v14, v[36:37], v[0:1] offset0:2 offset1:3
	s_waitcnt lgkmcnt(0)
	s_barrier
	buffer_gl0_inv
	ds_load_b32 v0, v29
	ds_load_b32 v1, v32
	;; [unrolled: 1-line block ×3, first 2 shown]
	s_waitcnt lgkmcnt(0)
	s_barrier
	buffer_gl0_inv
	v_add_nc_u32_e32 v0, v0, v28
	v_add3_u32 v1, v31, v30, v1
	v_add3_u32 v2, v34, v33, v2
	ds_store_b8 v0, v22
	ds_store_b8 v1, v23
	;; [unrolled: 1-line block ×3, first 2 shown]
	s_waitcnt lgkmcnt(0)
	s_barrier
	buffer_gl0_inv
	ds_load_u8 v5, v8
	ds_load_u8 v4, v8 offset:256
	ds_load_u8 v6, v8 offset:512
	s_waitcnt lgkmcnt(0)
	s_barrier
	buffer_gl0_inv
	ds_store_b8 v0, v25
	ds_store_b8 v1, v26
	;; [unrolled: 1-line block ×3, first 2 shown]
	s_waitcnt lgkmcnt(0)
	s_barrier
	buffer_gl0_inv
	ds_load_u8 v1, v8 offset:256
	ds_load_u8 v3, v8
	ds_load_u8 v2, v8 offset:512
	v_xor_b32_e32 v5, 0xffffff80, v5
	v_xor_b32_e32 v4, 0xffffff80, v4
	;; [unrolled: 1-line block ×3, first 2 shown]
	s_delay_alu instid0(VALU_DEP_3) | instskip(NEXT) | instid1(VALU_DEP_3)
	v_and_b32_e32 v22, 0xff, v5
	v_lshlrev_b16 v7, 8, v4
	s_delay_alu instid0(VALU_DEP_3) | instskip(SKIP_2) | instid1(VALU_DEP_3)
	v_and_b32_e32 v23, 0xff, v6
	s_waitcnt lgkmcnt(2)
	v_lshlrev_b16 v0, 8, v1
	v_or_b32_e32 v7, v22, v7
	s_waitcnt lgkmcnt(0)
	v_lshlrev_b32_e32 v22, 16, v2
	s_delay_alu instid0(VALU_DEP_3) | instskip(SKIP_2) | instid1(VALU_DEP_3)
	v_or_b32_e32 v0, v3, v0
	v_lshlrev_b32_e32 v23, 16, v23
	v_and_b32_e32 v7, 0xffff, v7
	v_and_b32_e32 v0, 0xffff, v0
	s_delay_alu instid0(VALU_DEP_2) | instskip(NEXT) | instid1(VALU_DEP_2)
	v_or_b32_e32 v7, v7, v23
	v_or_b32_e32 v0, v0, v22
	s_cbranch_scc1 .LBB267_14
.LBB267_2:                              ; =>This Inner Loop Header: Depth=1
	s_delay_alu instid0(VALU_DEP_2) | instskip(SKIP_2) | instid1(VALU_DEP_3)
	v_lshrrev_b32_e32 v1, 8, v7
	v_lshrrev_b32_e32 v2, 16, v7
	v_xor_b32_e32 v3, 0x80, v7
	v_xor_b32_e32 v1, 0x80, v1
	s_delay_alu instid0(VALU_DEP_3)
	v_xor_b32_e32 v2, 0x80, v2
	ds_store_b8 v19, v3
	ds_store_b8 v19, v1 offset:1
	ds_store_b8 v19, v2 offset:2
	; wave barrier
	ds_load_u8 v22, v17
	v_lshrrev_b32_e32 v1, 8, v0
	ds_load_u8 v23, v17 offset:32
	ds_load_u8 v24, v17 offset:64
	; wave barrier
	ds_store_b8 v19, v0
	ds_store_b8 v19, v1 offset:1
	ds_store_b8_d16_hi v19, v0 offset:2
	; wave barrier
	s_waitcnt lgkmcnt(5)
	v_and_b32_e32 v2, 1, v22
	v_lshlrev_b32_e32 v3, 30, v22
	v_lshlrev_b32_e32 v4, 29, v22
	;; [unrolled: 1-line block ×4, first 2 shown]
	v_add_co_u32 v2, s12, v2, -1
	s_delay_alu instid0(VALU_DEP_1)
	v_cndmask_b32_e64 v6, 0, 1, s12
	v_not_b32_e32 v27, v3
	v_cmp_gt_i32_e64 s13, 0, v3
	v_not_b32_e32 v3, v4
	v_lshlrev_b32_e32 v25, 26, v22
	v_cmp_ne_u32_e64 s12, 0, v6
	v_ashrrev_i32_e32 v27, 31, v27
	v_lshlrev_b32_e32 v26, 25, v22
	v_ashrrev_i32_e32 v3, 31, v3
	v_lshlrev_b32_e32 v6, 24, v22
	v_xor_b32_e32 v2, s12, v2
	v_cmp_gt_i32_e64 s12, 0, v4
	v_not_b32_e32 v4, v5
	v_xor_b32_e32 v27, s13, v27
	v_cmp_gt_i32_e64 s13, 0, v5
	v_and_b32_e32 v2, exec_lo, v2
	v_not_b32_e32 v5, v7
	v_ashrrev_i32_e32 v4, 31, v4
	v_xor_b32_e32 v3, s12, v3
	v_cmp_gt_i32_e64 s12, 0, v7
	v_and_b32_e32 v2, v2, v27
	v_not_b32_e32 v7, v25
	v_ashrrev_i32_e32 v5, 31, v5
	v_xor_b32_e32 v4, s13, v4
	v_cmp_gt_i32_e64 s13, 0, v25
	v_and_b32_e32 v2, v2, v3
	v_not_b32_e32 v3, v26
	v_ashrrev_i32_e32 v7, 31, v7
	v_xor_b32_e32 v5, s12, v5
	v_cmp_gt_i32_e64 s12, 0, v26
	v_and_b32_e32 v2, v2, v4
	v_not_b32_e32 v4, v6
	v_ashrrev_i32_e32 v3, 31, v3
	v_xor_b32_e32 v7, s13, v7
	v_cmp_gt_i32_e64 s13, 0, v6
	v_and_b32_e32 v2, v2, v5
	v_ashrrev_i32_e32 v4, 31, v4
	v_xor_b32_e32 v3, s12, v3
	ds_load_u8 v25, v17
	ds_load_u8 v26, v17 offset:32
	ds_load_u8 v27, v17 offset:64
	s_waitcnt lgkmcnt(0)
	v_and_b32_e32 v2, v2, v7
	v_xor_b32_e32 v0, s13, v4
	s_barrier
	buffer_gl0_inv
	ds_store_2addr_b64 v13, v[9:10], v[11:12] offset0:4 offset1:5
	ds_store_2addr_b64 v14, v[9:10], v[11:12] offset0:2 offset1:3
	v_and_b32_e32 v1, v2, v3
	s_waitcnt lgkmcnt(0)
	s_barrier
	buffer_gl0_inv
	v_and_b32_e32 v0, v1, v0
	v_and_b32_e32 v1, 0xff, v22
	; wave barrier
	s_delay_alu instid0(VALU_DEP_2) | instskip(NEXT) | instid1(VALU_DEP_2)
	v_mbcnt_lo_u32_b32 v28, v0, 0
	v_lshl_add_u32 v1, v1, 3, v20
	v_cmp_ne_u32_e64 s13, 0, v0
	s_delay_alu instid0(VALU_DEP_3) | instskip(NEXT) | instid1(VALU_DEP_3)
	v_cmp_eq_u32_e64 s12, 0, v28
	v_lshl_add_u32 v29, v1, 2, 32
	s_delay_alu instid0(VALU_DEP_2) | instskip(NEXT) | instid1(SALU_CYCLE_1)
	s_and_b32 s13, s13, s12
	s_and_saveexec_b32 s12, s13
	s_cbranch_execz .LBB267_4
; %bb.3:                                ;   in Loop: Header=BB267_2 Depth=1
	v_bcnt_u32_b32 v0, v0, 0
	ds_store_b32 v29, v0
.LBB267_4:                              ;   in Loop: Header=BB267_2 Depth=1
	s_or_b32 exec_lo, exec_lo, s12
	v_and_b32_e32 v0, 1, v23
	v_lshlrev_b32_e32 v2, 30, v23
	v_lshlrev_b32_e32 v4, 29, v23
	;; [unrolled: 1-line block ×4, first 2 shown]
	v_add_co_u32 v0, s12, v0, -1
	s_delay_alu instid0(VALU_DEP_1)
	v_cndmask_b32_e64 v3, 0, 1, s12
	v_not_b32_e32 v7, v2
	v_cmp_gt_i32_e64 s13, 0, v2
	v_not_b32_e32 v2, v4
	v_and_b32_e32 v1, 0xff, v23
	v_cmp_ne_u32_e64 s12, 0, v3
	v_ashrrev_i32_e32 v7, 31, v7
	v_lshlrev_b32_e32 v3, 26, v23
	v_ashrrev_i32_e32 v2, 31, v2
	v_lshlrev_b32_e32 v1, 3, v1
	v_xor_b32_e32 v0, s12, v0
	v_cmp_gt_i32_e64 s12, 0, v4
	v_not_b32_e32 v4, v5
	v_xor_b32_e32 v7, s13, v7
	v_cmp_gt_i32_e64 s13, 0, v5
	v_and_b32_e32 v0, exec_lo, v0
	v_not_b32_e32 v5, v6
	v_ashrrev_i32_e32 v4, 31, v4
	v_xor_b32_e32 v2, s12, v2
	v_cmp_gt_i32_e64 s12, 0, v6
	v_and_b32_e32 v0, v0, v7
	v_lshlrev_b32_e32 v7, 25, v23
	v_ashrrev_i32_e32 v5, 31, v5
	v_xor_b32_e32 v4, s13, v4
	v_not_b32_e32 v6, v3
	v_and_b32_e32 v0, v0, v2
	v_lshlrev_b32_e32 v2, 24, v23
	v_not_b32_e32 v30, v7
	v_xor_b32_e32 v5, s12, v5
	v_cmp_gt_i32_e64 s12, 0, v3
	v_and_b32_e32 v0, v0, v4
	v_ashrrev_i32_e32 v3, 31, v6
	v_cmp_gt_i32_e64 s13, 0, v7
	v_ashrrev_i32_e32 v4, 31, v30
	v_add_lshl_u32 v1, v20, v1, 2
	v_and_b32_e32 v0, v0, v5
	v_not_b32_e32 v5, v2
	v_xor_b32_e32 v3, s12, v3
	v_xor_b32_e32 v4, s13, v4
	v_cmp_gt_i32_e64 s12, 0, v2
	s_delay_alu instid0(VALU_DEP_4) | instskip(NEXT) | instid1(VALU_DEP_4)
	v_ashrrev_i32_e32 v2, 31, v5
	v_and_b32_e32 v0, v0, v3
	; wave barrier
	ds_load_b32 v30, v1 offset:32
	v_add_nc_u32_e32 v32, 32, v1
	v_xor_b32_e32 v2, s12, v2
	v_and_b32_e32 v0, v0, v4
	; wave barrier
	s_delay_alu instid0(VALU_DEP_1) | instskip(NEXT) | instid1(VALU_DEP_1)
	v_and_b32_e32 v0, v0, v2
	v_mbcnt_lo_u32_b32 v31, v0, 0
	v_cmp_ne_u32_e64 s13, 0, v0
	s_delay_alu instid0(VALU_DEP_2) | instskip(NEXT) | instid1(VALU_DEP_1)
	v_cmp_eq_u32_e64 s12, 0, v31
	s_and_b32 s13, s13, s12
	s_delay_alu instid0(SALU_CYCLE_1)
	s_and_saveexec_b32 s12, s13
	s_cbranch_execz .LBB267_6
; %bb.5:                                ;   in Loop: Header=BB267_2 Depth=1
	s_waitcnt lgkmcnt(0)
	v_bcnt_u32_b32 v0, v0, v30
	ds_store_b32 v32, v0
.LBB267_6:                              ;   in Loop: Header=BB267_2 Depth=1
	s_or_b32 exec_lo, exec_lo, s12
	v_and_b32_e32 v0, 1, v24
	v_lshlrev_b32_e32 v2, 30, v24
	v_lshlrev_b32_e32 v4, 29, v24
	;; [unrolled: 1-line block ×4, first 2 shown]
	v_add_co_u32 v0, s12, v0, -1
	s_delay_alu instid0(VALU_DEP_1)
	v_cndmask_b32_e64 v3, 0, 1, s12
	v_not_b32_e32 v7, v2
	v_cmp_gt_i32_e64 s13, 0, v2
	v_not_b32_e32 v2, v4
	v_and_b32_e32 v1, 0xff, v24
	v_cmp_ne_u32_e64 s12, 0, v3
	v_ashrrev_i32_e32 v7, 31, v7
	v_lshlrev_b32_e32 v3, 26, v24
	v_ashrrev_i32_e32 v2, 31, v2
	v_lshlrev_b32_e32 v1, 3, v1
	v_xor_b32_e32 v0, s12, v0
	v_cmp_gt_i32_e64 s12, 0, v4
	v_not_b32_e32 v4, v5
	v_xor_b32_e32 v7, s13, v7
	v_cmp_gt_i32_e64 s13, 0, v5
	v_and_b32_e32 v0, exec_lo, v0
	v_not_b32_e32 v5, v6
	v_ashrrev_i32_e32 v4, 31, v4
	v_xor_b32_e32 v2, s12, v2
	v_cmp_gt_i32_e64 s12, 0, v6
	v_and_b32_e32 v0, v0, v7
	v_lshlrev_b32_e32 v7, 25, v24
	v_ashrrev_i32_e32 v5, 31, v5
	v_xor_b32_e32 v4, s13, v4
	v_not_b32_e32 v6, v3
	v_and_b32_e32 v0, v0, v2
	v_lshlrev_b32_e32 v2, 24, v24
	v_not_b32_e32 v33, v7
	v_xor_b32_e32 v5, s12, v5
	v_cmp_gt_i32_e64 s12, 0, v3
	v_and_b32_e32 v0, v0, v4
	v_ashrrev_i32_e32 v3, 31, v6
	v_cmp_gt_i32_e64 s13, 0, v7
	v_ashrrev_i32_e32 v4, 31, v33
	v_add_lshl_u32 v1, v20, v1, 2
	v_and_b32_e32 v0, v0, v5
	v_not_b32_e32 v5, v2
	v_xor_b32_e32 v3, s12, v3
	v_xor_b32_e32 v4, s13, v4
	v_cmp_gt_i32_e64 s12, 0, v2
	s_delay_alu instid0(VALU_DEP_4) | instskip(NEXT) | instid1(VALU_DEP_4)
	v_ashrrev_i32_e32 v2, 31, v5
	v_and_b32_e32 v0, v0, v3
	; wave barrier
	ds_load_b32 v33, v1 offset:32
	v_add_nc_u32_e32 v35, 32, v1
	v_xor_b32_e32 v2, s12, v2
	v_and_b32_e32 v0, v0, v4
	; wave barrier
	s_delay_alu instid0(VALU_DEP_1) | instskip(NEXT) | instid1(VALU_DEP_1)
	v_and_b32_e32 v0, v0, v2
	v_mbcnt_lo_u32_b32 v34, v0, 0
	v_cmp_ne_u32_e64 s13, 0, v0
	s_delay_alu instid0(VALU_DEP_2) | instskip(NEXT) | instid1(VALU_DEP_1)
	v_cmp_eq_u32_e64 s12, 0, v34
	s_and_b32 s13, s13, s12
	s_delay_alu instid0(SALU_CYCLE_1)
	s_and_saveexec_b32 s12, s13
	s_cbranch_execz .LBB267_8
; %bb.7:                                ;   in Loop: Header=BB267_2 Depth=1
	s_waitcnt lgkmcnt(0)
	v_bcnt_u32_b32 v0, v0, v33
	ds_store_b32 v35, v0
.LBB267_8:                              ;   in Loop: Header=BB267_2 Depth=1
	s_or_b32 exec_lo, exec_lo, s12
	; wave barrier
	s_waitcnt lgkmcnt(0)
	s_barrier
	buffer_gl0_inv
	ds_load_2addr_b64 v[4:7], v13 offset0:4 offset1:5
	ds_load_2addr_b64 v[0:3], v14 offset0:2 offset1:3
	s_waitcnt lgkmcnt(1)
	v_add_nc_u32_e32 v36, v5, v4
	s_delay_alu instid0(VALU_DEP_1) | instskip(SKIP_1) | instid1(VALU_DEP_1)
	v_add3_u32 v36, v36, v6, v7
	s_waitcnt lgkmcnt(0)
	v_add3_u32 v36, v36, v0, v1
	s_delay_alu instid0(VALU_DEP_1) | instskip(NEXT) | instid1(VALU_DEP_1)
	v_add3_u32 v3, v36, v2, v3
	v_mov_b32_dpp v36, v3 row_shr:1 row_mask:0xf bank_mask:0xf
	s_delay_alu instid0(VALU_DEP_1) | instskip(NEXT) | instid1(VALU_DEP_1)
	v_cndmask_b32_e64 v36, v36, 0, s0
	v_add_nc_u32_e32 v3, v36, v3
	s_delay_alu instid0(VALU_DEP_1) | instskip(NEXT) | instid1(VALU_DEP_1)
	v_mov_b32_dpp v36, v3 row_shr:2 row_mask:0xf bank_mask:0xf
	v_cndmask_b32_e64 v36, 0, v36, s1
	s_delay_alu instid0(VALU_DEP_1) | instskip(NEXT) | instid1(VALU_DEP_1)
	v_add_nc_u32_e32 v3, v3, v36
	v_mov_b32_dpp v36, v3 row_shr:4 row_mask:0xf bank_mask:0xf
	s_delay_alu instid0(VALU_DEP_1) | instskip(NEXT) | instid1(VALU_DEP_1)
	v_cndmask_b32_e64 v36, 0, v36, s2
	v_add_nc_u32_e32 v3, v3, v36
	s_delay_alu instid0(VALU_DEP_1) | instskip(NEXT) | instid1(VALU_DEP_1)
	v_mov_b32_dpp v36, v3 row_shr:8 row_mask:0xf bank_mask:0xf
	v_cndmask_b32_e64 v36, 0, v36, s3
	s_delay_alu instid0(VALU_DEP_1) | instskip(SKIP_3) | instid1(VALU_DEP_1)
	v_add_nc_u32_e32 v3, v3, v36
	ds_swizzle_b32 v36, v3 offset:swizzle(BROADCAST,32,15)
	s_waitcnt lgkmcnt(0)
	v_cndmask_b32_e64 v36, v36, 0, s4
	v_add_nc_u32_e32 v3, v3, v36
	s_and_saveexec_b32 s12, s11
	s_cbranch_execz .LBB267_10
; %bb.9:                                ;   in Loop: Header=BB267_2 Depth=1
	ds_store_b32 v16, v3
.LBB267_10:                             ;   in Loop: Header=BB267_2 Depth=1
	s_or_b32 exec_lo, exec_lo, s12
	s_waitcnt lgkmcnt(0)
	s_barrier
	buffer_gl0_inv
	s_and_saveexec_b32 s12, s5
	s_cbranch_execz .LBB267_12
; %bb.11:                               ;   in Loop: Header=BB267_2 Depth=1
	ds_load_b32 v36, v21
	s_waitcnt lgkmcnt(0)
	v_mov_b32_dpp v37, v36 row_shr:1 row_mask:0xf bank_mask:0xf
	s_delay_alu instid0(VALU_DEP_1) | instskip(NEXT) | instid1(VALU_DEP_1)
	v_cndmask_b32_e64 v37, v37, 0, s8
	v_add_nc_u32_e32 v36, v37, v36
	s_delay_alu instid0(VALU_DEP_1) | instskip(NEXT) | instid1(VALU_DEP_1)
	v_mov_b32_dpp v37, v36 row_shr:2 row_mask:0xf bank_mask:0xf
	v_cndmask_b32_e64 v37, 0, v37, s9
	s_delay_alu instid0(VALU_DEP_1) | instskip(NEXT) | instid1(VALU_DEP_1)
	v_add_nc_u32_e32 v36, v36, v37
	v_mov_b32_dpp v37, v36 row_shr:4 row_mask:0xf bank_mask:0xf
	s_delay_alu instid0(VALU_DEP_1) | instskip(NEXT) | instid1(VALU_DEP_1)
	v_cndmask_b32_e64 v37, 0, v37, s10
	v_add_nc_u32_e32 v36, v36, v37
	ds_store_b32 v21, v36
.LBB267_12:                             ;   in Loop: Header=BB267_2 Depth=1
	s_or_b32 exec_lo, exec_lo, s12
	v_mov_b32_e32 v36, 0
	s_waitcnt lgkmcnt(0)
	s_barrier
	buffer_gl0_inv
	s_and_saveexec_b32 s12, s6
	s_cbranch_execz .LBB267_1
; %bb.13:                               ;   in Loop: Header=BB267_2 Depth=1
	ds_load_b32 v36, v18
	s_branch .LBB267_1
.LBB267_14:
	v_add_nc_u16 v0, v5, v3
	v_add_nc_u16 v1, v4, v1
	v_add_nc_u16 v2, v6, v2
	s_add_u32 s0, s18, s14
	s_addc_u32 s1, s19, 0
	s_clause 0x2
	global_store_b8 v8, v0, s[0:1]
	global_store_b8 v8, v1, s[0:1] offset:256
	global_store_b8 v8, v2, s[0:1] offset:512
	s_nop 0
	s_sendmsg sendmsg(MSG_DEALLOC_VGPRS)
	s_endpgm
	.section	.rodata,"a",@progbits
	.p2align	6, 0x0
	.amdhsa_kernel _Z17sort_pairs_kernelI22helper_blocked_stripedaLj256ELj3ELj10EEvPKT0_PS1_
		.amdhsa_group_segment_fixed_size 8224
		.amdhsa_private_segment_fixed_size 0
		.amdhsa_kernarg_size 272
		.amdhsa_user_sgpr_count 15
		.amdhsa_user_sgpr_dispatch_ptr 0
		.amdhsa_user_sgpr_queue_ptr 0
		.amdhsa_user_sgpr_kernarg_segment_ptr 1
		.amdhsa_user_sgpr_dispatch_id 0
		.amdhsa_user_sgpr_private_segment_size 0
		.amdhsa_wavefront_size32 1
		.amdhsa_uses_dynamic_stack 0
		.amdhsa_enable_private_segment 0
		.amdhsa_system_sgpr_workgroup_id_x 1
		.amdhsa_system_sgpr_workgroup_id_y 0
		.amdhsa_system_sgpr_workgroup_id_z 0
		.amdhsa_system_sgpr_workgroup_info 0
		.amdhsa_system_vgpr_workitem_id 2
		.amdhsa_next_free_vgpr 38
		.amdhsa_next_free_sgpr 20
		.amdhsa_reserve_vcc 1
		.amdhsa_float_round_mode_32 0
		.amdhsa_float_round_mode_16_64 0
		.amdhsa_float_denorm_mode_32 3
		.amdhsa_float_denorm_mode_16_64 3
		.amdhsa_dx10_clamp 1
		.amdhsa_ieee_mode 1
		.amdhsa_fp16_overflow 0
		.amdhsa_workgroup_processor_mode 1
		.amdhsa_memory_ordered 1
		.amdhsa_forward_progress 0
		.amdhsa_shared_vgpr_count 0
		.amdhsa_exception_fp_ieee_invalid_op 0
		.amdhsa_exception_fp_denorm_src 0
		.amdhsa_exception_fp_ieee_div_zero 0
		.amdhsa_exception_fp_ieee_overflow 0
		.amdhsa_exception_fp_ieee_underflow 0
		.amdhsa_exception_fp_ieee_inexact 0
		.amdhsa_exception_int_div_zero 0
	.end_amdhsa_kernel
	.section	.text._Z17sort_pairs_kernelI22helper_blocked_stripedaLj256ELj3ELj10EEvPKT0_PS1_,"axG",@progbits,_Z17sort_pairs_kernelI22helper_blocked_stripedaLj256ELj3ELj10EEvPKT0_PS1_,comdat
.Lfunc_end267:
	.size	_Z17sort_pairs_kernelI22helper_blocked_stripedaLj256ELj3ELj10EEvPKT0_PS1_, .Lfunc_end267-_Z17sort_pairs_kernelI22helper_blocked_stripedaLj256ELj3ELj10EEvPKT0_PS1_
                                        ; -- End function
	.section	.AMDGPU.csdata,"",@progbits
; Kernel info:
; codeLenInByte = 2608
; NumSgprs: 22
; NumVgprs: 38
; ScratchSize: 0
; MemoryBound: 0
; FloatMode: 240
; IeeeMode: 1
; LDSByteSize: 8224 bytes/workgroup (compile time only)
; SGPRBlocks: 2
; VGPRBlocks: 4
; NumSGPRsForWavesPerEU: 22
; NumVGPRsForWavesPerEU: 38
; Occupancy: 16
; WaveLimiterHint : 1
; COMPUTE_PGM_RSRC2:SCRATCH_EN: 0
; COMPUTE_PGM_RSRC2:USER_SGPR: 15
; COMPUTE_PGM_RSRC2:TRAP_HANDLER: 0
; COMPUTE_PGM_RSRC2:TGID_X_EN: 1
; COMPUTE_PGM_RSRC2:TGID_Y_EN: 0
; COMPUTE_PGM_RSRC2:TGID_Z_EN: 0
; COMPUTE_PGM_RSRC2:TIDIG_COMP_CNT: 2
	.section	.text._Z16sort_keys_kernelI22helper_blocked_stripedaLj256ELj4ELj10EEvPKT0_PS1_,"axG",@progbits,_Z16sort_keys_kernelI22helper_blocked_stripedaLj256ELj4ELj10EEvPKT0_PS1_,comdat
	.protected	_Z16sort_keys_kernelI22helper_blocked_stripedaLj256ELj4ELj10EEvPKT0_PS1_ ; -- Begin function _Z16sort_keys_kernelI22helper_blocked_stripedaLj256ELj4ELj10EEvPKT0_PS1_
	.globl	_Z16sort_keys_kernelI22helper_blocked_stripedaLj256ELj4ELj10EEvPKT0_PS1_
	.p2align	8
	.type	_Z16sort_keys_kernelI22helper_blocked_stripedaLj256ELj4ELj10EEvPKT0_PS1_,@function
_Z16sort_keys_kernelI22helper_blocked_stripedaLj256ELj4ELj10EEvPKT0_PS1_: ; @_Z16sort_keys_kernelI22helper_blocked_stripedaLj256ELj4ELj10EEvPKT0_PS1_
; %bb.0:
	s_clause 0x1
	s_load_b128 s[16:19], s[0:1], 0x0
	s_load_b32 s2, s[0:1], 0x1c
	s_lshl_b32 s20, s15, 10
	v_bfe_u32 v2, v0, 10, 10
	v_mbcnt_lo_u32_b32 v4, -1, 0
	s_mov_b32 s21, 10
	s_delay_alu instid0(VALU_DEP_1) | instskip(SKIP_1) | instid1(VALU_DEP_2)
	v_and_b32_e32 v13, 28, v4
	v_cmp_eq_u32_e64 s11, 0, v4
	v_or_b32_e32 v15, 32, v13
	v_or_b32_e32 v16, 64, v13
	;; [unrolled: 1-line block ×3, first 2 shown]
	s_waitcnt lgkmcnt(0)
	s_add_u32 s0, s16, s20
	s_mov_b32 s16, 0
	s_addc_u32 s1, s17, 0
	s_mov_b32 s17, s16
	v_and_b32_e32 v8, 0x3ff, v0
	v_bfe_u32 v0, v0, 20, 10
	s_mov_b32 s22, s16
	s_mov_b32 s23, s16
	v_and_b32_e32 v5, 3, v4
	v_lshlrev_b32_e32 v1, 2, v8
	v_dual_mov_b32 v11, s22 :: v_dual_mov_b32 v12, s23
	s_delay_alu instid0(VALU_DEP_3)
	v_cmp_eq_u32_e32 vcc_lo, 3, v5
	global_load_b32 v1, v1, s[0:1]
	s_lshr_b32 s1, s2, 16
	s_and_b32 s2, s2, 0xffff
	v_mad_u32_u24 v0, v0, s1, v2
	v_cmp_eq_u32_e64 s0, 2, v5
	v_cmp_eq_u32_e64 s1, 1, v5
	s_delay_alu instid0(VALU_DEP_3) | instskip(SKIP_4) | instid1(VALU_DEP_4)
	v_mad_u64_u32 v[2:3], null, v0, s2, v[8:9]
	v_add_nc_u32_e32 v3, -1, v4
	v_dual_mov_b32 v9, s16 :: v_dual_and_b32 v0, 15, v4
	v_mov_b32_e32 v10, s17
	v_lshlrev_b32_e32 v14, 5, v8
	v_cmp_gt_i32_e64 s8, 0, v3
	v_lshrrev_b32_e32 v19, 5, v2
	v_and_b32_e32 v2, 16, v4
	v_cmp_eq_u32_e64 s3, 0, v0
	v_cmp_lt_u32_e64 s4, 1, v0
	v_cmp_lt_u32_e64 s5, 3, v0
	;; [unrolled: 1-line block ×3, first 2 shown]
	v_cmp_eq_u32_e64 s7, 0, v2
	v_cndmask_b32_e64 v0, v3, v4, s8
	v_lshrrev_b32_e32 v2, 3, v8
	v_cmp_eq_u32_e64 s2, 0, v5
	v_or_b32_e32 v5, 31, v8
	v_add_nc_u32_e32 v18, 32, v14
	v_lshlrev_b32_e32 v20, 2, v0
	v_and_b32_e32 v0, 7, v4
	v_and_b32_e32 v21, 28, v2
	v_mul_u32_u24_e32 v2, 3, v8
	v_cmp_eq_u32_e64 s8, v5, v8
	v_cmp_gt_u32_e64 s9, 8, v8
	v_cmp_lt_u32_e64 s10, 31, v8
	v_cmp_eq_u32_e64 s12, 0, v8
	v_cmp_eq_u32_e64 s13, 0, v0
	v_cmp_lt_u32_e64 s14, 1, v0
	v_cmp_lt_u32_e64 s15, 3, v0
	v_add_nc_u32_e32 v22, -4, v21
	v_add_nc_u32_e32 v23, v8, v2
	s_branch .LBB268_2
.LBB268_1:                              ;   in Loop: Header=BB268_2 Depth=1
	s_or_b32 exec_lo, exec_lo, s16
	s_waitcnt lgkmcnt(0)
	v_add_nc_u32_e32 v3, v39, v3
	s_add_i32 s21, s21, -1
	s_delay_alu instid0(SALU_CYCLE_1) | instskip(SKIP_3) | instid1(VALU_DEP_1)
	s_cmp_eq_u32 s21, 0
	ds_bpermute_b32 v3, v20, v3
	s_waitcnt lgkmcnt(0)
	v_cndmask_b32_e64 v3, v3, v39, s11
	v_cndmask_b32_e64 v3, v3, 0, s12
	s_delay_alu instid0(VALU_DEP_1) | instskip(NEXT) | instid1(VALU_DEP_1)
	v_add_nc_u32_e32 v4, v3, v4
	v_add_nc_u32_e32 v5, v4, v5
	s_delay_alu instid0(VALU_DEP_1) | instskip(NEXT) | instid1(VALU_DEP_1)
	v_add_nc_u32_e32 v6, v5, v6
	v_add_nc_u32_e32 v39, v6, v7
	;; [unrolled: 3-line block ×3, first 2 shown]
	s_delay_alu instid0(VALU_DEP_1)
	v_add_nc_u32_e32 v1, v0, v2
	ds_store_2addr_b64 v14, v[3:4], v[5:6] offset0:4 offset1:5
	ds_store_2addr_b64 v18, v[39:40], v[0:1] offset0:2 offset1:3
	s_waitcnt lgkmcnt(0)
	s_barrier
	buffer_gl0_inv
	ds_load_b32 v0, v26
	ds_load_b32 v1, v30
	;; [unrolled: 1-line block ×4, first 2 shown]
	s_waitcnt lgkmcnt(0)
	s_barrier
	buffer_gl0_inv
	v_add_nc_u32_e32 v0, v0, v25
	v_add3_u32 v1, v29, v28, v1
	v_add3_u32 v2, v33, v32, v2
	;; [unrolled: 1-line block ×3, first 2 shown]
	ds_store_b8 v0, v24
	ds_store_b8 v1, v27
	;; [unrolled: 1-line block ×4, first 2 shown]
	s_waitcnt lgkmcnt(0)
	s_barrier
	buffer_gl0_inv
	ds_load_u8 v0, v8 offset:256
	ds_load_u8 v1, v8
	ds_load_u8 v2, v8 offset:768
	ds_load_u8 v4, v8 offset:512
	s_waitcnt lgkmcnt(3)
	v_xor_b32_e32 v0, 0xffffff80, v0
	s_waitcnt lgkmcnt(2)
	v_xor_b32_e32 v3, 0xffffff80, v1
	;; [unrolled: 2-line block ×4, first 2 shown]
	v_lshlrev_b16 v1, 8, v0
	v_and_b32_e32 v5, 0xff, v3
	v_lshlrev_b16 v6, 8, v2
	s_delay_alu instid0(VALU_DEP_4) | instskip(NEXT) | instid1(VALU_DEP_3)
	v_and_b32_e32 v7, 0xff, v4
	v_or_b32_e32 v1, v5, v1
	s_delay_alu instid0(VALU_DEP_2) | instskip(NEXT) | instid1(VALU_DEP_2)
	v_or_b32_e32 v5, v7, v6
	v_and_b32_e32 v1, 0xffff, v1
	s_delay_alu instid0(VALU_DEP_2) | instskip(NEXT) | instid1(VALU_DEP_1)
	v_lshlrev_b32_e32 v5, 16, v5
	v_or_b32_e32 v1, v1, v5
	s_cbranch_scc1 .LBB268_16
.LBB268_2:                              ; =>This Inner Loop Header: Depth=1
	s_waitcnt vmcnt(0)
	s_delay_alu instid0(VALU_DEP_1) | instskip(SKIP_3) | instid1(VALU_DEP_4)
	v_lshrrev_b32_e32 v0, 8, v1
	v_xor_b32_e32 v2, 0x80, v1
	v_lshrrev_b32_e32 v3, 16, v1
	v_lshrrev_b32_e32 v1, 24, v1
	v_xor_b32_e32 v0, 0x80, v0
	s_delay_alu instid0(VALU_DEP_4) | instskip(NEXT) | instid1(VALU_DEP_4)
	v_and_b32_e32 v2, 0xff, v2
	v_xor_b32_e32 v3, 0x80, v3
	s_delay_alu instid0(VALU_DEP_4)
	v_xor_b32_e32 v1, 0x80, v1
	s_barrier
	v_and_b32_e32 v0, 0xff, v0
	ds_bpermute_b32 v4, v13, v2
	v_and_b32_e32 v3, 0xff, v3
	v_and_b32_e32 v1, 0xffff, v1
	s_waitcnt lgkmcnt(0)
	buffer_gl0_inv
	ds_bpermute_b32 v5, v13, v0
	ds_store_2addr_b64 v14, v[9:10], v[11:12] offset0:4 offset1:5
	ds_store_2addr_b64 v18, v[9:10], v[11:12] offset0:2 offset1:3
	ds_bpermute_b32 v6, v13, v3
	ds_bpermute_b32 v7, v13, v1
	s_waitcnt lgkmcnt(0)
	s_barrier
	buffer_gl0_inv
	; wave barrier
	v_perm_b32 v5, v5, v4, 0x3020104
	s_delay_alu instid0(VALU_DEP_1) | instskip(SKIP_2) | instid1(VALU_DEP_1)
	v_cndmask_b32_e64 v4, v4, v5, s1
	ds_bpermute_b32 v5, v15, v2
	v_perm_b32 v6, v6, v4, 0x3020104
	v_cndmask_b32_e64 v4, v4, v6, s0
	s_delay_alu instid0(VALU_DEP_1) | instskip(SKIP_4) | instid1(VALU_DEP_2)
	v_perm_b32 v6, v7, v4, 0x3020104
	ds_bpermute_b32 v7, v15, v0
	v_cndmask_b32_e32 v4, v4, v6, vcc_lo
	s_waitcnt lgkmcnt(1)
	v_lshlrev_b16 v5, 8, v5
	v_and_b32_e32 v6, 0xff, v4
	s_delay_alu instid0(VALU_DEP_1) | instskip(NEXT) | instid1(VALU_DEP_1)
	v_or_b32_e32 v5, v6, v5
	v_and_b32_e32 v5, 0xffff, v5
	s_delay_alu instid0(VALU_DEP_1) | instskip(NEXT) | instid1(VALU_DEP_1)
	v_and_or_b32 v5, 0xffff0000, v4, v5
	v_cndmask_b32_e64 v4, v4, v5, s2
	s_waitcnt lgkmcnt(0)
	v_lshlrev_b16 v5, 8, v7
	ds_bpermute_b32 v7, v15, v3
	v_and_b32_e32 v6, 0xff, v4
	s_delay_alu instid0(VALU_DEP_1) | instskip(NEXT) | instid1(VALU_DEP_1)
	v_or_b32_e32 v5, v6, v5
	v_and_b32_e32 v5, 0xffff, v5
	s_delay_alu instid0(VALU_DEP_1) | instskip(NEXT) | instid1(VALU_DEP_1)
	v_and_or_b32 v5, 0xffff0000, v4, v5
	v_cndmask_b32_e64 v4, v4, v5, s1
	s_waitcnt lgkmcnt(0)
	v_lshlrev_b16 v5, 8, v7
	ds_bpermute_b32 v7, v15, v1
	v_and_b32_e32 v6, 0xff, v4
	s_delay_alu instid0(VALU_DEP_1) | instskip(NEXT) | instid1(VALU_DEP_1)
	v_or_b32_e32 v5, v6, v5
	v_and_b32_e32 v5, 0xffff, v5
	s_delay_alu instid0(VALU_DEP_1) | instskip(NEXT) | instid1(VALU_DEP_1)
	v_and_or_b32 v5, 0xffff0000, v4, v5
	v_cndmask_b32_e64 v4, v4, v5, s0
	s_waitcnt lgkmcnt(0)
	v_lshlrev_b16 v5, 8, v7
	s_delay_alu instid0(VALU_DEP_2) | instskip(NEXT) | instid1(VALU_DEP_1)
	v_and_b32_e32 v6, 0xff, v4
	v_or_b32_e32 v5, v6, v5
	ds_bpermute_b32 v6, v16, v2
	ds_bpermute_b32 v2, v17, v2
	v_and_b32_e32 v5, 0xffff, v5
	s_delay_alu instid0(VALU_DEP_1) | instskip(NEXT) | instid1(VALU_DEP_1)
	v_and_or_b32 v5, 0xffff0000, v4, v5
	v_cndmask_b32_e32 v4, v4, v5, vcc_lo
	s_delay_alu instid0(VALU_DEP_1)
	v_lshrrev_b32_e32 v5, 16, v4
	s_waitcnt lgkmcnt(1)
	v_and_b32_e32 v6, 0xff, v6
	s_waitcnt lgkmcnt(0)
	v_lshlrev_b16 v2, 8, v2
	v_and_b32_e32 v5, 0xffffff00, v5
	s_delay_alu instid0(VALU_DEP_1) | instskip(SKIP_3) | instid1(VALU_DEP_1)
	v_or_b32_e32 v5, v6, v5
	ds_bpermute_b32 v6, v16, v0
	ds_bpermute_b32 v0, v17, v0
	v_lshlrev_b32_e32 v5, 16, v5
	v_and_or_b32 v5, 0xffff, v4, v5
	s_delay_alu instid0(VALU_DEP_1) | instskip(NEXT) | instid1(VALU_DEP_1)
	v_cndmask_b32_e64 v4, v4, v5, s2
	v_lshrrev_b32_e32 v5, 16, v4
	s_waitcnt lgkmcnt(1)
	v_and_b32_e32 v6, 0xff, v6
	s_waitcnt lgkmcnt(0)
	v_lshlrev_b16 v0, 8, v0
	v_and_b32_e32 v5, 0xffffff00, v5
	s_delay_alu instid0(VALU_DEP_1) | instskip(SKIP_3) | instid1(VALU_DEP_1)
	v_or_b32_e32 v5, v6, v5
	ds_bpermute_b32 v6, v16, v3
	ds_bpermute_b32 v3, v17, v3
	v_lshlrev_b32_e32 v5, 16, v5
	v_and_or_b32 v5, 0xffff, v4, v5
	s_delay_alu instid0(VALU_DEP_1) | instskip(NEXT) | instid1(VALU_DEP_1)
	v_cndmask_b32_e64 v4, v4, v5, s1
	;; [unrolled: 14-line block ×3, first 2 shown]
	v_lshrrev_b32_e32 v5, 16, v4
	s_waitcnt lgkmcnt(1)
	v_and_b32_e32 v6, 0xff, v6
	s_waitcnt lgkmcnt(0)
	v_lshlrev_b16 v1, 8, v1
	v_and_b32_e32 v5, 0xffffff00, v5
	s_delay_alu instid0(VALU_DEP_1) | instskip(NEXT) | instid1(VALU_DEP_1)
	v_or_b32_e32 v5, v6, v5
	v_lshlrev_b32_e32 v5, 16, v5
	s_delay_alu instid0(VALU_DEP_1) | instskip(NEXT) | instid1(VALU_DEP_1)
	v_and_or_b32 v5, 0xffff, v4, v5
	v_cndmask_b32_e32 v4, v4, v5, vcc_lo
	s_delay_alu instid0(VALU_DEP_1) | instskip(NEXT) | instid1(VALU_DEP_1)
	v_lshrrev_b32_e32 v5, 16, v4
	v_and_b32_e32 v5, 0xff, v5
	s_delay_alu instid0(VALU_DEP_1) | instskip(NEXT) | instid1(VALU_DEP_1)
	v_or_b32_e32 v2, v5, v2
	v_lshlrev_b32_e32 v2, 16, v2
	s_delay_alu instid0(VALU_DEP_1) | instskip(NEXT) | instid1(VALU_DEP_1)
	v_and_or_b32 v2, 0xffff, v4, v2
	v_cndmask_b32_e64 v2, v4, v2, s2
	s_delay_alu instid0(VALU_DEP_1) | instskip(NEXT) | instid1(VALU_DEP_1)
	v_lshrrev_b32_e32 v4, 16, v2
	v_and_b32_e32 v4, 0xff, v4
	s_delay_alu instid0(VALU_DEP_1) | instskip(NEXT) | instid1(VALU_DEP_1)
	v_or_b32_e32 v0, v4, v0
	v_lshlrev_b32_e32 v0, 16, v0
	s_delay_alu instid0(VALU_DEP_1) | instskip(NEXT) | instid1(VALU_DEP_1)
	v_and_or_b32 v0, 0xffff, v2, v0
	v_cndmask_b32_e64 v0, v2, v0, s1
	;; [unrolled: 9-line block ×3, first 2 shown]
	s_delay_alu instid0(VALU_DEP_1) | instskip(NEXT) | instid1(VALU_DEP_1)
	v_lshrrev_b32_e32 v2, 16, v0
	v_and_b32_e32 v2, 0xff, v2
	s_delay_alu instid0(VALU_DEP_1) | instskip(NEXT) | instid1(VALU_DEP_1)
	v_or_b32_e32 v1, v2, v1
	v_lshlrev_b32_e32 v1, 16, v1
	s_delay_alu instid0(VALU_DEP_1) | instskip(NEXT) | instid1(VALU_DEP_1)
	v_and_or_b32 v1, 0xffff, v0, v1
	v_cndmask_b32_e32 v24, v0, v1, vcc_lo
	s_delay_alu instid0(VALU_DEP_1)
	v_lshlrev_b32_e32 v3, 28, v24
	v_and_b32_e32 v0, 1, v24
	v_lshlrev_b32_e32 v1, 30, v24
	v_lshlrev_b32_e32 v2, 29, v24
	;; [unrolled: 1-line block ×4, first 2 shown]
	v_add_co_u32 v0, s16, v0, -1
	s_delay_alu instid0(VALU_DEP_1)
	v_cndmask_b32_e64 v4, 0, 1, s16
	v_not_b32_e32 v25, v1
	v_cmp_gt_i32_e64 s17, 0, v1
	v_not_b32_e32 v1, v2
	v_lshlrev_b32_e32 v7, 25, v24
	v_cmp_ne_u32_e64 s16, 0, v4
	v_ashrrev_i32_e32 v25, 31, v25
	v_lshlrev_b32_e32 v4, 24, v24
	v_ashrrev_i32_e32 v1, 31, v1
	s_delay_alu instid0(VALU_DEP_4)
	v_xor_b32_e32 v0, s16, v0
	v_cmp_gt_i32_e64 s16, 0, v2
	v_not_b32_e32 v2, v3
	v_xor_b32_e32 v25, s17, v25
	v_cmp_gt_i32_e64 s17, 0, v3
	v_and_b32_e32 v0, exec_lo, v0
	v_not_b32_e32 v3, v5
	v_ashrrev_i32_e32 v2, 31, v2
	v_xor_b32_e32 v1, s16, v1
	v_cmp_gt_i32_e64 s16, 0, v5
	v_and_b32_e32 v0, v0, v25
	v_not_b32_e32 v5, v6
	v_ashrrev_i32_e32 v3, 31, v3
	v_xor_b32_e32 v2, s17, v2
	v_cmp_gt_i32_e64 s17, 0, v6
	v_and_b32_e32 v0, v0, v1
	;; [unrolled: 5-line block ×4, first 2 shown]
	v_ashrrev_i32_e32 v2, 31, v2
	v_xor_b32_e32 v1, s16, v1
	s_delay_alu instid0(VALU_DEP_3) | instskip(NEXT) | instid1(VALU_DEP_3)
	v_and_b32_e32 v0, v0, v5
	v_xor_b32_e32 v2, s17, v2
	s_delay_alu instid0(VALU_DEP_2) | instskip(SKIP_1) | instid1(VALU_DEP_2)
	v_and_b32_e32 v0, v0, v1
	v_and_b32_e32 v1, 0xff, v24
	;; [unrolled: 1-line block ×3, first 2 shown]
	s_delay_alu instid0(VALU_DEP_2) | instskip(NEXT) | instid1(VALU_DEP_2)
	v_lshl_add_u32 v1, v1, 3, v19
	v_mbcnt_lo_u32_b32 v25, v0, 0
	v_cmp_ne_u32_e64 s17, 0, v0
	s_delay_alu instid0(VALU_DEP_3) | instskip(NEXT) | instid1(VALU_DEP_3)
	v_lshl_add_u32 v26, v1, 2, 32
	v_cmp_eq_u32_e64 s16, 0, v25
	s_delay_alu instid0(VALU_DEP_1) | instskip(NEXT) | instid1(SALU_CYCLE_1)
	s_and_b32 s17, s16, s17
	s_and_saveexec_b32 s16, s17
	s_cbranch_execz .LBB268_4
; %bb.3:                                ;   in Loop: Header=BB268_2 Depth=1
	v_bcnt_u32_b32 v0, v0, 0
	ds_store_b32 v26, v0
.LBB268_4:                              ;   in Loop: Header=BB268_2 Depth=1
	s_or_b32 exec_lo, exec_lo, s16
	v_bfe_u32 v0, v24, 8, 1
	v_lshrrev_b32_e32 v27, 8, v24
	; wave barrier
	s_delay_alu instid0(VALU_DEP_2) | instskip(NEXT) | instid1(VALU_DEP_1)
	v_add_co_u32 v0, s16, v0, -1
	v_cndmask_b32_e64 v1, 0, 1, s16
	s_delay_alu instid0(VALU_DEP_3)
	v_lshlrev_b32_e32 v2, 30, v27
	v_lshlrev_b32_e32 v3, 29, v27
	;; [unrolled: 1-line block ×4, first 2 shown]
	v_cmp_ne_u32_e64 s16, 0, v1
	v_not_b32_e32 v1, v2
	v_cmp_gt_i32_e64 s17, 0, v2
	v_not_b32_e32 v2, v3
	v_lshlrev_b32_e32 v6, 26, v27
	v_xor_b32_e32 v0, s16, v0
	v_ashrrev_i32_e32 v1, 31, v1
	v_cmp_gt_i32_e64 s16, 0, v3
	v_not_b32_e32 v3, v4
	v_ashrrev_i32_e32 v2, 31, v2
	v_and_b32_e32 v0, exec_lo, v0
	v_xor_b32_e32 v1, s17, v1
	v_cmp_gt_i32_e64 s17, 0, v4
	v_not_b32_e32 v4, v5
	v_ashrrev_i32_e32 v3, 31, v3
	v_xor_b32_e32 v2, s16, v2
	v_and_b32_e32 v0, v0, v1
	v_cmp_gt_i32_e64 s16, 0, v5
	v_not_b32_e32 v1, v6
	v_ashrrev_i32_e32 v4, 31, v4
	v_xor_b32_e32 v3, s17, v3
	v_and_b32_e32 v0, v0, v2
	v_lshlrev_b32_e32 v2, 25, v27
	v_cmp_gt_i32_e64 s17, 0, v6
	v_ashrrev_i32_e32 v1, 31, v1
	v_xor_b32_e32 v4, s16, v4
	v_and_b32_e32 v0, v0, v3
	v_not_b32_e32 v5, v2
	v_lshlrev_b32_e32 v6, 24, v27
	v_lshrrev_b32_e32 v3, 5, v24
	v_xor_b32_e32 v1, s17, v1
	v_and_b32_e32 v0, v0, v4
	v_cmp_gt_i32_e64 s16, 0, v2
	v_ashrrev_i32_e32 v2, 31, v5
	v_not_b32_e32 v4, v6
	v_and_b32_e32 v3, 0x7f8, v3
	v_and_b32_e32 v0, v0, v1
	s_delay_alu instid0(VALU_DEP_4) | instskip(SKIP_3) | instid1(VALU_DEP_4)
	v_xor_b32_e32 v1, s16, v2
	v_cmp_gt_i32_e64 s16, 0, v6
	v_ashrrev_i32_e32 v2, 31, v4
	v_add_lshl_u32 v3, v3, v19, 2
	v_and_b32_e32 v0, v0, v1
	s_delay_alu instid0(VALU_DEP_3) | instskip(SKIP_3) | instid1(VALU_DEP_1)
	v_xor_b32_e32 v1, s16, v2
	ds_load_b32 v28, v3 offset:32
	v_add_nc_u32_e32 v30, 32, v3
	; wave barrier
	v_and_b32_e32 v0, v0, v1
	v_mbcnt_lo_u32_b32 v29, v0, 0
	v_cmp_ne_u32_e64 s17, 0, v0
	s_delay_alu instid0(VALU_DEP_2) | instskip(NEXT) | instid1(VALU_DEP_1)
	v_cmp_eq_u32_e64 s16, 0, v29
	s_and_b32 s17, s17, s16
	s_delay_alu instid0(SALU_CYCLE_1)
	s_and_saveexec_b32 s16, s17
	s_cbranch_execz .LBB268_6
; %bb.5:                                ;   in Loop: Header=BB268_2 Depth=1
	s_waitcnt lgkmcnt(0)
	v_bcnt_u32_b32 v0, v0, v28
	ds_store_b32 v30, v0
.LBB268_6:                              ;   in Loop: Header=BB268_2 Depth=1
	s_or_b32 exec_lo, exec_lo, s16
	v_bfe_u32 v0, v24, 16, 1
	v_lshrrev_b32_e32 v31, 16, v24
	; wave barrier
	s_delay_alu instid0(VALU_DEP_2) | instskip(NEXT) | instid1(VALU_DEP_1)
	v_add_co_u32 v0, s16, v0, -1
	v_cndmask_b32_e64 v1, 0, 1, s16
	s_delay_alu instid0(VALU_DEP_3)
	v_lshlrev_b32_e32 v2, 30, v31
	v_lshlrev_b32_e32 v3, 29, v31
	;; [unrolled: 1-line block ×4, first 2 shown]
	v_cmp_ne_u32_e64 s16, 0, v1
	v_not_b32_e32 v1, v2
	v_cmp_gt_i32_e64 s17, 0, v2
	v_not_b32_e32 v2, v3
	v_lshlrev_b32_e32 v6, 26, v31
	v_xor_b32_e32 v0, s16, v0
	v_ashrrev_i32_e32 v1, 31, v1
	v_cmp_gt_i32_e64 s16, 0, v3
	v_not_b32_e32 v3, v4
	v_ashrrev_i32_e32 v2, 31, v2
	v_and_b32_e32 v0, exec_lo, v0
	v_xor_b32_e32 v1, s17, v1
	v_cmp_gt_i32_e64 s17, 0, v4
	v_not_b32_e32 v4, v5
	v_ashrrev_i32_e32 v3, 31, v3
	v_xor_b32_e32 v2, s16, v2
	v_and_b32_e32 v0, v0, v1
	v_cmp_gt_i32_e64 s16, 0, v5
	v_not_b32_e32 v1, v6
	v_ashrrev_i32_e32 v4, 31, v4
	v_xor_b32_e32 v3, s17, v3
	v_and_b32_e32 v0, v0, v2
	v_lshlrev_b32_e32 v2, 25, v31
	v_cmp_gt_i32_e64 s17, 0, v6
	v_ashrrev_i32_e32 v1, 31, v1
	v_xor_b32_e32 v4, s16, v4
	v_and_b32_e32 v0, v0, v3
	v_not_b32_e32 v5, v2
	v_lshlrev_b32_e32 v6, 24, v31
	v_lshrrev_b32_e32 v3, 13, v24
	v_xor_b32_e32 v1, s17, v1
	v_and_b32_e32 v0, v0, v4
	v_cmp_gt_i32_e64 s16, 0, v2
	v_ashrrev_i32_e32 v2, 31, v5
	v_not_b32_e32 v4, v6
	v_and_b32_e32 v3, 0x7f8, v3
	v_and_b32_e32 v0, v0, v1
	s_delay_alu instid0(VALU_DEP_4) | instskip(SKIP_3) | instid1(VALU_DEP_4)
	v_xor_b32_e32 v1, s16, v2
	v_cmp_gt_i32_e64 s16, 0, v6
	v_ashrrev_i32_e32 v2, 31, v4
	v_add_lshl_u32 v3, v3, v19, 2
	v_and_b32_e32 v0, v0, v1
	s_delay_alu instid0(VALU_DEP_3) | instskip(SKIP_3) | instid1(VALU_DEP_1)
	v_xor_b32_e32 v1, s16, v2
	ds_load_b32 v32, v3 offset:32
	v_add_nc_u32_e32 v34, 32, v3
	; wave barrier
	v_and_b32_e32 v0, v0, v1
	v_mbcnt_lo_u32_b32 v33, v0, 0
	v_cmp_ne_u32_e64 s17, 0, v0
	s_delay_alu instid0(VALU_DEP_2) | instskip(NEXT) | instid1(VALU_DEP_1)
	v_cmp_eq_u32_e64 s16, 0, v33
	s_and_b32 s17, s17, s16
	s_delay_alu instid0(SALU_CYCLE_1)
	s_and_saveexec_b32 s16, s17
	s_cbranch_execz .LBB268_8
; %bb.7:                                ;   in Loop: Header=BB268_2 Depth=1
	s_waitcnt lgkmcnt(0)
	v_bcnt_u32_b32 v0, v0, v32
	ds_store_b32 v34, v0
.LBB268_8:                              ;   in Loop: Header=BB268_2 Depth=1
	s_or_b32 exec_lo, exec_lo, s16
	v_bfe_u32 v0, v24, 24, 1
	v_lshrrev_b32_e32 v35, 24, v24
	; wave barrier
	s_delay_alu instid0(VALU_DEP_2) | instskip(NEXT) | instid1(VALU_DEP_1)
	v_add_co_u32 v0, s16, v0, -1
	v_cndmask_b32_e64 v1, 0, 1, s16
	s_delay_alu instid0(VALU_DEP_3)
	v_lshlrev_b32_e32 v2, 30, v35
	v_lshlrev_b32_e32 v3, 29, v35
	;; [unrolled: 1-line block ×4, first 2 shown]
	v_cmp_ne_u32_e64 s16, 0, v1
	v_not_b32_e32 v1, v2
	v_cmp_gt_i32_e64 s17, 0, v2
	v_not_b32_e32 v2, v3
	v_lshlrev_b32_e32 v6, 26, v35
	v_xor_b32_e32 v0, s16, v0
	v_ashrrev_i32_e32 v1, 31, v1
	v_cmp_gt_i32_e64 s16, 0, v3
	v_not_b32_e32 v3, v4
	v_ashrrev_i32_e32 v2, 31, v2
	v_and_b32_e32 v0, exec_lo, v0
	v_xor_b32_e32 v1, s17, v1
	v_cmp_gt_i32_e64 s17, 0, v4
	v_not_b32_e32 v4, v5
	v_ashrrev_i32_e32 v3, 31, v3
	v_xor_b32_e32 v2, s16, v2
	v_and_b32_e32 v0, v0, v1
	v_lshlrev_b32_e32 v1, 25, v35
	v_cmp_gt_i32_e64 s16, 0, v5
	v_ashrrev_i32_e32 v4, 31, v4
	v_xor_b32_e32 v3, s17, v3
	v_and_b32_e32 v0, v0, v2
	v_not_b32_e32 v5, v6
	v_not_b32_e32 v7, v1
	v_xor_b32_e32 v4, s16, v4
	v_cmp_gt_i32_e64 s16, 0, v6
	v_and_b32_e32 v0, v0, v3
	v_ashrrev_i32_e32 v3, 31, v5
	v_and_b32_e32 v2, 0xff000000, v24
	v_cmp_gt_i32_e64 s17, 0, v1
	v_ashrrev_i32_e32 v1, 31, v7
	v_and_b32_e32 v0, v0, v4
	v_not_b32_e32 v4, v24
	v_xor_b32_e32 v3, s16, v3
	v_lshlrev_b32_e32 v5, 3, v35
	v_xor_b32_e32 v1, s17, v1
	v_cmp_gt_i32_e64 s16, 0, v2
	v_ashrrev_i32_e32 v2, 31, v4
	v_and_b32_e32 v0, v0, v3
	v_add_lshl_u32 v3, v5, v19, 2
	s_delay_alu instid0(VALU_DEP_3) | instskip(NEXT) | instid1(VALU_DEP_3)
	v_xor_b32_e32 v2, s16, v2
	v_and_b32_e32 v0, v0, v1
	ds_load_b32 v36, v3 offset:32
	v_add_nc_u32_e32 v38, 32, v3
	; wave barrier
	v_and_b32_e32 v0, v0, v2
	s_delay_alu instid0(VALU_DEP_1) | instskip(SKIP_1) | instid1(VALU_DEP_2)
	v_mbcnt_lo_u32_b32 v37, v0, 0
	v_cmp_ne_u32_e64 s17, 0, v0
	v_cmp_eq_u32_e64 s16, 0, v37
	s_delay_alu instid0(VALU_DEP_1) | instskip(NEXT) | instid1(SALU_CYCLE_1)
	s_and_b32 s17, s17, s16
	s_and_saveexec_b32 s16, s17
	s_cbranch_execz .LBB268_10
; %bb.9:                                ;   in Loop: Header=BB268_2 Depth=1
	s_waitcnt lgkmcnt(0)
	v_bcnt_u32_b32 v0, v0, v36
	ds_store_b32 v38, v0
.LBB268_10:                             ;   in Loop: Header=BB268_2 Depth=1
	s_or_b32 exec_lo, exec_lo, s16
	; wave barrier
	s_waitcnt lgkmcnt(0)
	s_barrier
	buffer_gl0_inv
	ds_load_2addr_b64 v[4:7], v14 offset0:4 offset1:5
	ds_load_2addr_b64 v[0:3], v18 offset0:2 offset1:3
	s_waitcnt lgkmcnt(1)
	v_add_nc_u32_e32 v39, v5, v4
	s_delay_alu instid0(VALU_DEP_1) | instskip(SKIP_1) | instid1(VALU_DEP_1)
	v_add3_u32 v39, v39, v6, v7
	s_waitcnt lgkmcnt(0)
	v_add3_u32 v39, v39, v0, v1
	s_delay_alu instid0(VALU_DEP_1) | instskip(NEXT) | instid1(VALU_DEP_1)
	v_add3_u32 v3, v39, v2, v3
	v_mov_b32_dpp v39, v3 row_shr:1 row_mask:0xf bank_mask:0xf
	s_delay_alu instid0(VALU_DEP_1) | instskip(NEXT) | instid1(VALU_DEP_1)
	v_cndmask_b32_e64 v39, v39, 0, s3
	v_add_nc_u32_e32 v3, v39, v3
	s_delay_alu instid0(VALU_DEP_1) | instskip(NEXT) | instid1(VALU_DEP_1)
	v_mov_b32_dpp v39, v3 row_shr:2 row_mask:0xf bank_mask:0xf
	v_cndmask_b32_e64 v39, 0, v39, s4
	s_delay_alu instid0(VALU_DEP_1) | instskip(NEXT) | instid1(VALU_DEP_1)
	v_add_nc_u32_e32 v3, v3, v39
	v_mov_b32_dpp v39, v3 row_shr:4 row_mask:0xf bank_mask:0xf
	s_delay_alu instid0(VALU_DEP_1) | instskip(NEXT) | instid1(VALU_DEP_1)
	v_cndmask_b32_e64 v39, 0, v39, s5
	v_add_nc_u32_e32 v3, v3, v39
	s_delay_alu instid0(VALU_DEP_1) | instskip(NEXT) | instid1(VALU_DEP_1)
	v_mov_b32_dpp v39, v3 row_shr:8 row_mask:0xf bank_mask:0xf
	v_cndmask_b32_e64 v39, 0, v39, s6
	s_delay_alu instid0(VALU_DEP_1) | instskip(SKIP_3) | instid1(VALU_DEP_1)
	v_add_nc_u32_e32 v3, v3, v39
	ds_swizzle_b32 v39, v3 offset:swizzle(BROADCAST,32,15)
	s_waitcnt lgkmcnt(0)
	v_cndmask_b32_e64 v39, v39, 0, s7
	v_add_nc_u32_e32 v3, v3, v39
	s_and_saveexec_b32 s16, s8
	s_cbranch_execz .LBB268_12
; %bb.11:                               ;   in Loop: Header=BB268_2 Depth=1
	ds_store_b32 v21, v3
.LBB268_12:                             ;   in Loop: Header=BB268_2 Depth=1
	s_or_b32 exec_lo, exec_lo, s16
	s_waitcnt lgkmcnt(0)
	s_barrier
	buffer_gl0_inv
	s_and_saveexec_b32 s16, s9
	s_cbranch_execz .LBB268_14
; %bb.13:                               ;   in Loop: Header=BB268_2 Depth=1
	ds_load_b32 v39, v23
	s_waitcnt lgkmcnt(0)
	v_mov_b32_dpp v40, v39 row_shr:1 row_mask:0xf bank_mask:0xf
	s_delay_alu instid0(VALU_DEP_1) | instskip(NEXT) | instid1(VALU_DEP_1)
	v_cndmask_b32_e64 v40, v40, 0, s13
	v_add_nc_u32_e32 v39, v40, v39
	s_delay_alu instid0(VALU_DEP_1) | instskip(NEXT) | instid1(VALU_DEP_1)
	v_mov_b32_dpp v40, v39 row_shr:2 row_mask:0xf bank_mask:0xf
	v_cndmask_b32_e64 v40, 0, v40, s14
	s_delay_alu instid0(VALU_DEP_1) | instskip(NEXT) | instid1(VALU_DEP_1)
	v_add_nc_u32_e32 v39, v39, v40
	v_mov_b32_dpp v40, v39 row_shr:4 row_mask:0xf bank_mask:0xf
	s_delay_alu instid0(VALU_DEP_1) | instskip(NEXT) | instid1(VALU_DEP_1)
	v_cndmask_b32_e64 v40, 0, v40, s15
	v_add_nc_u32_e32 v39, v39, v40
	ds_store_b32 v23, v39
.LBB268_14:                             ;   in Loop: Header=BB268_2 Depth=1
	s_or_b32 exec_lo, exec_lo, s16
	v_mov_b32_e32 v39, 0
	s_waitcnt lgkmcnt(0)
	s_barrier
	buffer_gl0_inv
	s_and_saveexec_b32 s16, s10
	s_cbranch_execz .LBB268_1
; %bb.15:                               ;   in Loop: Header=BB268_2 Depth=1
	ds_load_b32 v39, v22
	s_branch .LBB268_1
.LBB268_16:
	s_add_u32 s0, s18, s20
	s_addc_u32 s1, s19, 0
	s_clause 0x3
	global_store_b8 v8, v3, s[0:1]
	global_store_b8 v8, v0, s[0:1] offset:256
	global_store_b8 v8, v4, s[0:1] offset:512
	;; [unrolled: 1-line block ×3, first 2 shown]
	s_nop 0
	s_sendmsg sendmsg(MSG_DEALLOC_VGPRS)
	s_endpgm
	.section	.rodata,"a",@progbits
	.p2align	6, 0x0
	.amdhsa_kernel _Z16sort_keys_kernelI22helper_blocked_stripedaLj256ELj4ELj10EEvPKT0_PS1_
		.amdhsa_group_segment_fixed_size 8224
		.amdhsa_private_segment_fixed_size 0
		.amdhsa_kernarg_size 272
		.amdhsa_user_sgpr_count 15
		.amdhsa_user_sgpr_dispatch_ptr 0
		.amdhsa_user_sgpr_queue_ptr 0
		.amdhsa_user_sgpr_kernarg_segment_ptr 1
		.amdhsa_user_sgpr_dispatch_id 0
		.amdhsa_user_sgpr_private_segment_size 0
		.amdhsa_wavefront_size32 1
		.amdhsa_uses_dynamic_stack 0
		.amdhsa_enable_private_segment 0
		.amdhsa_system_sgpr_workgroup_id_x 1
		.amdhsa_system_sgpr_workgroup_id_y 0
		.amdhsa_system_sgpr_workgroup_id_z 0
		.amdhsa_system_sgpr_workgroup_info 0
		.amdhsa_system_vgpr_workitem_id 2
		.amdhsa_next_free_vgpr 41
		.amdhsa_next_free_sgpr 24
		.amdhsa_reserve_vcc 1
		.amdhsa_float_round_mode_32 0
		.amdhsa_float_round_mode_16_64 0
		.amdhsa_float_denorm_mode_32 3
		.amdhsa_float_denorm_mode_16_64 3
		.amdhsa_dx10_clamp 1
		.amdhsa_ieee_mode 1
		.amdhsa_fp16_overflow 0
		.amdhsa_workgroup_processor_mode 1
		.amdhsa_memory_ordered 1
		.amdhsa_forward_progress 0
		.amdhsa_shared_vgpr_count 0
		.amdhsa_exception_fp_ieee_invalid_op 0
		.amdhsa_exception_fp_denorm_src 0
		.amdhsa_exception_fp_ieee_div_zero 0
		.amdhsa_exception_fp_ieee_overflow 0
		.amdhsa_exception_fp_ieee_underflow 0
		.amdhsa_exception_fp_ieee_inexact 0
		.amdhsa_exception_int_div_zero 0
	.end_amdhsa_kernel
	.section	.text._Z16sort_keys_kernelI22helper_blocked_stripedaLj256ELj4ELj10EEvPKT0_PS1_,"axG",@progbits,_Z16sort_keys_kernelI22helper_blocked_stripedaLj256ELj4ELj10EEvPKT0_PS1_,comdat
.Lfunc_end268:
	.size	_Z16sort_keys_kernelI22helper_blocked_stripedaLj256ELj4ELj10EEvPKT0_PS1_, .Lfunc_end268-_Z16sort_keys_kernelI22helper_blocked_stripedaLj256ELj4ELj10EEvPKT0_PS1_
                                        ; -- End function
	.section	.AMDGPU.csdata,"",@progbits
; Kernel info:
; codeLenInByte = 3700
; NumSgprs: 26
; NumVgprs: 41
; ScratchSize: 0
; MemoryBound: 0
; FloatMode: 240
; IeeeMode: 1
; LDSByteSize: 8224 bytes/workgroup (compile time only)
; SGPRBlocks: 3
; VGPRBlocks: 5
; NumSGPRsForWavesPerEU: 26
; NumVGPRsForWavesPerEU: 41
; Occupancy: 16
; WaveLimiterHint : 1
; COMPUTE_PGM_RSRC2:SCRATCH_EN: 0
; COMPUTE_PGM_RSRC2:USER_SGPR: 15
; COMPUTE_PGM_RSRC2:TRAP_HANDLER: 0
; COMPUTE_PGM_RSRC2:TGID_X_EN: 1
; COMPUTE_PGM_RSRC2:TGID_Y_EN: 0
; COMPUTE_PGM_RSRC2:TGID_Z_EN: 0
; COMPUTE_PGM_RSRC2:TIDIG_COMP_CNT: 2
	.section	.text._Z17sort_pairs_kernelI22helper_blocked_stripedaLj256ELj4ELj10EEvPKT0_PS1_,"axG",@progbits,_Z17sort_pairs_kernelI22helper_blocked_stripedaLj256ELj4ELj10EEvPKT0_PS1_,comdat
	.protected	_Z17sort_pairs_kernelI22helper_blocked_stripedaLj256ELj4ELj10EEvPKT0_PS1_ ; -- Begin function _Z17sort_pairs_kernelI22helper_blocked_stripedaLj256ELj4ELj10EEvPKT0_PS1_
	.globl	_Z17sort_pairs_kernelI22helper_blocked_stripedaLj256ELj4ELj10EEvPKT0_PS1_
	.p2align	8
	.type	_Z17sort_pairs_kernelI22helper_blocked_stripedaLj256ELj4ELj10EEvPKT0_PS1_,@function
_Z17sort_pairs_kernelI22helper_blocked_stripedaLj256ELj4ELj10EEvPKT0_PS1_: ; @_Z17sort_pairs_kernelI22helper_blocked_stripedaLj256ELj4ELj10EEvPKT0_PS1_
; %bb.0:
	s_load_b128 s[16:19], s[0:1], 0x0
	v_and_b32_e32 v8, 0x3ff, v0
	s_lshl_b32 s20, s15, 10
	s_load_b32 s15, s[0:1], 0x1c
	v_mbcnt_lo_u32_b32 v2, -1, 0
	v_bfe_u32 v4, v0, 10, 10
	v_lshlrev_b32_e32 v1, 2, v8
	v_bfe_u32 v0, v0, 20, 10
	s_mov_b32 s21, 10
	v_add_nc_u32_e32 v7, -1, v2
	v_and_b32_e32 v6, 16, v2
	v_and_b32_e32 v3, 3, v2
	;; [unrolled: 1-line block ×4, first 2 shown]
	v_cmp_gt_i32_e64 s11, 0, v7
	v_cmp_eq_u32_e32 vcc_lo, 0, v2
	v_and_b32_e32 v18, 7, v2
	v_cmp_eq_u32_e64 s8, 0, v6
	v_cmp_eq_u32_e64 s4, 0, v5
	v_cndmask_b32_e64 v6, v7, v2, s11
	s_waitcnt lgkmcnt(0)
	s_add_u32 s0, s16, s20
	s_addc_u32 s1, s17, 0
	v_cmp_lt_u32_e64 s5, 1, v5
	global_load_b32 v1, v1, s[0:1]
	s_mov_b32 s0, 0
	s_lshr_b32 s16, s15, 16
	s_mov_b32 s1, s0
	s_mov_b32 s2, s0
	v_mov_b32_e32 v10, s1
	s_mov_b32 s3, s0
	s_delay_alu instid0(SALU_CYCLE_1)
	v_dual_mov_b32 v9, s0 :: v_dual_mov_b32 v12, s3
	v_mov_b32_e32 v11, s2
	v_cmp_eq_u32_e64 s0, 3, v3
	v_cmp_eq_u32_e64 s1, 2, v3
	;; [unrolled: 1-line block ×4, first 2 shown]
	v_mad_u32_u24 v0, v0, s16, v4
	v_lshrrev_b32_e32 v7, 3, v8
	s_and_b32 s15, s15, 0xffff
	v_lshlrev_b32_e32 v17, 5, v8
	v_cmp_lt_u32_e64 s6, 3, v5
	v_cmp_lt_u32_e64 s7, 7, v5
	v_or_b32_e32 v5, 31, v8
	v_mul_u32_u24_e32 v23, 3, v8
	v_or_b32_e32 v14, 32, v13
	v_or_b32_e32 v15, 64, v13
	;; [unrolled: 1-line block ×3, first 2 shown]
	v_cmp_gt_u32_e64 s9, 8, v8
	v_cmp_lt_u32_e64 s10, 31, v8
	v_cmp_eq_u32_e64 s11, 0, v8
	v_cmp_eq_u32_e64 s12, 0, v18
	v_cmp_lt_u32_e64 s13, 1, v18
	v_cmp_lt_u32_e64 s14, 3, v18
	v_add_nc_u32_e32 v18, 32, v17
	v_add_nc_u32_e32 v23, v8, v23
	s_waitcnt vmcnt(0)
	v_lshrrev_b32_e32 v2, 16, v1
	v_lshrrev_b32_e32 v3, 8, v1
	;; [unrolled: 1-line block ×3, first 2 shown]
	v_add_nc_u16 v20, v1, 1
	s_delay_alu instid0(VALU_DEP_4) | instskip(NEXT) | instid1(VALU_DEP_4)
	v_add_nc_u16 v2, v2, 1
	v_lshlrev_b16 v3, 8, v3
	s_delay_alu instid0(VALU_DEP_4) | instskip(NEXT) | instid1(VALU_DEP_4)
	v_lshlrev_b16 v19, 8, v19
	v_and_b32_e32 v20, 0xff, v20
	s_delay_alu instid0(VALU_DEP_4) | instskip(NEXT) | instid1(VALU_DEP_2)
	v_and_b32_e32 v2, 0xff, v2
	v_or_b32_e32 v3, v3, v20
	s_delay_alu instid0(VALU_DEP_2) | instskip(SKIP_1) | instid1(VALU_DEP_3)
	v_or_b32_e32 v2, v19, v2
	v_and_b32_e32 v19, 28, v7
	v_add_nc_u16 v4, v3, 0x100
	s_delay_alu instid0(VALU_DEP_3) | instskip(SKIP_1) | instid1(VALU_DEP_3)
	v_add_nc_u16 v20, v2, 0x100
	v_mad_u64_u32 v[2:3], null, v0, s15, v[8:9]
	v_and_b32_e32 v0, 0xffff, v4
	v_cmp_eq_u32_e64 s15, v5, v8
	s_delay_alu instid0(VALU_DEP_4) | instskip(SKIP_3) | instid1(VALU_DEP_4)
	v_lshlrev_b32_e32 v3, 16, v20
	v_lshlrev_b32_e32 v20, 2, v6
	v_add_nc_u32_e32 v21, -4, v19
	v_lshrrev_b32_e32 v22, 5, v2
	v_or_b32_e32 v0, v0, v3
	s_branch .LBB269_2
.LBB269_1:                              ;   in Loop: Header=BB269_2 Depth=1
	s_or_b32 exec_lo, exec_lo, s16
	v_perm_b32 v35, v35, v30, 0x3020104
	s_waitcnt lgkmcnt(0)
	v_add_nc_u32_e32 v3, v55, v3
	v_and_b32_e32 v25, 0xff, v25
	s_add_i32 s21, s21, -1
	s_delay_alu instid0(SALU_CYCLE_1) | instskip(SKIP_3) | instid1(VALU_DEP_1)
	s_cmp_eq_u32 s21, 0
	v_cndmask_b32_e64 v30, v30, v35, s2
	ds_bpermute_b32 v3, v20, v3
	v_perm_b32 v34, v34, v30, 0x3020104
	v_cndmask_b32_e64 v30, v30, v34, s1
	s_delay_alu instid0(VALU_DEP_1) | instskip(NEXT) | instid1(VALU_DEP_1)
	v_perm_b32 v33, v33, v30, 0x3020104
	v_cndmask_b32_e64 v30, v30, v33, s0
	s_waitcnt lgkmcnt(0)
	v_cndmask_b32_e32 v3, v3, v55, vcc_lo
	s_delay_alu instid0(VALU_DEP_2) | instskip(NEXT) | instid1(VALU_DEP_2)
	v_perm_b32 v31, v30, v31, 0x7060004
	v_cndmask_b32_e64 v3, v3, 0, s11
	s_delay_alu instid0(VALU_DEP_2) | instskip(NEXT) | instid1(VALU_DEP_2)
	v_cndmask_b32_e64 v30, v30, v31, s3
	v_add_nc_u32_e32 v4, v3, v4
	s_delay_alu instid0(VALU_DEP_2) | instskip(NEXT) | instid1(VALU_DEP_2)
	v_perm_b32 v31, v30, v32, 0x7060004
	v_add_nc_u32_e32 v5, v4, v5
	s_delay_alu instid0(VALU_DEP_2) | instskip(NEXT) | instid1(VALU_DEP_2)
	v_cndmask_b32_e64 v30, v30, v31, s2
	v_add_nc_u32_e32 v6, v5, v6
	s_delay_alu instid0(VALU_DEP_2) | instskip(NEXT) | instid1(VALU_DEP_1)
	v_perm_b32 v28, v30, v28, 0x7060004
	v_cndmask_b32_e64 v28, v30, v28, s1
	v_lshlrev_b16 v30, 8, v37
	s_delay_alu instid0(VALU_DEP_2) | instskip(NEXT) | instid1(VALU_DEP_1)
	v_perm_b32 v27, v28, v27, 0x7060004
	v_cndmask_b32_e64 v27, v28, v27, s0
	s_delay_alu instid0(VALU_DEP_1) | instskip(NEXT) | instid1(VALU_DEP_1)
	v_lshrrev_b32_e32 v28, 16, v27
	v_and_b32_e32 v28, 0xffffff00, v28
	s_delay_alu instid0(VALU_DEP_1) | instskip(SKIP_1) | instid1(VALU_DEP_2)
	v_or_b32_e32 v25, v25, v28
	v_and_b32_e32 v28, 0xff, v43
	v_lshlrev_b32_e32 v25, 16, v25
	s_delay_alu instid0(VALU_DEP_1) | instskip(NEXT) | instid1(VALU_DEP_1)
	v_and_or_b32 v25, 0xffff, v27, v25
	v_cndmask_b32_e64 v25, v27, v25, s3
	s_delay_alu instid0(VALU_DEP_1) | instskip(NEXT) | instid1(VALU_DEP_1)
	v_lshrrev_b32_e32 v27, 16, v25
	v_and_b32_e32 v27, 0xffffff00, v27
	s_delay_alu instid0(VALU_DEP_1) | instskip(SKIP_1) | instid1(VALU_DEP_2)
	v_or_b32_e32 v27, v28, v27
	v_and_b32_e32 v28, 0xff, v42
	v_lshlrev_b32_e32 v27, 16, v27
	s_delay_alu instid0(VALU_DEP_1) | instskip(NEXT) | instid1(VALU_DEP_1)
	v_and_or_b32 v27, 0xffff, v25, v27
	;; [unrolled: 10-line block ×3, first 2 shown]
	v_cndmask_b32_e64 v25, v25, v27, s1
	s_delay_alu instid0(VALU_DEP_1) | instskip(NEXT) | instid1(VALU_DEP_1)
	v_lshrrev_b32_e32 v27, 16, v25
	v_and_b32_e32 v27, 0xffffff00, v27
	s_delay_alu instid0(VALU_DEP_1) | instskip(SKIP_1) | instid1(VALU_DEP_2)
	v_or_b32_e32 v27, v28, v27
	v_lshlrev_b16 v28, 8, v40
	v_lshlrev_b32_e32 v27, 16, v27
	s_delay_alu instid0(VALU_DEP_1) | instskip(NEXT) | instid1(VALU_DEP_1)
	v_and_or_b32 v27, 0xffff, v25, v27
	v_cndmask_b32_e64 v25, v25, v27, s0
	s_delay_alu instid0(VALU_DEP_1) | instskip(NEXT) | instid1(VALU_DEP_1)
	v_lshrrev_b32_e32 v27, 16, v25
	v_and_b32_e32 v27, 0xff, v27
	s_delay_alu instid0(VALU_DEP_1) | instskip(SKIP_1) | instid1(VALU_DEP_2)
	v_or_b32_e32 v27, v27, v28
	v_lshlrev_b16 v28, 8, v39
	v_lshlrev_b32_e32 v27, 16, v27
	s_delay_alu instid0(VALU_DEP_1) | instskip(NEXT) | instid1(VALU_DEP_1)
	v_and_or_b32 v27, 0xffff, v25, v27
	v_cndmask_b32_e64 v25, v25, v27, s3
	s_delay_alu instid0(VALU_DEP_1) | instskip(NEXT) | instid1(VALU_DEP_1)
	v_lshrrev_b32_e32 v27, 16, v25
	v_and_b32_e32 v27, 0xff, v27
	s_delay_alu instid0(VALU_DEP_1) | instskip(NEXT) | instid1(VALU_DEP_1)
	v_or_b32_e32 v27, v27, v28
	v_lshlrev_b32_e32 v27, 16, v27
	s_delay_alu instid0(VALU_DEP_1) | instskip(NEXT) | instid1(VALU_DEP_1)
	v_and_or_b32 v27, 0xffff, v25, v27
	v_cndmask_b32_e64 v25, v25, v27, s2
	v_add_nc_u32_e32 v27, v6, v7
	s_delay_alu instid0(VALU_DEP_2) | instskip(NEXT) | instid1(VALU_DEP_2)
	v_lshrrev_b32_e32 v7, 16, v25
	v_add_nc_u32_e32 v28, v27, v0
	s_delay_alu instid0(VALU_DEP_2) | instskip(NEXT) | instid1(VALU_DEP_2)
	v_and_b32_e32 v7, 0xff, v7
	v_add_nc_u32_e32 v0, v28, v1
	s_delay_alu instid0(VALU_DEP_2) | instskip(NEXT) | instid1(VALU_DEP_2)
	v_or_b32_e32 v7, v7, v30
	v_add_nc_u32_e32 v1, v0, v2
	ds_store_2addr_b64 v17, v[3:4], v[5:6] offset0:4 offset1:5
	ds_store_2addr_b64 v18, v[27:28], v[0:1] offset0:2 offset1:3
	v_lshlrev_b32_e32 v2, 16, v7
	s_waitcnt lgkmcnt(0)
	s_barrier
	buffer_gl0_inv
	v_lshlrev_b16 v6, 8, v26
	v_and_or_b32 v0, 0xffff, v25, v2
	ds_load_b32 v1, v36
	ds_load_b32 v2, v46
	;; [unrolled: 1-line block ×4, first 2 shown]
	s_waitcnt lgkmcnt(0)
	s_barrier
	v_cndmask_b32_e64 v0, v25, v0, s1
	buffer_gl0_inv
	v_lshrrev_b32_e32 v5, 16, v0
	s_delay_alu instid0(VALU_DEP_1) | instskip(SKIP_1) | instid1(VALU_DEP_2)
	v_and_b32_e32 v5, 0xff, v5
	v_add_nc_u32_e32 v1, v1, v29
	v_or_b32_e32 v5, v5, v6
	v_add3_u32 v2, v45, v44, v2
	v_add3_u32 v4, v53, v52, v4
	;; [unrolled: 1-line block ×3, first 2 shown]
	ds_store_b8 v1, v24
	ds_store_b8 v2, v38
	;; [unrolled: 1-line block ×3, first 2 shown]
	v_lshlrev_b32_e32 v5, 16, v5
	ds_store_b8 v4, v51
	s_waitcnt lgkmcnt(0)
	s_barrier
	buffer_gl0_inv
	v_and_or_b32 v5, 0xffff, v0, v5
	ds_load_u8 v7, v8
	ds_load_u8 v6, v8 offset:256
	ds_load_u8 v25, v8 offset:512
	ds_load_u8 v26, v8 offset:768
	s_waitcnt lgkmcnt(0)
	s_barrier
	buffer_gl0_inv
	v_cndmask_b32_e64 v0, v0, v5, s0
	s_delay_alu instid0(VALU_DEP_1)
	v_lshrrev_b32_e32 v5, 8, v0
	v_lshrrev_b32_e32 v24, 24, v0
	ds_store_b8 v1, v0
	ds_store_b8 v2, v5
	ds_store_b8_d16_hi v3, v0
	ds_store_b8 v4, v24
	s_waitcnt lgkmcnt(0)
	s_barrier
	buffer_gl0_inv
	ds_load_u8 v2, v8 offset:256
	ds_load_u8 v3, v8 offset:768
	ds_load_u8 v5, v8
	ds_load_u8 v4, v8 offset:512
	v_xor_b32_e32 v6, 0xffffff80, v6
	v_xor_b32_e32 v24, 0xffffff80, v7
	;; [unrolled: 1-line block ×4, first 2 shown]
	s_delay_alu instid0(VALU_DEP_4) | instskip(NEXT) | instid1(VALU_DEP_4)
	v_lshlrev_b16 v0, 8, v6
	v_and_b32_e32 v1, 0xff, v24
	s_delay_alu instid0(VALU_DEP_4) | instskip(NEXT) | instid1(VALU_DEP_4)
	v_lshlrev_b16 v26, 8, v7
	v_and_b32_e32 v27, 0xff, v25
	s_delay_alu instid0(VALU_DEP_3) | instskip(NEXT) | instid1(VALU_DEP_2)
	v_or_b32_e32 v0, v1, v0
	v_or_b32_e32 v1, v27, v26
	s_waitcnt lgkmcnt(3)
	v_lshlrev_b16 v28, 8, v2
	s_waitcnt lgkmcnt(2)
	v_lshlrev_b16 v29, 8, v3
	v_and_b32_e32 v0, 0xffff, v0
	v_lshlrev_b32_e32 v1, 16, v1
	s_waitcnt lgkmcnt(1)
	v_or_b32_e32 v26, v5, v28
	s_waitcnt lgkmcnt(0)
	v_or_b32_e32 v27, v4, v29
	v_or_b32_e32 v1, v0, v1
	s_delay_alu instid0(VALU_DEP_3) | instskip(NEXT) | instid1(VALU_DEP_3)
	v_and_b32_e32 v26, 0xffff, v26
	v_lshlrev_b32_e32 v27, 16, v27
	s_delay_alu instid0(VALU_DEP_1)
	v_or_b32_e32 v0, v26, v27
	s_cbranch_scc1 .LBB269_16
.LBB269_2:                              ; =>This Inner Loop Header: Depth=1
	v_lshrrev_b32_e32 v2, 8, v1
	v_xor_b32_e32 v3, 0x80, v1
	v_lshrrev_b32_e32 v4, 16, v1
	v_lshrrev_b32_e32 v1, 24, v1
	s_delay_alu instid0(VALU_DEP_4) | instskip(NEXT) | instid1(VALU_DEP_4)
	v_xor_b32_e32 v2, 0x80, v2
	v_and_b32_e32 v3, 0xff, v3
	s_delay_alu instid0(VALU_DEP_4) | instskip(NEXT) | instid1(VALU_DEP_4)
	v_xor_b32_e32 v4, 0x80, v4
	v_xor_b32_e32 v1, 0x80, v1
	s_barrier
	v_and_b32_e32 v2, 0xff, v2
	ds_bpermute_b32 v5, v13, v3
	v_and_b32_e32 v4, 0xff, v4
	v_and_b32_e32 v1, 0xffff, v1
	s_waitcnt lgkmcnt(0)
	buffer_gl0_inv
	ds_bpermute_b32 v6, v13, v2
	ds_store_2addr_b64 v17, v[9:10], v[11:12] offset0:4 offset1:5
	ds_store_2addr_b64 v18, v[9:10], v[11:12] offset0:2 offset1:3
	ds_bpermute_b32 v7, v13, v4
	ds_bpermute_b32 v24, v13, v1
	s_waitcnt lgkmcnt(0)
	s_barrier
	buffer_gl0_inv
	; wave barrier
	v_perm_b32 v6, v6, v5, 0x3020104
	s_delay_alu instid0(VALU_DEP_1) | instskip(SKIP_2) | instid1(VALU_DEP_1)
	v_cndmask_b32_e64 v5, v5, v6, s2
	ds_bpermute_b32 v6, v14, v3
	v_perm_b32 v7, v7, v5, 0x3020104
	v_cndmask_b32_e64 v5, v5, v7, s1
	s_delay_alu instid0(VALU_DEP_1) | instskip(SKIP_4) | instid1(VALU_DEP_2)
	v_perm_b32 v7, v24, v5, 0x3020104
	ds_bpermute_b32 v24, v14, v2
	v_cndmask_b32_e64 v5, v5, v7, s0
	s_waitcnt lgkmcnt(1)
	v_lshlrev_b16 v6, 8, v6
	v_and_b32_e32 v7, 0xff, v5
	s_delay_alu instid0(VALU_DEP_1) | instskip(NEXT) | instid1(VALU_DEP_1)
	v_or_b32_e32 v6, v7, v6
	v_and_b32_e32 v6, 0xffff, v6
	s_delay_alu instid0(VALU_DEP_1) | instskip(NEXT) | instid1(VALU_DEP_1)
	v_and_or_b32 v6, 0xffff0000, v5, v6
	v_cndmask_b32_e64 v5, v5, v6, s3
	s_waitcnt lgkmcnt(0)
	v_lshlrev_b16 v6, 8, v24
	ds_bpermute_b32 v24, v14, v4
	v_and_b32_e32 v7, 0xff, v5
	s_delay_alu instid0(VALU_DEP_1) | instskip(NEXT) | instid1(VALU_DEP_1)
	v_or_b32_e32 v6, v7, v6
	v_and_b32_e32 v6, 0xffff, v6
	s_delay_alu instid0(VALU_DEP_1) | instskip(NEXT) | instid1(VALU_DEP_1)
	v_and_or_b32 v6, 0xffff0000, v5, v6
	v_cndmask_b32_e64 v5, v5, v6, s2
	s_waitcnt lgkmcnt(0)
	v_lshlrev_b16 v6, 8, v24
	ds_bpermute_b32 v24, v14, v1
	v_and_b32_e32 v7, 0xff, v5
	s_delay_alu instid0(VALU_DEP_1) | instskip(NEXT) | instid1(VALU_DEP_1)
	v_or_b32_e32 v6, v7, v6
	v_and_b32_e32 v6, 0xffff, v6
	s_delay_alu instid0(VALU_DEP_1) | instskip(NEXT) | instid1(VALU_DEP_1)
	v_and_or_b32 v6, 0xffff0000, v5, v6
	v_cndmask_b32_e64 v5, v5, v6, s1
	s_waitcnt lgkmcnt(0)
	v_lshlrev_b16 v6, 8, v24
	s_delay_alu instid0(VALU_DEP_2) | instskip(NEXT) | instid1(VALU_DEP_1)
	v_and_b32_e32 v7, 0xff, v5
	v_or_b32_e32 v6, v7, v6
	ds_bpermute_b32 v7, v15, v3
	ds_bpermute_b32 v3, v16, v3
	v_and_b32_e32 v6, 0xffff, v6
	s_delay_alu instid0(VALU_DEP_1) | instskip(NEXT) | instid1(VALU_DEP_1)
	v_and_or_b32 v6, 0xffff0000, v5, v6
	v_cndmask_b32_e64 v5, v5, v6, s0
	s_delay_alu instid0(VALU_DEP_1)
	v_lshrrev_b32_e32 v6, 16, v5
	s_waitcnt lgkmcnt(1)
	v_and_b32_e32 v7, 0xff, v7
	s_waitcnt lgkmcnt(0)
	v_lshlrev_b16 v3, 8, v3
	v_and_b32_e32 v6, 0xffffff00, v6
	s_delay_alu instid0(VALU_DEP_1) | instskip(SKIP_3) | instid1(VALU_DEP_1)
	v_or_b32_e32 v6, v7, v6
	ds_bpermute_b32 v7, v15, v2
	ds_bpermute_b32 v2, v16, v2
	v_lshlrev_b32_e32 v6, 16, v6
	v_and_or_b32 v6, 0xffff, v5, v6
	s_delay_alu instid0(VALU_DEP_1) | instskip(NEXT) | instid1(VALU_DEP_1)
	v_cndmask_b32_e64 v5, v5, v6, s3
	v_lshrrev_b32_e32 v6, 16, v5
	s_waitcnt lgkmcnt(1)
	v_and_b32_e32 v7, 0xff, v7
	s_waitcnt lgkmcnt(0)
	v_lshlrev_b16 v2, 8, v2
	v_and_b32_e32 v6, 0xffffff00, v6
	s_delay_alu instid0(VALU_DEP_1) | instskip(SKIP_3) | instid1(VALU_DEP_1)
	v_or_b32_e32 v6, v7, v6
	ds_bpermute_b32 v7, v15, v4
	ds_bpermute_b32 v4, v16, v4
	v_lshlrev_b32_e32 v6, 16, v6
	v_and_or_b32 v6, 0xffff, v5, v6
	s_delay_alu instid0(VALU_DEP_1) | instskip(NEXT) | instid1(VALU_DEP_1)
	v_cndmask_b32_e64 v5, v5, v6, s2
	;; [unrolled: 14-line block ×3, first 2 shown]
	v_lshrrev_b32_e32 v6, 16, v5
	s_waitcnt lgkmcnt(1)
	v_and_b32_e32 v7, 0xff, v7
	s_waitcnt lgkmcnt(0)
	v_lshlrev_b16 v1, 8, v1
	v_and_b32_e32 v6, 0xffffff00, v6
	s_delay_alu instid0(VALU_DEP_1) | instskip(NEXT) | instid1(VALU_DEP_1)
	v_or_b32_e32 v6, v7, v6
	v_lshlrev_b32_e32 v6, 16, v6
	s_delay_alu instid0(VALU_DEP_1) | instskip(NEXT) | instid1(VALU_DEP_1)
	v_and_or_b32 v6, 0xffff, v5, v6
	v_cndmask_b32_e64 v5, v5, v6, s0
	s_delay_alu instid0(VALU_DEP_1) | instskip(NEXT) | instid1(VALU_DEP_1)
	v_lshrrev_b32_e32 v6, 16, v5
	v_and_b32_e32 v6, 0xff, v6
	s_delay_alu instid0(VALU_DEP_1) | instskip(NEXT) | instid1(VALU_DEP_1)
	v_or_b32_e32 v3, v6, v3
	v_lshlrev_b32_e32 v3, 16, v3
	s_delay_alu instid0(VALU_DEP_1) | instskip(NEXT) | instid1(VALU_DEP_1)
	v_and_or_b32 v3, 0xffff, v5, v3
	v_cndmask_b32_e64 v3, v5, v3, s3
	s_delay_alu instid0(VALU_DEP_1) | instskip(NEXT) | instid1(VALU_DEP_1)
	v_lshrrev_b32_e32 v5, 16, v3
	v_and_b32_e32 v5, 0xff, v5
	s_delay_alu instid0(VALU_DEP_1) | instskip(SKIP_1) | instid1(VALU_DEP_2)
	v_or_b32_e32 v2, v5, v2
	v_bfe_u32 v5, v0, 16, 8
	v_lshlrev_b32_e32 v2, 16, v2
	ds_bpermute_b32 v34, v13, v5
	ds_bpermute_b32 v28, v14, v5
	;; [unrolled: 1-line block ×3, first 2 shown]
	v_and_or_b32 v2, 0xffff, v3, v2
	s_delay_alu instid0(VALU_DEP_1) | instskip(NEXT) | instid1(VALU_DEP_1)
	v_cndmask_b32_e64 v2, v3, v2, s2
	v_lshrrev_b32_e32 v3, 16, v2
	s_delay_alu instid0(VALU_DEP_1) | instskip(NEXT) | instid1(VALU_DEP_1)
	v_and_b32_e32 v3, 0xff, v3
	v_or_b32_e32 v3, v3, v4
	v_bfe_u32 v4, v0, 8, 8
	s_delay_alu instid0(VALU_DEP_2)
	v_lshlrev_b32_e32 v3, 16, v3
	ds_bpermute_b32 v35, v13, v4
	ds_bpermute_b32 v32, v14, v4
	;; [unrolled: 1-line block ×4, first 2 shown]
	v_and_or_b32 v3, 0xffff, v2, v3
	s_delay_alu instid0(VALU_DEP_1) | instskip(NEXT) | instid1(VALU_DEP_1)
	v_cndmask_b32_e64 v2, v2, v3, s1
	v_lshrrev_b32_e32 v3, 16, v2
	s_delay_alu instid0(VALU_DEP_1) | instskip(NEXT) | instid1(VALU_DEP_1)
	v_and_b32_e32 v3, 0xff, v3
	v_or_b32_e32 v1, v3, v1
	v_and_b32_e32 v3, 0xff, v0
	v_lshrrev_b32_e32 v0, 24, v0
	s_delay_alu instid0(VALU_DEP_3)
	v_lshlrev_b32_e32 v1, 16, v1
	ds_bpermute_b32 v30, v13, v3
	ds_bpermute_b32 v31, v14, v3
	ds_bpermute_b32 v25, v15, v3
	ds_bpermute_b32 v40, v16, v3
	v_and_or_b32 v1, 0xffff, v2, v1
	ds_bpermute_b32 v33, v13, v0
	ds_bpermute_b32 v27, v14, v0
	;; [unrolled: 1-line block ×3, first 2 shown]
	v_cndmask_b32_e64 v24, v2, v1, s0
	s_delay_alu instid0(VALU_DEP_1)
	v_and_b32_e32 v1, 1, v24
	v_lshlrev_b32_e32 v2, 30, v24
	v_lshlrev_b32_e32 v6, 29, v24
	;; [unrolled: 1-line block ×4, first 2 shown]
	v_add_co_u32 v1, s16, v1, -1
	s_delay_alu instid0(VALU_DEP_1)
	v_cndmask_b32_e64 v26, 0, 1, s16
	v_not_b32_e32 v38, v2
	v_cmp_gt_i32_e64 s17, 0, v2
	v_not_b32_e32 v2, v6
	v_lshlrev_b32_e32 v36, 26, v24
	v_cmp_ne_u32_e64 s16, 0, v26
	v_ashrrev_i32_e32 v38, 31, v38
	v_lshlrev_b32_e32 v37, 25, v24
	v_ashrrev_i32_e32 v2, 31, v2
	v_lshlrev_b32_e32 v26, 24, v24
	v_xor_b32_e32 v1, s16, v1
	v_cmp_gt_i32_e64 s16, 0, v6
	v_not_b32_e32 v6, v7
	v_xor_b32_e32 v38, s17, v38
	v_cmp_gt_i32_e64 s17, 0, v7
	v_and_b32_e32 v1, exec_lo, v1
	v_not_b32_e32 v7, v29
	v_ashrrev_i32_e32 v6, 31, v6
	v_xor_b32_e32 v2, s16, v2
	v_cmp_gt_i32_e64 s16, 0, v29
	v_and_b32_e32 v1, v1, v38
	v_not_b32_e32 v29, v36
	v_ashrrev_i32_e32 v7, 31, v7
	v_xor_b32_e32 v6, s17, v6
	v_cmp_gt_i32_e64 s17, 0, v36
	v_and_b32_e32 v1, v1, v2
	;; [unrolled: 5-line block ×4, first 2 shown]
	v_ashrrev_i32_e32 v6, 31, v6
	v_xor_b32_e32 v2, s16, v2
	ds_bpermute_b32 v37, v16, v5
	ds_bpermute_b32 v26, v16, v0
	v_and_b32_e32 v1, v1, v29
	v_xor_b32_e32 v3, s17, v6
	s_delay_alu instid0(VALU_DEP_2) | instskip(NEXT) | instid1(VALU_DEP_1)
	v_and_b32_e32 v1, v1, v2
	v_and_b32_e32 v0, v1, v3
	;; [unrolled: 1-line block ×3, first 2 shown]
	s_delay_alu instid0(VALU_DEP_2) | instskip(NEXT) | instid1(VALU_DEP_2)
	v_mbcnt_lo_u32_b32 v29, v0, 0
	v_lshl_add_u32 v1, v1, 3, v22
	v_cmp_ne_u32_e64 s17, 0, v0
	s_delay_alu instid0(VALU_DEP_3) | instskip(NEXT) | instid1(VALU_DEP_3)
	v_cmp_eq_u32_e64 s16, 0, v29
	v_lshl_add_u32 v36, v1, 2, 32
	s_delay_alu instid0(VALU_DEP_2) | instskip(NEXT) | instid1(SALU_CYCLE_1)
	s_and_b32 s17, s17, s16
	s_and_saveexec_b32 s16, s17
	s_cbranch_execz .LBB269_4
; %bb.3:                                ;   in Loop: Header=BB269_2 Depth=1
	v_bcnt_u32_b32 v0, v0, 0
	ds_store_b32 v36, v0
.LBB269_4:                              ;   in Loop: Header=BB269_2 Depth=1
	s_or_b32 exec_lo, exec_lo, s16
	v_bfe_u32 v0, v24, 8, 1
	v_lshrrev_b32_e32 v38, 8, v24
	; wave barrier
	s_delay_alu instid0(VALU_DEP_2) | instskip(NEXT) | instid1(VALU_DEP_1)
	v_add_co_u32 v0, s16, v0, -1
	v_cndmask_b32_e64 v1, 0, 1, s16
	s_delay_alu instid0(VALU_DEP_3)
	v_lshlrev_b32_e32 v2, 30, v38
	v_lshlrev_b32_e32 v3, 29, v38
	v_lshlrev_b32_e32 v4, 28, v38
	v_lshlrev_b32_e32 v5, 27, v38
	v_cmp_ne_u32_e64 s16, 0, v1
	v_not_b32_e32 v1, v2
	v_cmp_gt_i32_e64 s17, 0, v2
	v_not_b32_e32 v2, v3
	v_lshlrev_b32_e32 v6, 26, v38
	v_xor_b32_e32 v0, s16, v0
	v_ashrrev_i32_e32 v1, 31, v1
	v_cmp_gt_i32_e64 s16, 0, v3
	v_not_b32_e32 v3, v4
	v_ashrrev_i32_e32 v2, 31, v2
	v_and_b32_e32 v0, exec_lo, v0
	v_xor_b32_e32 v1, s17, v1
	v_cmp_gt_i32_e64 s17, 0, v4
	v_not_b32_e32 v4, v5
	v_ashrrev_i32_e32 v3, 31, v3
	v_xor_b32_e32 v2, s16, v2
	v_and_b32_e32 v0, v0, v1
	v_cmp_gt_i32_e64 s16, 0, v5
	v_not_b32_e32 v1, v6
	v_ashrrev_i32_e32 v4, 31, v4
	v_xor_b32_e32 v3, s17, v3
	v_and_b32_e32 v0, v0, v2
	v_lshlrev_b32_e32 v2, 25, v38
	v_cmp_gt_i32_e64 s17, 0, v6
	v_ashrrev_i32_e32 v1, 31, v1
	v_xor_b32_e32 v4, s16, v4
	v_and_b32_e32 v0, v0, v3
	v_not_b32_e32 v5, v2
	v_lshlrev_b32_e32 v6, 24, v38
	v_lshrrev_b32_e32 v3, 5, v24
	v_xor_b32_e32 v1, s17, v1
	v_and_b32_e32 v0, v0, v4
	v_cmp_gt_i32_e64 s16, 0, v2
	v_ashrrev_i32_e32 v2, 31, v5
	v_not_b32_e32 v4, v6
	v_and_b32_e32 v3, 0x7f8, v3
	v_and_b32_e32 v0, v0, v1
	s_delay_alu instid0(VALU_DEP_4) | instskip(SKIP_3) | instid1(VALU_DEP_4)
	v_xor_b32_e32 v1, s16, v2
	v_cmp_gt_i32_e64 s16, 0, v6
	v_ashrrev_i32_e32 v2, 31, v4
	v_add_lshl_u32 v3, v22, v3, 2
	v_and_b32_e32 v0, v0, v1
	s_delay_alu instid0(VALU_DEP_3) | instskip(SKIP_3) | instid1(VALU_DEP_1)
	v_xor_b32_e32 v1, s16, v2
	ds_load_b32 v44, v3 offset:32
	v_add_nc_u32_e32 v46, 32, v3
	; wave barrier
	v_and_b32_e32 v0, v0, v1
	v_mbcnt_lo_u32_b32 v45, v0, 0
	v_cmp_ne_u32_e64 s17, 0, v0
	s_delay_alu instid0(VALU_DEP_2) | instskip(NEXT) | instid1(VALU_DEP_1)
	v_cmp_eq_u32_e64 s16, 0, v45
	s_and_b32 s17, s17, s16
	s_delay_alu instid0(SALU_CYCLE_1)
	s_and_saveexec_b32 s16, s17
	s_cbranch_execz .LBB269_6
; %bb.5:                                ;   in Loop: Header=BB269_2 Depth=1
	s_waitcnt lgkmcnt(0)
	v_bcnt_u32_b32 v0, v0, v44
	ds_store_b32 v46, v0
.LBB269_6:                              ;   in Loop: Header=BB269_2 Depth=1
	s_or_b32 exec_lo, exec_lo, s16
	v_bfe_u32 v0, v24, 16, 1
	v_lshrrev_b32_e32 v47, 16, v24
	; wave barrier
	s_delay_alu instid0(VALU_DEP_2) | instskip(NEXT) | instid1(VALU_DEP_1)
	v_add_co_u32 v0, s16, v0, -1
	v_cndmask_b32_e64 v1, 0, 1, s16
	s_delay_alu instid0(VALU_DEP_3)
	v_lshlrev_b32_e32 v2, 30, v47
	v_lshlrev_b32_e32 v3, 29, v47
	;; [unrolled: 1-line block ×4, first 2 shown]
	v_cmp_ne_u32_e64 s16, 0, v1
	v_not_b32_e32 v1, v2
	v_cmp_gt_i32_e64 s17, 0, v2
	v_not_b32_e32 v2, v3
	v_lshlrev_b32_e32 v6, 26, v47
	v_xor_b32_e32 v0, s16, v0
	v_ashrrev_i32_e32 v1, 31, v1
	v_cmp_gt_i32_e64 s16, 0, v3
	v_not_b32_e32 v3, v4
	v_ashrrev_i32_e32 v2, 31, v2
	v_and_b32_e32 v0, exec_lo, v0
	v_xor_b32_e32 v1, s17, v1
	v_cmp_gt_i32_e64 s17, 0, v4
	v_not_b32_e32 v4, v5
	v_ashrrev_i32_e32 v3, 31, v3
	v_xor_b32_e32 v2, s16, v2
	v_and_b32_e32 v0, v0, v1
	v_cmp_gt_i32_e64 s16, 0, v5
	v_not_b32_e32 v1, v6
	v_ashrrev_i32_e32 v4, 31, v4
	v_xor_b32_e32 v3, s17, v3
	v_and_b32_e32 v0, v0, v2
	v_lshlrev_b32_e32 v2, 25, v47
	v_cmp_gt_i32_e64 s17, 0, v6
	v_ashrrev_i32_e32 v1, 31, v1
	v_xor_b32_e32 v4, s16, v4
	v_and_b32_e32 v0, v0, v3
	v_not_b32_e32 v5, v2
	v_lshlrev_b32_e32 v6, 24, v47
	v_lshrrev_b32_e32 v3, 13, v24
	v_xor_b32_e32 v1, s17, v1
	v_and_b32_e32 v0, v0, v4
	v_cmp_gt_i32_e64 s16, 0, v2
	v_ashrrev_i32_e32 v2, 31, v5
	v_not_b32_e32 v4, v6
	v_and_b32_e32 v3, 0x7f8, v3
	v_and_b32_e32 v0, v0, v1
	s_delay_alu instid0(VALU_DEP_4) | instskip(SKIP_3) | instid1(VALU_DEP_4)
	v_xor_b32_e32 v1, s16, v2
	v_cmp_gt_i32_e64 s16, 0, v6
	v_ashrrev_i32_e32 v2, 31, v4
	v_add_lshl_u32 v3, v22, v3, 2
	v_and_b32_e32 v0, v0, v1
	s_delay_alu instid0(VALU_DEP_3) | instskip(SKIP_3) | instid1(VALU_DEP_1)
	v_xor_b32_e32 v1, s16, v2
	ds_load_b32 v48, v3 offset:32
	v_add_nc_u32_e32 v50, 32, v3
	; wave barrier
	v_and_b32_e32 v0, v0, v1
	v_mbcnt_lo_u32_b32 v49, v0, 0
	v_cmp_ne_u32_e64 s17, 0, v0
	s_delay_alu instid0(VALU_DEP_2) | instskip(NEXT) | instid1(VALU_DEP_1)
	v_cmp_eq_u32_e64 s16, 0, v49
	s_and_b32 s17, s17, s16
	s_delay_alu instid0(SALU_CYCLE_1)
	s_and_saveexec_b32 s16, s17
	s_cbranch_execz .LBB269_8
; %bb.7:                                ;   in Loop: Header=BB269_2 Depth=1
	s_waitcnt lgkmcnt(0)
	v_bcnt_u32_b32 v0, v0, v48
	ds_store_b32 v50, v0
.LBB269_8:                              ;   in Loop: Header=BB269_2 Depth=1
	s_or_b32 exec_lo, exec_lo, s16
	v_bfe_u32 v0, v24, 24, 1
	v_lshrrev_b32_e32 v51, 24, v24
	; wave barrier
	s_delay_alu instid0(VALU_DEP_2) | instskip(NEXT) | instid1(VALU_DEP_1)
	v_add_co_u32 v0, s16, v0, -1
	v_cndmask_b32_e64 v1, 0, 1, s16
	s_delay_alu instid0(VALU_DEP_3)
	v_lshlrev_b32_e32 v2, 30, v51
	v_lshlrev_b32_e32 v3, 29, v51
	;; [unrolled: 1-line block ×4, first 2 shown]
	v_cmp_ne_u32_e64 s16, 0, v1
	v_not_b32_e32 v1, v2
	v_cmp_gt_i32_e64 s17, 0, v2
	v_not_b32_e32 v2, v3
	v_lshlrev_b32_e32 v6, 26, v51
	v_xor_b32_e32 v0, s16, v0
	v_ashrrev_i32_e32 v1, 31, v1
	v_cmp_gt_i32_e64 s16, 0, v3
	v_not_b32_e32 v3, v4
	v_ashrrev_i32_e32 v2, 31, v2
	v_and_b32_e32 v0, exec_lo, v0
	v_xor_b32_e32 v1, s17, v1
	v_cmp_gt_i32_e64 s17, 0, v4
	v_not_b32_e32 v4, v5
	v_ashrrev_i32_e32 v3, 31, v3
	v_xor_b32_e32 v2, s16, v2
	v_and_b32_e32 v0, v0, v1
	v_lshlrev_b32_e32 v1, 25, v51
	v_cmp_gt_i32_e64 s16, 0, v5
	v_ashrrev_i32_e32 v4, 31, v4
	v_xor_b32_e32 v3, s17, v3
	v_and_b32_e32 v0, v0, v2
	v_not_b32_e32 v5, v6
	v_not_b32_e32 v7, v1
	v_xor_b32_e32 v4, s16, v4
	v_cmp_gt_i32_e64 s16, 0, v6
	v_and_b32_e32 v0, v0, v3
	v_ashrrev_i32_e32 v3, 31, v5
	v_and_b32_e32 v2, 0xff000000, v24
	v_cmp_gt_i32_e64 s17, 0, v1
	v_ashrrev_i32_e32 v1, 31, v7
	v_and_b32_e32 v0, v0, v4
	v_not_b32_e32 v4, v24
	v_xor_b32_e32 v3, s16, v3
	v_lshlrev_b32_e32 v5, 3, v51
	v_xor_b32_e32 v1, s17, v1
	v_cmp_gt_i32_e64 s16, 0, v2
	v_ashrrev_i32_e32 v2, 31, v4
	v_and_b32_e32 v0, v0, v3
	v_add_lshl_u32 v3, v22, v5, 2
	s_delay_alu instid0(VALU_DEP_3) | instskip(NEXT) | instid1(VALU_DEP_3)
	v_xor_b32_e32 v2, s16, v2
	v_and_b32_e32 v0, v0, v1
	ds_load_b32 v52, v3 offset:32
	v_add_nc_u32_e32 v54, 32, v3
	; wave barrier
	v_and_b32_e32 v0, v0, v2
	s_delay_alu instid0(VALU_DEP_1) | instskip(SKIP_1) | instid1(VALU_DEP_2)
	v_mbcnt_lo_u32_b32 v53, v0, 0
	v_cmp_ne_u32_e64 s17, 0, v0
	v_cmp_eq_u32_e64 s16, 0, v53
	s_delay_alu instid0(VALU_DEP_1) | instskip(NEXT) | instid1(SALU_CYCLE_1)
	s_and_b32 s17, s17, s16
	s_and_saveexec_b32 s16, s17
	s_cbranch_execz .LBB269_10
; %bb.9:                                ;   in Loop: Header=BB269_2 Depth=1
	s_waitcnt lgkmcnt(0)
	v_bcnt_u32_b32 v0, v0, v52
	ds_store_b32 v54, v0
.LBB269_10:                             ;   in Loop: Header=BB269_2 Depth=1
	s_or_b32 exec_lo, exec_lo, s16
	; wave barrier
	s_waitcnt lgkmcnt(0)
	s_barrier
	buffer_gl0_inv
	ds_load_2addr_b64 v[4:7], v17 offset0:4 offset1:5
	ds_load_2addr_b64 v[0:3], v18 offset0:2 offset1:3
	s_waitcnt lgkmcnt(1)
	v_add_nc_u32_e32 v55, v5, v4
	s_delay_alu instid0(VALU_DEP_1) | instskip(SKIP_1) | instid1(VALU_DEP_1)
	v_add3_u32 v55, v55, v6, v7
	s_waitcnt lgkmcnt(0)
	v_add3_u32 v55, v55, v0, v1
	s_delay_alu instid0(VALU_DEP_1) | instskip(NEXT) | instid1(VALU_DEP_1)
	v_add3_u32 v3, v55, v2, v3
	v_mov_b32_dpp v55, v3 row_shr:1 row_mask:0xf bank_mask:0xf
	s_delay_alu instid0(VALU_DEP_1) | instskip(NEXT) | instid1(VALU_DEP_1)
	v_cndmask_b32_e64 v55, v55, 0, s4
	v_add_nc_u32_e32 v3, v55, v3
	s_delay_alu instid0(VALU_DEP_1) | instskip(NEXT) | instid1(VALU_DEP_1)
	v_mov_b32_dpp v55, v3 row_shr:2 row_mask:0xf bank_mask:0xf
	v_cndmask_b32_e64 v55, 0, v55, s5
	s_delay_alu instid0(VALU_DEP_1) | instskip(NEXT) | instid1(VALU_DEP_1)
	v_add_nc_u32_e32 v3, v3, v55
	v_mov_b32_dpp v55, v3 row_shr:4 row_mask:0xf bank_mask:0xf
	s_delay_alu instid0(VALU_DEP_1) | instskip(NEXT) | instid1(VALU_DEP_1)
	v_cndmask_b32_e64 v55, 0, v55, s6
	v_add_nc_u32_e32 v3, v3, v55
	s_delay_alu instid0(VALU_DEP_1) | instskip(NEXT) | instid1(VALU_DEP_1)
	v_mov_b32_dpp v55, v3 row_shr:8 row_mask:0xf bank_mask:0xf
	v_cndmask_b32_e64 v55, 0, v55, s7
	s_delay_alu instid0(VALU_DEP_1) | instskip(SKIP_3) | instid1(VALU_DEP_1)
	v_add_nc_u32_e32 v3, v3, v55
	ds_swizzle_b32 v55, v3 offset:swizzle(BROADCAST,32,15)
	s_waitcnt lgkmcnt(0)
	v_cndmask_b32_e64 v55, v55, 0, s8
	v_add_nc_u32_e32 v3, v3, v55
	s_and_saveexec_b32 s16, s15
	s_cbranch_execz .LBB269_12
; %bb.11:                               ;   in Loop: Header=BB269_2 Depth=1
	ds_store_b32 v19, v3
.LBB269_12:                             ;   in Loop: Header=BB269_2 Depth=1
	s_or_b32 exec_lo, exec_lo, s16
	s_waitcnt lgkmcnt(0)
	s_barrier
	buffer_gl0_inv
	s_and_saveexec_b32 s16, s9
	s_cbranch_execz .LBB269_14
; %bb.13:                               ;   in Loop: Header=BB269_2 Depth=1
	ds_load_b32 v55, v23
	s_waitcnt lgkmcnt(0)
	v_mov_b32_dpp v56, v55 row_shr:1 row_mask:0xf bank_mask:0xf
	s_delay_alu instid0(VALU_DEP_1) | instskip(NEXT) | instid1(VALU_DEP_1)
	v_cndmask_b32_e64 v56, v56, 0, s12
	v_add_nc_u32_e32 v55, v56, v55
	s_delay_alu instid0(VALU_DEP_1) | instskip(NEXT) | instid1(VALU_DEP_1)
	v_mov_b32_dpp v56, v55 row_shr:2 row_mask:0xf bank_mask:0xf
	v_cndmask_b32_e64 v56, 0, v56, s13
	s_delay_alu instid0(VALU_DEP_1) | instskip(NEXT) | instid1(VALU_DEP_1)
	v_add_nc_u32_e32 v55, v55, v56
	v_mov_b32_dpp v56, v55 row_shr:4 row_mask:0xf bank_mask:0xf
	s_delay_alu instid0(VALU_DEP_1) | instskip(NEXT) | instid1(VALU_DEP_1)
	v_cndmask_b32_e64 v56, 0, v56, s14
	v_add_nc_u32_e32 v55, v55, v56
	ds_store_b32 v23, v55
.LBB269_14:                             ;   in Loop: Header=BB269_2 Depth=1
	s_or_b32 exec_lo, exec_lo, s16
	v_mov_b32_e32 v55, 0
	s_waitcnt lgkmcnt(0)
	s_barrier
	buffer_gl0_inv
	s_and_saveexec_b32 s16, s10
	s_cbranch_execz .LBB269_1
; %bb.15:                               ;   in Loop: Header=BB269_2 Depth=1
	ds_load_b32 v55, v21
	s_branch .LBB269_1
.LBB269_16:
	v_add_nc_u16 v0, v24, v5
	v_add_nc_u16 v1, v6, v2
	;; [unrolled: 1-line block ×3, first 2 shown]
	s_add_u32 s0, s18, s20
	v_add_nc_u16 v3, v7, v3
	s_addc_u32 s1, s19, 0
	s_clause 0x3
	global_store_b8 v8, v0, s[0:1]
	global_store_b8 v8, v1, s[0:1] offset:256
	global_store_b8 v8, v2, s[0:1] offset:512
	;; [unrolled: 1-line block ×3, first 2 shown]
	s_nop 0
	s_sendmsg sendmsg(MSG_DEALLOC_VGPRS)
	s_endpgm
	.section	.rodata,"a",@progbits
	.p2align	6, 0x0
	.amdhsa_kernel _Z17sort_pairs_kernelI22helper_blocked_stripedaLj256ELj4ELj10EEvPKT0_PS1_
		.amdhsa_group_segment_fixed_size 8224
		.amdhsa_private_segment_fixed_size 0
		.amdhsa_kernarg_size 272
		.amdhsa_user_sgpr_count 15
		.amdhsa_user_sgpr_dispatch_ptr 0
		.amdhsa_user_sgpr_queue_ptr 0
		.amdhsa_user_sgpr_kernarg_segment_ptr 1
		.amdhsa_user_sgpr_dispatch_id 0
		.amdhsa_user_sgpr_private_segment_size 0
		.amdhsa_wavefront_size32 1
		.amdhsa_uses_dynamic_stack 0
		.amdhsa_enable_private_segment 0
		.amdhsa_system_sgpr_workgroup_id_x 1
		.amdhsa_system_sgpr_workgroup_id_y 0
		.amdhsa_system_sgpr_workgroup_id_z 0
		.amdhsa_system_sgpr_workgroup_info 0
		.amdhsa_system_vgpr_workitem_id 2
		.amdhsa_next_free_vgpr 57
		.amdhsa_next_free_sgpr 22
		.amdhsa_reserve_vcc 1
		.amdhsa_float_round_mode_32 0
		.amdhsa_float_round_mode_16_64 0
		.amdhsa_float_denorm_mode_32 3
		.amdhsa_float_denorm_mode_16_64 3
		.amdhsa_dx10_clamp 1
		.amdhsa_ieee_mode 1
		.amdhsa_fp16_overflow 0
		.amdhsa_workgroup_processor_mode 1
		.amdhsa_memory_ordered 1
		.amdhsa_forward_progress 0
		.amdhsa_shared_vgpr_count 0
		.amdhsa_exception_fp_ieee_invalid_op 0
		.amdhsa_exception_fp_denorm_src 0
		.amdhsa_exception_fp_ieee_div_zero 0
		.amdhsa_exception_fp_ieee_overflow 0
		.amdhsa_exception_fp_ieee_underflow 0
		.amdhsa_exception_fp_ieee_inexact 0
		.amdhsa_exception_int_div_zero 0
	.end_amdhsa_kernel
	.section	.text._Z17sort_pairs_kernelI22helper_blocked_stripedaLj256ELj4ELj10EEvPKT0_PS1_,"axG",@progbits,_Z17sort_pairs_kernelI22helper_blocked_stripedaLj256ELj4ELj10EEvPKT0_PS1_,comdat
.Lfunc_end269:
	.size	_Z17sort_pairs_kernelI22helper_blocked_stripedaLj256ELj4ELj10EEvPKT0_PS1_, .Lfunc_end269-_Z17sort_pairs_kernelI22helper_blocked_stripedaLj256ELj4ELj10EEvPKT0_PS1_
                                        ; -- End function
	.section	.AMDGPU.csdata,"",@progbits
; Kernel info:
; codeLenInByte = 4784
; NumSgprs: 24
; NumVgprs: 57
; ScratchSize: 0
; MemoryBound: 0
; FloatMode: 240
; IeeeMode: 1
; LDSByteSize: 8224 bytes/workgroup (compile time only)
; SGPRBlocks: 2
; VGPRBlocks: 7
; NumSGPRsForWavesPerEU: 24
; NumVGPRsForWavesPerEU: 57
; Occupancy: 16
; WaveLimiterHint : 1
; COMPUTE_PGM_RSRC2:SCRATCH_EN: 0
; COMPUTE_PGM_RSRC2:USER_SGPR: 15
; COMPUTE_PGM_RSRC2:TRAP_HANDLER: 0
; COMPUTE_PGM_RSRC2:TGID_X_EN: 1
; COMPUTE_PGM_RSRC2:TGID_Y_EN: 0
; COMPUTE_PGM_RSRC2:TGID_Z_EN: 0
; COMPUTE_PGM_RSRC2:TIDIG_COMP_CNT: 2
	.section	.text._Z16sort_keys_kernelI22helper_blocked_stripedaLj256ELj8ELj10EEvPKT0_PS1_,"axG",@progbits,_Z16sort_keys_kernelI22helper_blocked_stripedaLj256ELj8ELj10EEvPKT0_PS1_,comdat
	.protected	_Z16sort_keys_kernelI22helper_blocked_stripedaLj256ELj8ELj10EEvPKT0_PS1_ ; -- Begin function _Z16sort_keys_kernelI22helper_blocked_stripedaLj256ELj8ELj10EEvPKT0_PS1_
	.globl	_Z16sort_keys_kernelI22helper_blocked_stripedaLj256ELj8ELj10EEvPKT0_PS1_
	.p2align	8
	.type	_Z16sort_keys_kernelI22helper_blocked_stripedaLj256ELj8ELj10EEvPKT0_PS1_,@function
_Z16sort_keys_kernelI22helper_blocked_stripedaLj256ELj8ELj10EEvPKT0_PS1_: ; @_Z16sort_keys_kernelI22helper_blocked_stripedaLj256ELj8ELj10EEvPKT0_PS1_
; %bb.0:
	s_clause 0x1
	s_load_b128 s[16:19], s[0:1], 0x0
	s_load_b32 s2, s[0:1], 0x1c
	s_mov_b32 s12, 0
	s_lshl_b32 s14, s15, 11
	s_mov_b32 s13, s12
	v_and_b32_e32 v8, 0x3ff, v0
	v_bfe_u32 v3, v0, 10, 10
	v_bfe_u32 v0, v0, 20, 10
	v_mbcnt_lo_u32_b32 v6, -1, 0
	s_mov_b32 s15, 10
	v_lshlrev_b32_e32 v5, 3, v8
	s_delay_alu instid0(VALU_DEP_2)
	v_cmp_eq_u32_e64 s7, 0, v6
	s_waitcnt lgkmcnt(0)
	s_add_u32 s0, s16, s14
	s_addc_u32 s1, s17, 0
	s_mov_b32 s16, s12
	global_load_b64 v[1:2], v5, s[0:1]
	s_mov_b32 s17, s12
	v_and_b32_e32 v7, 0xe0, v8
	s_lshr_b32 s0, s2, 16
	v_dual_mov_b32 v11, s16 :: v_dual_mov_b32 v12, s17
	v_mad_u32_u24 v0, v0, s0, v3
	s_delay_alu instid0(VALU_DEP_3)
	v_or_b32_e32 v9, v6, v7
	s_and_b32 s0, s2, 0xffff
	s_delay_alu instid0(VALU_DEP_1) | instid1(SALU_CYCLE_1)
	v_mad_u64_u32 v[3:4], null, v0, s0, v[8:9]
	v_add_nc_u32_e32 v4, -1, v6
	v_and_b32_e32 v0, 15, v6
	v_dual_mov_b32 v9, s12 :: v_dual_lshlrev_b32 v14, 3, v9
	v_lshlrev_b32_e32 v13, 5, v8
	s_delay_alu instid0(VALU_DEP_4)
	v_cmp_gt_i32_e64 s4, 0, v4
	v_lshrrev_b32_e32 v17, 5, v3
	v_and_b32_e32 v3, 16, v6
	v_cmp_eq_u32_e32 vcc_lo, 0, v0
	v_cmp_lt_u32_e64 s0, 1, v0
	v_cmp_lt_u32_e64 s1, 3, v0
	;; [unrolled: 1-line block ×3, first 2 shown]
	v_cmp_eq_u32_e64 s3, 0, v3
	v_cndmask_b32_e64 v0, v4, v6, s4
	v_lshrrev_b32_e32 v3, 3, v8
	v_mov_b32_e32 v10, s13
	v_and_or_b32 v15, 0x700, v5, v6
	v_or_b32_e32 v5, 31, v7
	v_lshlrev_b32_e32 v18, 2, v0
	v_and_b32_e32 v0, 7, v6
	v_and_b32_e32 v19, 28, v3
	v_mul_u32_u24_e32 v3, 3, v8
	v_add_nc_u32_e32 v16, 32, v13
	v_cmp_eq_u32_e64 s4, v5, v8
	v_cmp_gt_u32_e64 s5, 8, v8
	v_cmp_lt_u32_e64 s6, 31, v8
	v_cmp_eq_u32_e64 s8, 0, v8
	v_cmp_eq_u32_e64 s9, 0, v0
	v_cmp_lt_u32_e64 s10, 1, v0
	v_cmp_lt_u32_e64 s11, 3, v0
	v_add_nc_u32_e32 v20, -4, v19
	v_add_nc_u32_e32 v21, v8, v3
	s_branch .LBB270_2
.LBB270_1:                              ;   in Loop: Header=BB270_2 Depth=1
	s_or_b32 exec_lo, exec_lo, s12
	s_waitcnt lgkmcnt(0)
	v_add_nc_u32_e32 v3, v53, v3
	s_add_i32 s15, s15, -1
	s_delay_alu instid0(SALU_CYCLE_1) | instskip(SKIP_3) | instid1(VALU_DEP_1)
	s_cmp_eq_u32 s15, 0
	ds_bpermute_b32 v3, v18, v3
	s_waitcnt lgkmcnt(0)
	v_cndmask_b32_e64 v3, v3, v53, s7
	v_cndmask_b32_e64 v3, v3, 0, s8
	s_delay_alu instid0(VALU_DEP_1) | instskip(NEXT) | instid1(VALU_DEP_1)
	v_add_nc_u32_e32 v4, v3, v4
	v_add_nc_u32_e32 v5, v4, v5
	s_delay_alu instid0(VALU_DEP_1) | instskip(NEXT) | instid1(VALU_DEP_1)
	v_add_nc_u32_e32 v6, v5, v6
	v_add_nc_u32_e32 v53, v6, v7
	s_delay_alu instid0(VALU_DEP_1) | instskip(NEXT) | instid1(VALU_DEP_1)
	v_add_nc_u32_e32 v54, v53, v0
	v_add_nc_u32_e32 v0, v54, v1
	s_delay_alu instid0(VALU_DEP_1)
	v_add_nc_u32_e32 v1, v0, v2
	ds_store_2addr_b64 v13, v[3:4], v[5:6] offset0:4 offset1:5
	ds_store_2addr_b64 v16, v[53:54], v[0:1] offset0:2 offset1:3
	s_waitcnt lgkmcnt(0)
	s_barrier
	buffer_gl0_inv
	ds_load_b32 v0, v31
	ds_load_b32 v1, v34
	;; [unrolled: 1-line block ×8, first 2 shown]
	s_waitcnt lgkmcnt(0)
	s_barrier
	buffer_gl0_inv
	v_add_nc_u32_e32 v0, v0, v30
	v_add3_u32 v1, v33, v32, v1
	v_add3_u32 v2, v36, v35, v2
	;; [unrolled: 1-line block ×7, first 2 shown]
	ds_store_b8 v0, v22
	ds_store_b8 v1, v23
	ds_store_b8 v2, v24
	ds_store_b8 v3, v25
	ds_store_b8 v4, v26
	ds_store_b8 v5, v27
	ds_store_b8 v6, v28
	ds_store_b8 v7, v29
	s_waitcnt lgkmcnt(0)
	s_barrier
	buffer_gl0_inv
	ds_load_u8 v0, v8
	ds_load_u8 v1, v8 offset:256
	ds_load_u8 v2, v8 offset:512
	;; [unrolled: 1-line block ×7, first 2 shown]
	s_waitcnt lgkmcnt(7)
	v_xor_b32_e32 v0, 0xffffff80, v0
	s_waitcnt lgkmcnt(6)
	v_xor_b32_e32 v3, 0xffffff80, v1
	;; [unrolled: 2-line block ×8, first 2 shown]
	v_lshlrev_b16 v1, 8, v3
	v_and_b32_e32 v2, 0xff, v0
	v_lshlrev_b16 v24, 8, v5
	v_and_b32_e32 v25, 0xff, v4
	;; [unrolled: 2-line block ×4, first 2 shown]
	v_or_b32_e32 v1, v2, v1
	v_or_b32_e32 v2, v25, v24
	;; [unrolled: 1-line block ×3, first 2 shown]
	s_delay_alu instid0(VALU_DEP_4) | instskip(NEXT) | instid1(VALU_DEP_4)
	v_or_b32_e32 v25, v29, v28
	v_and_b32_e32 v1, 0xffff, v1
	s_delay_alu instid0(VALU_DEP_4) | instskip(NEXT) | instid1(VALU_DEP_4)
	v_lshlrev_b32_e32 v2, 16, v2
	v_and_b32_e32 v24, 0xffff, v24
	s_delay_alu instid0(VALU_DEP_4) | instskip(NEXT) | instid1(VALU_DEP_3)
	v_lshlrev_b32_e32 v25, 16, v25
	v_or_b32_e32 v1, v1, v2
	s_delay_alu instid0(VALU_DEP_2)
	v_or_b32_e32 v2, v24, v25
	s_cbranch_scc1 .LBB270_24
.LBB270_2:                              ; =>This Inner Loop Header: Depth=1
	s_waitcnt vmcnt(0)
	s_delay_alu instid0(VALU_DEP_1)
	v_lshrrev_b32_e32 v0, 16, v2
	v_lshrrev_b32_e32 v3, 16, v1
	v_xor_b32_e32 v4, 0x80, v2
	v_and_b32_e32 v5, 0xffffff00, v1
	v_xor_b32_e32 v1, 0x80, v1
	v_xor_b32_e32 v6, 0x80, v0
	;; [unrolled: 1-line block ×3, first 2 shown]
	v_and_b32_e32 v2, 0xffffff00, v2
	v_and_b32_e32 v4, 0xff, v4
	;; [unrolled: 1-line block ×7, first 2 shown]
	v_or_b32_e32 v2, v4, v2
	v_or_b32_e32 v0, v6, v0
	;; [unrolled: 1-line block ×3, first 2 shown]
	s_delay_alu instid0(VALU_DEP_4) | instskip(NEXT) | instid1(VALU_DEP_4)
	v_or_b32_e32 v3, v7, v3
	v_add_nc_u16 v2, v2, 0x8000
	s_delay_alu instid0(VALU_DEP_4) | instskip(NEXT) | instid1(VALU_DEP_4)
	v_add_nc_u16 v0, v0, 0x8000
	v_add_nc_u16 v1, v1, 0x8000
	s_delay_alu instid0(VALU_DEP_4) | instskip(NEXT) | instid1(VALU_DEP_4)
	v_add_nc_u16 v3, v3, 0x8000
	v_and_b32_e32 v2, 0xffff, v2
	s_delay_alu instid0(VALU_DEP_4) | instskip(NEXT) | instid1(VALU_DEP_4)
	v_lshlrev_b32_e32 v0, 16, v0
	v_and_b32_e32 v4, 0xffff, v1
	s_delay_alu instid0(VALU_DEP_4) | instskip(NEXT) | instid1(VALU_DEP_3)
	v_lshlrev_b32_e32 v3, 16, v3
	v_or_b32_e32 v1, v2, v0
	s_delay_alu instid0(VALU_DEP_2)
	v_or_b32_e32 v0, v4, v3
	ds_store_b64 v14, v[0:1]
	; wave barrier
	ds_load_u8 v22, v15
	ds_load_u8 v23, v15 offset:32
	ds_load_u8 v24, v15 offset:64
	;; [unrolled: 1-line block ×7, first 2 shown]
	; wave barrier
	; wave barrier
	s_waitcnt lgkmcnt(0)
	s_barrier
	buffer_gl0_inv
	ds_store_2addr_b64 v13, v[9:10], v[11:12] offset0:4 offset1:5
	ds_store_2addr_b64 v16, v[9:10], v[11:12] offset0:2 offset1:3
	s_waitcnt lgkmcnt(0)
	s_barrier
	buffer_gl0_inv
	v_and_b32_e32 v0, 1, v22
	v_lshlrev_b32_e32 v1, 30, v22
	v_lshlrev_b32_e32 v2, 29, v22
	;; [unrolled: 1-line block ×4, first 2 shown]
	v_add_co_u32 v0, s12, v0, -1
	s_delay_alu instid0(VALU_DEP_1)
	v_cndmask_b32_e64 v4, 0, 1, s12
	v_not_b32_e32 v30, v1
	v_cmp_gt_i32_e64 s13, 0, v1
	v_not_b32_e32 v1, v2
	v_lshlrev_b32_e32 v6, 26, v22
	v_cmp_ne_u32_e64 s12, 0, v4
	v_ashrrev_i32_e32 v30, 31, v30
	v_lshlrev_b32_e32 v7, 25, v22
	v_ashrrev_i32_e32 v1, 31, v1
	v_lshlrev_b32_e32 v4, 24, v22
	v_xor_b32_e32 v0, s12, v0
	v_cmp_gt_i32_e64 s12, 0, v2
	v_not_b32_e32 v2, v3
	v_xor_b32_e32 v30, s13, v30
	v_cmp_gt_i32_e64 s13, 0, v3
	v_and_b32_e32 v0, exec_lo, v0
	v_not_b32_e32 v3, v5
	v_ashrrev_i32_e32 v2, 31, v2
	v_xor_b32_e32 v1, s12, v1
	v_cmp_gt_i32_e64 s12, 0, v5
	v_and_b32_e32 v0, v0, v30
	v_not_b32_e32 v5, v6
	v_ashrrev_i32_e32 v3, 31, v3
	v_xor_b32_e32 v2, s13, v2
	v_cmp_gt_i32_e64 s13, 0, v6
	v_and_b32_e32 v0, v0, v1
	;; [unrolled: 5-line block ×4, first 2 shown]
	v_ashrrev_i32_e32 v2, 31, v2
	v_xor_b32_e32 v1, s12, v1
	; wave barrier
	s_delay_alu instid0(VALU_DEP_3) | instskip(NEXT) | instid1(VALU_DEP_3)
	v_and_b32_e32 v0, v0, v5
	v_xor_b32_e32 v2, s13, v2
	s_delay_alu instid0(VALU_DEP_2) | instskip(SKIP_1) | instid1(VALU_DEP_2)
	v_and_b32_e32 v0, v0, v1
	v_and_b32_e32 v1, 0xff, v22
	;; [unrolled: 1-line block ×3, first 2 shown]
	s_delay_alu instid0(VALU_DEP_2) | instskip(NEXT) | instid1(VALU_DEP_2)
	v_lshl_add_u32 v1, v1, 3, v17
	v_mbcnt_lo_u32_b32 v30, v0, 0
	v_cmp_ne_u32_e64 s13, 0, v0
	s_delay_alu instid0(VALU_DEP_3) | instskip(NEXT) | instid1(VALU_DEP_3)
	v_lshl_add_u32 v31, v1, 2, 32
	v_cmp_eq_u32_e64 s12, 0, v30
	s_delay_alu instid0(VALU_DEP_1) | instskip(NEXT) | instid1(SALU_CYCLE_1)
	s_and_b32 s13, s13, s12
	s_and_saveexec_b32 s12, s13
	s_cbranch_execz .LBB270_4
; %bb.3:                                ;   in Loop: Header=BB270_2 Depth=1
	v_bcnt_u32_b32 v0, v0, 0
	ds_store_b32 v31, v0
.LBB270_4:                              ;   in Loop: Header=BB270_2 Depth=1
	s_or_b32 exec_lo, exec_lo, s12
	v_and_b32_e32 v0, 1, v23
	v_lshlrev_b32_e32 v2, 30, v23
	v_lshlrev_b32_e32 v4, 29, v23
	v_lshlrev_b32_e32 v5, 28, v23
	v_lshlrev_b32_e32 v6, 27, v23
	v_add_co_u32 v0, s12, v0, -1
	s_delay_alu instid0(VALU_DEP_1)
	v_cndmask_b32_e64 v3, 0, 1, s12
	v_not_b32_e32 v7, v2
	v_cmp_gt_i32_e64 s13, 0, v2
	v_not_b32_e32 v2, v4
	v_and_b32_e32 v1, 0xff, v23
	v_cmp_ne_u32_e64 s12, 0, v3
	v_ashrrev_i32_e32 v7, 31, v7
	v_lshlrev_b32_e32 v3, 26, v23
	v_ashrrev_i32_e32 v2, 31, v2
	v_lshlrev_b32_e32 v1, 3, v1
	v_xor_b32_e32 v0, s12, v0
	v_cmp_gt_i32_e64 s12, 0, v4
	v_not_b32_e32 v4, v5
	v_xor_b32_e32 v7, s13, v7
	v_cmp_gt_i32_e64 s13, 0, v5
	v_and_b32_e32 v0, exec_lo, v0
	v_not_b32_e32 v5, v6
	v_ashrrev_i32_e32 v4, 31, v4
	v_xor_b32_e32 v2, s12, v2
	v_cmp_gt_i32_e64 s12, 0, v6
	v_and_b32_e32 v0, v0, v7
	v_lshlrev_b32_e32 v7, 25, v23
	v_ashrrev_i32_e32 v5, 31, v5
	v_xor_b32_e32 v4, s13, v4
	v_not_b32_e32 v6, v3
	v_and_b32_e32 v0, v0, v2
	v_lshlrev_b32_e32 v2, 24, v23
	v_not_b32_e32 v32, v7
	v_xor_b32_e32 v5, s12, v5
	v_cmp_gt_i32_e64 s12, 0, v3
	v_and_b32_e32 v0, v0, v4
	v_ashrrev_i32_e32 v3, 31, v6
	v_cmp_gt_i32_e64 s13, 0, v7
	v_ashrrev_i32_e32 v4, 31, v32
	v_add_lshl_u32 v1, v17, v1, 2
	v_and_b32_e32 v0, v0, v5
	v_not_b32_e32 v5, v2
	v_xor_b32_e32 v3, s12, v3
	v_xor_b32_e32 v4, s13, v4
	v_cmp_gt_i32_e64 s12, 0, v2
	s_delay_alu instid0(VALU_DEP_4) | instskip(NEXT) | instid1(VALU_DEP_4)
	v_ashrrev_i32_e32 v2, 31, v5
	v_and_b32_e32 v0, v0, v3
	; wave barrier
	ds_load_b32 v32, v1 offset:32
	v_add_nc_u32_e32 v34, 32, v1
	v_xor_b32_e32 v2, s12, v2
	v_and_b32_e32 v0, v0, v4
	; wave barrier
	s_delay_alu instid0(VALU_DEP_1) | instskip(NEXT) | instid1(VALU_DEP_1)
	v_and_b32_e32 v0, v0, v2
	v_mbcnt_lo_u32_b32 v33, v0, 0
	v_cmp_ne_u32_e64 s13, 0, v0
	s_delay_alu instid0(VALU_DEP_2) | instskip(NEXT) | instid1(VALU_DEP_1)
	v_cmp_eq_u32_e64 s12, 0, v33
	s_and_b32 s13, s13, s12
	s_delay_alu instid0(SALU_CYCLE_1)
	s_and_saveexec_b32 s12, s13
	s_cbranch_execz .LBB270_6
; %bb.5:                                ;   in Loop: Header=BB270_2 Depth=1
	s_waitcnt lgkmcnt(0)
	v_bcnt_u32_b32 v0, v0, v32
	ds_store_b32 v34, v0
.LBB270_6:                              ;   in Loop: Header=BB270_2 Depth=1
	s_or_b32 exec_lo, exec_lo, s12
	v_and_b32_e32 v0, 1, v24
	v_lshlrev_b32_e32 v2, 30, v24
	v_lshlrev_b32_e32 v4, 29, v24
	v_lshlrev_b32_e32 v5, 28, v24
	v_lshlrev_b32_e32 v6, 27, v24
	v_add_co_u32 v0, s12, v0, -1
	s_delay_alu instid0(VALU_DEP_1)
	v_cndmask_b32_e64 v3, 0, 1, s12
	v_not_b32_e32 v7, v2
	v_cmp_gt_i32_e64 s13, 0, v2
	v_not_b32_e32 v2, v4
	v_and_b32_e32 v1, 0xff, v24
	v_cmp_ne_u32_e64 s12, 0, v3
	v_ashrrev_i32_e32 v7, 31, v7
	v_lshlrev_b32_e32 v3, 26, v24
	v_ashrrev_i32_e32 v2, 31, v2
	v_lshlrev_b32_e32 v1, 3, v1
	v_xor_b32_e32 v0, s12, v0
	v_cmp_gt_i32_e64 s12, 0, v4
	v_not_b32_e32 v4, v5
	v_xor_b32_e32 v7, s13, v7
	v_cmp_gt_i32_e64 s13, 0, v5
	v_and_b32_e32 v0, exec_lo, v0
	v_not_b32_e32 v5, v6
	v_ashrrev_i32_e32 v4, 31, v4
	v_xor_b32_e32 v2, s12, v2
	v_cmp_gt_i32_e64 s12, 0, v6
	v_and_b32_e32 v0, v0, v7
	v_lshlrev_b32_e32 v7, 25, v24
	v_ashrrev_i32_e32 v5, 31, v5
	v_xor_b32_e32 v4, s13, v4
	v_not_b32_e32 v6, v3
	v_and_b32_e32 v0, v0, v2
	v_lshlrev_b32_e32 v2, 24, v24
	v_not_b32_e32 v35, v7
	v_xor_b32_e32 v5, s12, v5
	v_cmp_gt_i32_e64 s12, 0, v3
	v_and_b32_e32 v0, v0, v4
	v_ashrrev_i32_e32 v3, 31, v6
	v_cmp_gt_i32_e64 s13, 0, v7
	v_ashrrev_i32_e32 v4, 31, v35
	v_add_lshl_u32 v1, v17, v1, 2
	v_and_b32_e32 v0, v0, v5
	v_not_b32_e32 v5, v2
	v_xor_b32_e32 v3, s12, v3
	v_xor_b32_e32 v4, s13, v4
	v_cmp_gt_i32_e64 s12, 0, v2
	s_delay_alu instid0(VALU_DEP_4) | instskip(NEXT) | instid1(VALU_DEP_4)
	v_ashrrev_i32_e32 v2, 31, v5
	v_and_b32_e32 v0, v0, v3
	; wave barrier
	ds_load_b32 v35, v1 offset:32
	v_add_nc_u32_e32 v37, 32, v1
	v_xor_b32_e32 v2, s12, v2
	v_and_b32_e32 v0, v0, v4
	; wave barrier
	s_delay_alu instid0(VALU_DEP_1) | instskip(NEXT) | instid1(VALU_DEP_1)
	v_and_b32_e32 v0, v0, v2
	v_mbcnt_lo_u32_b32 v36, v0, 0
	v_cmp_ne_u32_e64 s13, 0, v0
	s_delay_alu instid0(VALU_DEP_2) | instskip(NEXT) | instid1(VALU_DEP_1)
	v_cmp_eq_u32_e64 s12, 0, v36
	s_and_b32 s13, s13, s12
	s_delay_alu instid0(SALU_CYCLE_1)
	s_and_saveexec_b32 s12, s13
	s_cbranch_execz .LBB270_8
; %bb.7:                                ;   in Loop: Header=BB270_2 Depth=1
	s_waitcnt lgkmcnt(0)
	v_bcnt_u32_b32 v0, v0, v35
	ds_store_b32 v37, v0
.LBB270_8:                              ;   in Loop: Header=BB270_2 Depth=1
	s_or_b32 exec_lo, exec_lo, s12
	v_and_b32_e32 v0, 1, v25
	v_lshlrev_b32_e32 v2, 30, v25
	v_lshlrev_b32_e32 v4, 29, v25
	;; [unrolled: 1-line block ×4, first 2 shown]
	v_add_co_u32 v0, s12, v0, -1
	s_delay_alu instid0(VALU_DEP_1)
	v_cndmask_b32_e64 v3, 0, 1, s12
	v_not_b32_e32 v7, v2
	v_cmp_gt_i32_e64 s13, 0, v2
	v_not_b32_e32 v2, v4
	v_and_b32_e32 v1, 0xff, v25
	v_cmp_ne_u32_e64 s12, 0, v3
	v_ashrrev_i32_e32 v7, 31, v7
	v_lshlrev_b32_e32 v3, 26, v25
	v_ashrrev_i32_e32 v2, 31, v2
	v_lshlrev_b32_e32 v1, 3, v1
	v_xor_b32_e32 v0, s12, v0
	v_cmp_gt_i32_e64 s12, 0, v4
	v_not_b32_e32 v4, v5
	v_xor_b32_e32 v7, s13, v7
	v_cmp_gt_i32_e64 s13, 0, v5
	v_and_b32_e32 v0, exec_lo, v0
	v_not_b32_e32 v5, v6
	v_ashrrev_i32_e32 v4, 31, v4
	v_xor_b32_e32 v2, s12, v2
	v_cmp_gt_i32_e64 s12, 0, v6
	v_and_b32_e32 v0, v0, v7
	v_lshlrev_b32_e32 v7, 25, v25
	v_ashrrev_i32_e32 v5, 31, v5
	v_xor_b32_e32 v4, s13, v4
	v_not_b32_e32 v6, v3
	v_and_b32_e32 v0, v0, v2
	v_lshlrev_b32_e32 v2, 24, v25
	v_not_b32_e32 v38, v7
	v_xor_b32_e32 v5, s12, v5
	v_cmp_gt_i32_e64 s12, 0, v3
	v_and_b32_e32 v0, v0, v4
	v_ashrrev_i32_e32 v3, 31, v6
	v_cmp_gt_i32_e64 s13, 0, v7
	v_ashrrev_i32_e32 v4, 31, v38
	v_add_lshl_u32 v1, v17, v1, 2
	v_and_b32_e32 v0, v0, v5
	v_not_b32_e32 v5, v2
	v_xor_b32_e32 v3, s12, v3
	v_xor_b32_e32 v4, s13, v4
	v_cmp_gt_i32_e64 s12, 0, v2
	s_delay_alu instid0(VALU_DEP_4) | instskip(NEXT) | instid1(VALU_DEP_4)
	v_ashrrev_i32_e32 v2, 31, v5
	v_and_b32_e32 v0, v0, v3
	; wave barrier
	ds_load_b32 v38, v1 offset:32
	v_add_nc_u32_e32 v40, 32, v1
	v_xor_b32_e32 v2, s12, v2
	v_and_b32_e32 v0, v0, v4
	; wave barrier
	s_delay_alu instid0(VALU_DEP_1) | instskip(NEXT) | instid1(VALU_DEP_1)
	v_and_b32_e32 v0, v0, v2
	v_mbcnt_lo_u32_b32 v39, v0, 0
	v_cmp_ne_u32_e64 s13, 0, v0
	s_delay_alu instid0(VALU_DEP_2) | instskip(NEXT) | instid1(VALU_DEP_1)
	v_cmp_eq_u32_e64 s12, 0, v39
	s_and_b32 s13, s13, s12
	s_delay_alu instid0(SALU_CYCLE_1)
	s_and_saveexec_b32 s12, s13
	s_cbranch_execz .LBB270_10
; %bb.9:                                ;   in Loop: Header=BB270_2 Depth=1
	s_waitcnt lgkmcnt(0)
	v_bcnt_u32_b32 v0, v0, v38
	ds_store_b32 v40, v0
.LBB270_10:                             ;   in Loop: Header=BB270_2 Depth=1
	s_or_b32 exec_lo, exec_lo, s12
	v_and_b32_e32 v0, 1, v26
	v_lshlrev_b32_e32 v2, 30, v26
	v_lshlrev_b32_e32 v4, 29, v26
	v_lshlrev_b32_e32 v5, 28, v26
	v_lshlrev_b32_e32 v6, 27, v26
	v_add_co_u32 v0, s12, v0, -1
	s_delay_alu instid0(VALU_DEP_1)
	v_cndmask_b32_e64 v3, 0, 1, s12
	v_not_b32_e32 v7, v2
	v_cmp_gt_i32_e64 s13, 0, v2
	v_not_b32_e32 v2, v4
	v_and_b32_e32 v1, 0xff, v26
	v_cmp_ne_u32_e64 s12, 0, v3
	v_ashrrev_i32_e32 v7, 31, v7
	v_lshlrev_b32_e32 v3, 26, v26
	v_ashrrev_i32_e32 v2, 31, v2
	v_lshlrev_b32_e32 v1, 3, v1
	v_xor_b32_e32 v0, s12, v0
	v_cmp_gt_i32_e64 s12, 0, v4
	v_not_b32_e32 v4, v5
	v_xor_b32_e32 v7, s13, v7
	v_cmp_gt_i32_e64 s13, 0, v5
	v_and_b32_e32 v0, exec_lo, v0
	v_not_b32_e32 v5, v6
	v_ashrrev_i32_e32 v4, 31, v4
	v_xor_b32_e32 v2, s12, v2
	v_cmp_gt_i32_e64 s12, 0, v6
	v_and_b32_e32 v0, v0, v7
	v_lshlrev_b32_e32 v7, 25, v26
	v_ashrrev_i32_e32 v5, 31, v5
	v_xor_b32_e32 v4, s13, v4
	v_not_b32_e32 v6, v3
	v_and_b32_e32 v0, v0, v2
	v_lshlrev_b32_e32 v2, 24, v26
	v_not_b32_e32 v41, v7
	v_xor_b32_e32 v5, s12, v5
	v_cmp_gt_i32_e64 s12, 0, v3
	v_and_b32_e32 v0, v0, v4
	v_ashrrev_i32_e32 v3, 31, v6
	v_cmp_gt_i32_e64 s13, 0, v7
	v_ashrrev_i32_e32 v4, 31, v41
	v_add_lshl_u32 v1, v17, v1, 2
	v_and_b32_e32 v0, v0, v5
	v_not_b32_e32 v5, v2
	v_xor_b32_e32 v3, s12, v3
	v_xor_b32_e32 v4, s13, v4
	v_cmp_gt_i32_e64 s12, 0, v2
	s_delay_alu instid0(VALU_DEP_4) | instskip(NEXT) | instid1(VALU_DEP_4)
	v_ashrrev_i32_e32 v2, 31, v5
	v_and_b32_e32 v0, v0, v3
	; wave barrier
	ds_load_b32 v41, v1 offset:32
	v_add_nc_u32_e32 v43, 32, v1
	v_xor_b32_e32 v2, s12, v2
	v_and_b32_e32 v0, v0, v4
	; wave barrier
	s_delay_alu instid0(VALU_DEP_1) | instskip(NEXT) | instid1(VALU_DEP_1)
	v_and_b32_e32 v0, v0, v2
	v_mbcnt_lo_u32_b32 v42, v0, 0
	v_cmp_ne_u32_e64 s13, 0, v0
	s_delay_alu instid0(VALU_DEP_2) | instskip(NEXT) | instid1(VALU_DEP_1)
	v_cmp_eq_u32_e64 s12, 0, v42
	s_and_b32 s13, s13, s12
	s_delay_alu instid0(SALU_CYCLE_1)
	s_and_saveexec_b32 s12, s13
	s_cbranch_execz .LBB270_12
; %bb.11:                               ;   in Loop: Header=BB270_2 Depth=1
	s_waitcnt lgkmcnt(0)
	v_bcnt_u32_b32 v0, v0, v41
	ds_store_b32 v43, v0
.LBB270_12:                             ;   in Loop: Header=BB270_2 Depth=1
	s_or_b32 exec_lo, exec_lo, s12
	v_and_b32_e32 v0, 1, v27
	v_lshlrev_b32_e32 v2, 30, v27
	v_lshlrev_b32_e32 v4, 29, v27
	;; [unrolled: 1-line block ×4, first 2 shown]
	v_add_co_u32 v0, s12, v0, -1
	s_delay_alu instid0(VALU_DEP_1)
	v_cndmask_b32_e64 v3, 0, 1, s12
	v_not_b32_e32 v7, v2
	v_cmp_gt_i32_e64 s13, 0, v2
	v_not_b32_e32 v2, v4
	v_and_b32_e32 v1, 0xff, v27
	v_cmp_ne_u32_e64 s12, 0, v3
	v_ashrrev_i32_e32 v7, 31, v7
	v_lshlrev_b32_e32 v3, 26, v27
	v_ashrrev_i32_e32 v2, 31, v2
	v_lshlrev_b32_e32 v1, 3, v1
	v_xor_b32_e32 v0, s12, v0
	v_cmp_gt_i32_e64 s12, 0, v4
	v_not_b32_e32 v4, v5
	v_xor_b32_e32 v7, s13, v7
	v_cmp_gt_i32_e64 s13, 0, v5
	v_and_b32_e32 v0, exec_lo, v0
	v_not_b32_e32 v5, v6
	v_ashrrev_i32_e32 v4, 31, v4
	v_xor_b32_e32 v2, s12, v2
	v_cmp_gt_i32_e64 s12, 0, v6
	v_and_b32_e32 v0, v0, v7
	v_lshlrev_b32_e32 v7, 25, v27
	v_ashrrev_i32_e32 v5, 31, v5
	v_xor_b32_e32 v4, s13, v4
	v_not_b32_e32 v6, v3
	v_and_b32_e32 v0, v0, v2
	v_lshlrev_b32_e32 v2, 24, v27
	v_not_b32_e32 v44, v7
	v_xor_b32_e32 v5, s12, v5
	v_cmp_gt_i32_e64 s12, 0, v3
	v_and_b32_e32 v0, v0, v4
	v_ashrrev_i32_e32 v3, 31, v6
	v_cmp_gt_i32_e64 s13, 0, v7
	v_ashrrev_i32_e32 v4, 31, v44
	v_add_lshl_u32 v1, v17, v1, 2
	v_and_b32_e32 v0, v0, v5
	v_not_b32_e32 v5, v2
	v_xor_b32_e32 v3, s12, v3
	v_xor_b32_e32 v4, s13, v4
	v_cmp_gt_i32_e64 s12, 0, v2
	s_delay_alu instid0(VALU_DEP_4) | instskip(NEXT) | instid1(VALU_DEP_4)
	v_ashrrev_i32_e32 v2, 31, v5
	v_and_b32_e32 v0, v0, v3
	; wave barrier
	ds_load_b32 v44, v1 offset:32
	v_add_nc_u32_e32 v46, 32, v1
	v_xor_b32_e32 v2, s12, v2
	v_and_b32_e32 v0, v0, v4
	; wave barrier
	s_delay_alu instid0(VALU_DEP_1) | instskip(NEXT) | instid1(VALU_DEP_1)
	v_and_b32_e32 v0, v0, v2
	v_mbcnt_lo_u32_b32 v45, v0, 0
	v_cmp_ne_u32_e64 s13, 0, v0
	s_delay_alu instid0(VALU_DEP_2) | instskip(NEXT) | instid1(VALU_DEP_1)
	v_cmp_eq_u32_e64 s12, 0, v45
	s_and_b32 s13, s13, s12
	s_delay_alu instid0(SALU_CYCLE_1)
	s_and_saveexec_b32 s12, s13
	s_cbranch_execz .LBB270_14
; %bb.13:                               ;   in Loop: Header=BB270_2 Depth=1
	s_waitcnt lgkmcnt(0)
	v_bcnt_u32_b32 v0, v0, v44
	ds_store_b32 v46, v0
.LBB270_14:                             ;   in Loop: Header=BB270_2 Depth=1
	s_or_b32 exec_lo, exec_lo, s12
	v_and_b32_e32 v0, 1, v28
	v_lshlrev_b32_e32 v2, 30, v28
	v_lshlrev_b32_e32 v4, 29, v28
	;; [unrolled: 1-line block ×4, first 2 shown]
	v_add_co_u32 v0, s12, v0, -1
	s_delay_alu instid0(VALU_DEP_1)
	v_cndmask_b32_e64 v3, 0, 1, s12
	v_not_b32_e32 v7, v2
	v_cmp_gt_i32_e64 s13, 0, v2
	v_not_b32_e32 v2, v4
	v_and_b32_e32 v1, 0xff, v28
	v_cmp_ne_u32_e64 s12, 0, v3
	v_ashrrev_i32_e32 v7, 31, v7
	v_lshlrev_b32_e32 v3, 26, v28
	v_ashrrev_i32_e32 v2, 31, v2
	v_lshlrev_b32_e32 v1, 3, v1
	v_xor_b32_e32 v0, s12, v0
	v_cmp_gt_i32_e64 s12, 0, v4
	v_not_b32_e32 v4, v5
	v_xor_b32_e32 v7, s13, v7
	v_cmp_gt_i32_e64 s13, 0, v5
	v_and_b32_e32 v0, exec_lo, v0
	v_not_b32_e32 v5, v6
	v_ashrrev_i32_e32 v4, 31, v4
	v_xor_b32_e32 v2, s12, v2
	v_cmp_gt_i32_e64 s12, 0, v6
	v_and_b32_e32 v0, v0, v7
	v_lshlrev_b32_e32 v7, 25, v28
	v_ashrrev_i32_e32 v5, 31, v5
	v_xor_b32_e32 v4, s13, v4
	v_not_b32_e32 v6, v3
	v_and_b32_e32 v0, v0, v2
	v_lshlrev_b32_e32 v2, 24, v28
	v_not_b32_e32 v47, v7
	v_xor_b32_e32 v5, s12, v5
	v_cmp_gt_i32_e64 s12, 0, v3
	v_and_b32_e32 v0, v0, v4
	v_ashrrev_i32_e32 v3, 31, v6
	v_cmp_gt_i32_e64 s13, 0, v7
	v_ashrrev_i32_e32 v4, 31, v47
	v_add_lshl_u32 v1, v17, v1, 2
	v_and_b32_e32 v0, v0, v5
	v_not_b32_e32 v5, v2
	v_xor_b32_e32 v3, s12, v3
	v_xor_b32_e32 v4, s13, v4
	v_cmp_gt_i32_e64 s12, 0, v2
	s_delay_alu instid0(VALU_DEP_4) | instskip(NEXT) | instid1(VALU_DEP_4)
	v_ashrrev_i32_e32 v2, 31, v5
	v_and_b32_e32 v0, v0, v3
	; wave barrier
	ds_load_b32 v47, v1 offset:32
	v_add_nc_u32_e32 v49, 32, v1
	v_xor_b32_e32 v2, s12, v2
	v_and_b32_e32 v0, v0, v4
	; wave barrier
	s_delay_alu instid0(VALU_DEP_1) | instskip(NEXT) | instid1(VALU_DEP_1)
	v_and_b32_e32 v0, v0, v2
	v_mbcnt_lo_u32_b32 v48, v0, 0
	v_cmp_ne_u32_e64 s13, 0, v0
	s_delay_alu instid0(VALU_DEP_2) | instskip(NEXT) | instid1(VALU_DEP_1)
	v_cmp_eq_u32_e64 s12, 0, v48
	s_and_b32 s13, s13, s12
	s_delay_alu instid0(SALU_CYCLE_1)
	s_and_saveexec_b32 s12, s13
	s_cbranch_execz .LBB270_16
; %bb.15:                               ;   in Loop: Header=BB270_2 Depth=1
	s_waitcnt lgkmcnt(0)
	v_bcnt_u32_b32 v0, v0, v47
	ds_store_b32 v49, v0
.LBB270_16:                             ;   in Loop: Header=BB270_2 Depth=1
	s_or_b32 exec_lo, exec_lo, s12
	v_and_b32_e32 v0, 1, v29
	v_lshlrev_b32_e32 v2, 30, v29
	v_lshlrev_b32_e32 v4, 29, v29
	;; [unrolled: 1-line block ×4, first 2 shown]
	v_add_co_u32 v0, s12, v0, -1
	s_delay_alu instid0(VALU_DEP_1)
	v_cndmask_b32_e64 v3, 0, 1, s12
	v_not_b32_e32 v7, v2
	v_cmp_gt_i32_e64 s13, 0, v2
	v_not_b32_e32 v2, v4
	v_and_b32_e32 v1, 0xff, v29
	v_cmp_ne_u32_e64 s12, 0, v3
	v_ashrrev_i32_e32 v7, 31, v7
	v_lshlrev_b32_e32 v3, 26, v29
	v_ashrrev_i32_e32 v2, 31, v2
	v_lshlrev_b32_e32 v1, 3, v1
	v_xor_b32_e32 v0, s12, v0
	v_cmp_gt_i32_e64 s12, 0, v4
	v_not_b32_e32 v4, v5
	v_xor_b32_e32 v7, s13, v7
	v_cmp_gt_i32_e64 s13, 0, v5
	v_and_b32_e32 v0, exec_lo, v0
	v_not_b32_e32 v5, v6
	v_ashrrev_i32_e32 v4, 31, v4
	v_xor_b32_e32 v2, s12, v2
	v_cmp_gt_i32_e64 s12, 0, v6
	v_and_b32_e32 v0, v0, v7
	v_lshlrev_b32_e32 v7, 25, v29
	v_ashrrev_i32_e32 v5, 31, v5
	v_xor_b32_e32 v4, s13, v4
	v_not_b32_e32 v6, v3
	v_and_b32_e32 v0, v0, v2
	v_lshlrev_b32_e32 v2, 24, v29
	v_not_b32_e32 v50, v7
	v_xor_b32_e32 v5, s12, v5
	v_cmp_gt_i32_e64 s12, 0, v3
	v_and_b32_e32 v0, v0, v4
	v_ashrrev_i32_e32 v3, 31, v6
	v_cmp_gt_i32_e64 s13, 0, v7
	v_ashrrev_i32_e32 v4, 31, v50
	v_add_lshl_u32 v1, v17, v1, 2
	v_and_b32_e32 v0, v0, v5
	v_not_b32_e32 v5, v2
	v_xor_b32_e32 v3, s12, v3
	v_xor_b32_e32 v4, s13, v4
	v_cmp_gt_i32_e64 s12, 0, v2
	s_delay_alu instid0(VALU_DEP_4) | instskip(NEXT) | instid1(VALU_DEP_4)
	v_ashrrev_i32_e32 v2, 31, v5
	v_and_b32_e32 v0, v0, v3
	; wave barrier
	ds_load_b32 v50, v1 offset:32
	v_add_nc_u32_e32 v52, 32, v1
	v_xor_b32_e32 v2, s12, v2
	v_and_b32_e32 v0, v0, v4
	; wave barrier
	s_delay_alu instid0(VALU_DEP_1) | instskip(NEXT) | instid1(VALU_DEP_1)
	v_and_b32_e32 v0, v0, v2
	v_mbcnt_lo_u32_b32 v51, v0, 0
	v_cmp_ne_u32_e64 s13, 0, v0
	s_delay_alu instid0(VALU_DEP_2) | instskip(NEXT) | instid1(VALU_DEP_1)
	v_cmp_eq_u32_e64 s12, 0, v51
	s_and_b32 s13, s13, s12
	s_delay_alu instid0(SALU_CYCLE_1)
	s_and_saveexec_b32 s12, s13
	s_cbranch_execz .LBB270_18
; %bb.17:                               ;   in Loop: Header=BB270_2 Depth=1
	s_waitcnt lgkmcnt(0)
	v_bcnt_u32_b32 v0, v0, v50
	ds_store_b32 v52, v0
.LBB270_18:                             ;   in Loop: Header=BB270_2 Depth=1
	s_or_b32 exec_lo, exec_lo, s12
	; wave barrier
	s_waitcnt lgkmcnt(0)
	s_barrier
	buffer_gl0_inv
	ds_load_2addr_b64 v[4:7], v13 offset0:4 offset1:5
	ds_load_2addr_b64 v[0:3], v16 offset0:2 offset1:3
	s_waitcnt lgkmcnt(1)
	v_add_nc_u32_e32 v53, v5, v4
	s_delay_alu instid0(VALU_DEP_1) | instskip(SKIP_1) | instid1(VALU_DEP_1)
	v_add3_u32 v53, v53, v6, v7
	s_waitcnt lgkmcnt(0)
	v_add3_u32 v53, v53, v0, v1
	s_delay_alu instid0(VALU_DEP_1) | instskip(NEXT) | instid1(VALU_DEP_1)
	v_add3_u32 v3, v53, v2, v3
	v_mov_b32_dpp v53, v3 row_shr:1 row_mask:0xf bank_mask:0xf
	s_delay_alu instid0(VALU_DEP_1) | instskip(NEXT) | instid1(VALU_DEP_1)
	v_cndmask_b32_e64 v53, v53, 0, vcc_lo
	v_add_nc_u32_e32 v3, v53, v3
	s_delay_alu instid0(VALU_DEP_1) | instskip(NEXT) | instid1(VALU_DEP_1)
	v_mov_b32_dpp v53, v3 row_shr:2 row_mask:0xf bank_mask:0xf
	v_cndmask_b32_e64 v53, 0, v53, s0
	s_delay_alu instid0(VALU_DEP_1) | instskip(NEXT) | instid1(VALU_DEP_1)
	v_add_nc_u32_e32 v3, v3, v53
	v_mov_b32_dpp v53, v3 row_shr:4 row_mask:0xf bank_mask:0xf
	s_delay_alu instid0(VALU_DEP_1) | instskip(NEXT) | instid1(VALU_DEP_1)
	v_cndmask_b32_e64 v53, 0, v53, s1
	v_add_nc_u32_e32 v3, v3, v53
	s_delay_alu instid0(VALU_DEP_1) | instskip(NEXT) | instid1(VALU_DEP_1)
	v_mov_b32_dpp v53, v3 row_shr:8 row_mask:0xf bank_mask:0xf
	v_cndmask_b32_e64 v53, 0, v53, s2
	s_delay_alu instid0(VALU_DEP_1) | instskip(SKIP_3) | instid1(VALU_DEP_1)
	v_add_nc_u32_e32 v3, v3, v53
	ds_swizzle_b32 v53, v3 offset:swizzle(BROADCAST,32,15)
	s_waitcnt lgkmcnt(0)
	v_cndmask_b32_e64 v53, v53, 0, s3
	v_add_nc_u32_e32 v3, v3, v53
	s_and_saveexec_b32 s12, s4
	s_cbranch_execz .LBB270_20
; %bb.19:                               ;   in Loop: Header=BB270_2 Depth=1
	ds_store_b32 v19, v3
.LBB270_20:                             ;   in Loop: Header=BB270_2 Depth=1
	s_or_b32 exec_lo, exec_lo, s12
	s_waitcnt lgkmcnt(0)
	s_barrier
	buffer_gl0_inv
	s_and_saveexec_b32 s12, s5
	s_cbranch_execz .LBB270_22
; %bb.21:                               ;   in Loop: Header=BB270_2 Depth=1
	ds_load_b32 v53, v21
	s_waitcnt lgkmcnt(0)
	v_mov_b32_dpp v54, v53 row_shr:1 row_mask:0xf bank_mask:0xf
	s_delay_alu instid0(VALU_DEP_1) | instskip(NEXT) | instid1(VALU_DEP_1)
	v_cndmask_b32_e64 v54, v54, 0, s9
	v_add_nc_u32_e32 v53, v54, v53
	s_delay_alu instid0(VALU_DEP_1) | instskip(NEXT) | instid1(VALU_DEP_1)
	v_mov_b32_dpp v54, v53 row_shr:2 row_mask:0xf bank_mask:0xf
	v_cndmask_b32_e64 v54, 0, v54, s10
	s_delay_alu instid0(VALU_DEP_1) | instskip(NEXT) | instid1(VALU_DEP_1)
	v_add_nc_u32_e32 v53, v53, v54
	v_mov_b32_dpp v54, v53 row_shr:4 row_mask:0xf bank_mask:0xf
	s_delay_alu instid0(VALU_DEP_1) | instskip(NEXT) | instid1(VALU_DEP_1)
	v_cndmask_b32_e64 v54, 0, v54, s11
	v_add_nc_u32_e32 v53, v53, v54
	ds_store_b32 v21, v53
.LBB270_22:                             ;   in Loop: Header=BB270_2 Depth=1
	s_or_b32 exec_lo, exec_lo, s12
	v_mov_b32_e32 v53, 0
	s_waitcnt lgkmcnt(0)
	s_barrier
	buffer_gl0_inv
	s_and_saveexec_b32 s12, s6
	s_cbranch_execz .LBB270_1
; %bb.23:                               ;   in Loop: Header=BB270_2 Depth=1
	ds_load_b32 v53, v20
	s_branch .LBB270_1
.LBB270_24:
	s_add_u32 s0, s18, s14
	s_addc_u32 s1, s19, 0
	s_clause 0x7
	global_store_b8 v8, v0, s[0:1]
	global_store_b8 v8, v3, s[0:1] offset:256
	global_store_b8 v8, v4, s[0:1] offset:512
	;; [unrolled: 1-line block ×7, first 2 shown]
	s_nop 0
	s_sendmsg sendmsg(MSG_DEALLOC_VGPRS)
	s_endpgm
	.section	.rodata,"a",@progbits
	.p2align	6, 0x0
	.amdhsa_kernel _Z16sort_keys_kernelI22helper_blocked_stripedaLj256ELj8ELj10EEvPKT0_PS1_
		.amdhsa_group_segment_fixed_size 8224
		.amdhsa_private_segment_fixed_size 0
		.amdhsa_kernarg_size 272
		.amdhsa_user_sgpr_count 15
		.amdhsa_user_sgpr_dispatch_ptr 0
		.amdhsa_user_sgpr_queue_ptr 0
		.amdhsa_user_sgpr_kernarg_segment_ptr 1
		.amdhsa_user_sgpr_dispatch_id 0
		.amdhsa_user_sgpr_private_segment_size 0
		.amdhsa_wavefront_size32 1
		.amdhsa_uses_dynamic_stack 0
		.amdhsa_enable_private_segment 0
		.amdhsa_system_sgpr_workgroup_id_x 1
		.amdhsa_system_sgpr_workgroup_id_y 0
		.amdhsa_system_sgpr_workgroup_id_z 0
		.amdhsa_system_sgpr_workgroup_info 0
		.amdhsa_system_vgpr_workitem_id 2
		.amdhsa_next_free_vgpr 55
		.amdhsa_next_free_sgpr 20
		.amdhsa_reserve_vcc 1
		.amdhsa_float_round_mode_32 0
		.amdhsa_float_round_mode_16_64 0
		.amdhsa_float_denorm_mode_32 3
		.amdhsa_float_denorm_mode_16_64 3
		.amdhsa_dx10_clamp 1
		.amdhsa_ieee_mode 1
		.amdhsa_fp16_overflow 0
		.amdhsa_workgroup_processor_mode 1
		.amdhsa_memory_ordered 1
		.amdhsa_forward_progress 0
		.amdhsa_shared_vgpr_count 0
		.amdhsa_exception_fp_ieee_invalid_op 0
		.amdhsa_exception_fp_denorm_src 0
		.amdhsa_exception_fp_ieee_div_zero 0
		.amdhsa_exception_fp_ieee_overflow 0
		.amdhsa_exception_fp_ieee_underflow 0
		.amdhsa_exception_fp_ieee_inexact 0
		.amdhsa_exception_int_div_zero 0
	.end_amdhsa_kernel
	.section	.text._Z16sort_keys_kernelI22helper_blocked_stripedaLj256ELj8ELj10EEvPKT0_PS1_,"axG",@progbits,_Z16sort_keys_kernelI22helper_blocked_stripedaLj256ELj8ELj10EEvPKT0_PS1_,comdat
.Lfunc_end270:
	.size	_Z16sort_keys_kernelI22helper_blocked_stripedaLj256ELj8ELj10EEvPKT0_PS1_, .Lfunc_end270-_Z16sort_keys_kernelI22helper_blocked_stripedaLj256ELj8ELj10EEvPKT0_PS1_
                                        ; -- End function
	.section	.AMDGPU.csdata,"",@progbits
; Kernel info:
; codeLenInByte = 4576
; NumSgprs: 22
; NumVgprs: 55
; ScratchSize: 0
; MemoryBound: 0
; FloatMode: 240
; IeeeMode: 1
; LDSByteSize: 8224 bytes/workgroup (compile time only)
; SGPRBlocks: 2
; VGPRBlocks: 6
; NumSGPRsForWavesPerEU: 22
; NumVGPRsForWavesPerEU: 55
; Occupancy: 16
; WaveLimiterHint : 1
; COMPUTE_PGM_RSRC2:SCRATCH_EN: 0
; COMPUTE_PGM_RSRC2:USER_SGPR: 15
; COMPUTE_PGM_RSRC2:TRAP_HANDLER: 0
; COMPUTE_PGM_RSRC2:TGID_X_EN: 1
; COMPUTE_PGM_RSRC2:TGID_Y_EN: 0
; COMPUTE_PGM_RSRC2:TGID_Z_EN: 0
; COMPUTE_PGM_RSRC2:TIDIG_COMP_CNT: 2
	.section	.text._Z17sort_pairs_kernelI22helper_blocked_stripedaLj256ELj8ELj10EEvPKT0_PS1_,"axG",@progbits,_Z17sort_pairs_kernelI22helper_blocked_stripedaLj256ELj8ELj10EEvPKT0_PS1_,comdat
	.protected	_Z17sort_pairs_kernelI22helper_blocked_stripedaLj256ELj8ELj10EEvPKT0_PS1_ ; -- Begin function _Z17sort_pairs_kernelI22helper_blocked_stripedaLj256ELj8ELj10EEvPKT0_PS1_
	.globl	_Z17sort_pairs_kernelI22helper_blocked_stripedaLj256ELj8ELj10EEvPKT0_PS1_
	.p2align	8
	.type	_Z17sort_pairs_kernelI22helper_blocked_stripedaLj256ELj8ELj10EEvPKT0_PS1_,@function
_Z17sort_pairs_kernelI22helper_blocked_stripedaLj256ELj8ELj10EEvPKT0_PS1_: ; @_Z17sort_pairs_kernelI22helper_blocked_stripedaLj256ELj8ELj10EEvPKT0_PS1_
; %bb.0:
	s_clause 0x1
	s_load_b128 s[16:19], s[0:1], 0x0
	s_load_b32 s11, s[0:1], 0x1c
	v_and_b32_e32 v8, 0x3ff, v0
	s_lshl_b32 s14, s15, 11
	v_mbcnt_lo_u32_b32 v4, -1, 0
	v_bfe_u32 v5, v0, 10, 10
	v_bfe_u32 v0, v0, 20, 10
	v_lshlrev_b32_e32 v1, 3, v8
	s_mov_b32 s15, 10
	v_add_nc_u32_e32 v14, -1, v4
	v_and_b32_e32 v6, 15, v4
	v_and_b32_e32 v7, 16, v4
	v_cmp_eq_u32_e32 vcc_lo, 0, v4
	v_and_b32_e32 v15, 7, v4
	v_cmp_gt_i32_e64 s7, 0, v14
	s_delay_alu instid0(VALU_DEP_4) | instskip(NEXT) | instid1(VALU_DEP_3)
	v_cmp_eq_u32_e64 s4, 0, v7
	v_cmp_eq_u32_e64 s8, 0, v15
	v_cmp_lt_u32_e64 s9, 1, v15
	s_waitcnt lgkmcnt(0)
	s_add_u32 s0, s16, s14
	s_addc_u32 s1, s17, 0
	s_lshr_b32 s12, s11, 16
	global_load_b64 v[2:3], v1, s[0:1]
	s_mov_b32 s0, 0
	v_mad_u32_u24 v5, v0, s12, v5
	s_mov_b32 s1, s0
	s_mov_b32 s2, s0
	v_mov_b32_e32 v10, s1
	s_mov_b32 s3, s0
	s_delay_alu instid0(SALU_CYCLE_1)
	v_dual_mov_b32 v9, s0 :: v_dual_mov_b32 v12, s3
	v_dual_mov_b32 v11, s2 :: v_dual_and_b32 v16, 0xe0, v8
	v_cmp_eq_u32_e64 s0, 0, v6
	v_cmp_lt_u32_e64 s1, 1, v6
	v_cmp_lt_u32_e64 s2, 3, v6
	;; [unrolled: 1-line block ×3, first 2 shown]
	v_cndmask_b32_e64 v6, v14, v4, s7
	v_lshrrev_b32_e32 v7, 3, v8
	v_or_b32_e32 v18, v4, v16
	v_and_or_b32 v14, 0x700, v1, v4
	v_or_b32_e32 v4, 31, v16
	v_lshlrev_b32_e32 v16, 2, v6
	v_and_b32_e32 v17, 28, v7
	s_and_b32 s11, s11, 0xffff
	v_lshlrev_b32_e32 v13, 5, v8
	v_mul_u32_u24_e32 v21, 3, v8
	v_cmp_gt_u32_e64 s5, 8, v8
	v_cmp_lt_u32_e64 s6, 31, v8
	v_cmp_eq_u32_e64 s7, 0, v8
	v_cmp_lt_u32_e64 s10, 3, v15
	v_add_nc_u32_e32 v15, 32, v13
	v_lshlrev_b32_e32 v18, 3, v18
	v_add_nc_u32_e32 v21, v8, v21
	s_waitcnt vmcnt(0)
	v_lshrrev_b32_e32 v6, 16, v2
	v_lshrrev_b32_e32 v20, 16, v3
	;; [unrolled: 1-line block ×6, first 2 shown]
	v_add_nc_u16 v23, v2, 1
	v_add_nc_u16 v24, v3, 1
	v_add_nc_u16 v6, v6, 1
	v_add_nc_u16 v20, v20, 1
	v_lshlrev_b16 v1, 8, v1
	v_lshlrev_b16 v7, 8, v7
	;; [unrolled: 1-line block ×4, first 2 shown]
	v_and_b32_e32 v23, 0xff, v23
	v_and_b32_e32 v24, 0xff, v24
	;; [unrolled: 1-line block ×4, first 2 shown]
	s_delay_alu instid0(VALU_DEP_4) | instskip(NEXT) | instid1(VALU_DEP_4)
	v_or_b32_e32 v23, v1, v23
	v_or_b32_e32 v19, v19, v24
	s_delay_alu instid0(VALU_DEP_4) | instskip(NEXT) | instid1(VALU_DEP_4)
	v_or_b32_e32 v6, v7, v6
	v_or_b32_e32 v7, v22, v20
	v_mad_u64_u32 v[0:1], null, v5, s11, v[8:9]
	v_add_nc_u16 v1, v23, 0x100
	v_add_nc_u16 v5, v19, 0x100
	v_add_nc_u16 v6, v6, 0x100
	v_add_nc_u16 v7, v7, 0x100
	v_cmp_eq_u32_e64 s11, v4, v8
	v_and_b32_e32 v1, 0xffff, v1
	v_and_b32_e32 v5, 0xffff, v5
	v_lshlrev_b32_e32 v6, 16, v6
	v_lshlrev_b32_e32 v7, 16, v7
	v_add_nc_u32_e32 v19, -4, v17
	v_lshrrev_b32_e32 v20, 5, v0
	s_delay_alu instid0(VALU_DEP_4) | instskip(NEXT) | instid1(VALU_DEP_4)
	v_or_b32_e32 v0, v1, v6
	v_or_b32_e32 v1, v5, v7
	s_branch .LBB271_2
.LBB271_1:                              ;   in Loop: Header=BB271_2 Depth=1
	s_or_b32 exec_lo, exec_lo, s12
	s_waitcnt lgkmcnt(0)
	v_add_nc_u32_e32 v3, v61, v3
	s_add_i32 s15, s15, -1
	s_delay_alu instid0(SALU_CYCLE_1) | instskip(SKIP_3) | instid1(VALU_DEP_1)
	s_cmp_eq_u32 s15, 0
	ds_bpermute_b32 v3, v16, v3
	s_waitcnt lgkmcnt(0)
	v_cndmask_b32_e32 v3, v3, v61, vcc_lo
	v_cndmask_b32_e64 v3, v3, 0, s7
	s_delay_alu instid0(VALU_DEP_1) | instskip(NEXT) | instid1(VALU_DEP_1)
	v_add_nc_u32_e32 v4, v3, v4
	v_add_nc_u32_e32 v5, v4, v5
	s_delay_alu instid0(VALU_DEP_1) | instskip(NEXT) | instid1(VALU_DEP_1)
	v_add_nc_u32_e32 v6, v5, v6
	v_add_nc_u32_e32 v61, v6, v7
	;; [unrolled: 3-line block ×3, first 2 shown]
	s_delay_alu instid0(VALU_DEP_1)
	v_add_nc_u32_e32 v1, v0, v2
	ds_store_2addr_b64 v13, v[3:4], v[5:6] offset0:4 offset1:5
	ds_store_2addr_b64 v15, v[61:62], v[0:1] offset0:2 offset1:3
	s_waitcnt lgkmcnt(0)
	s_barrier
	buffer_gl0_inv
	ds_load_b32 v0, v39
	ds_load_b32 v1, v42
	;; [unrolled: 1-line block ×8, first 2 shown]
	s_waitcnt lgkmcnt(0)
	s_barrier
	buffer_gl0_inv
	v_add_nc_u32_e32 v0, v0, v38
	v_add3_u32 v1, v41, v40, v1
	v_add3_u32 v2, v44, v43, v2
	;; [unrolled: 1-line block ×7, first 2 shown]
	ds_store_b8 v0, v22
	ds_store_b8 v1, v23
	;; [unrolled: 1-line block ×8, first 2 shown]
	s_waitcnt lgkmcnt(0)
	s_barrier
	buffer_gl0_inv
	ds_load_u8 v26, v8
	ds_load_u8 v28, v8 offset:256
	ds_load_u8 v29, v8 offset:512
	;; [unrolled: 1-line block ×7, first 2 shown]
	s_waitcnt lgkmcnt(0)
	s_barrier
	buffer_gl0_inv
	ds_store_b8 v0, v30
	ds_store_b8 v1, v31
	;; [unrolled: 1-line block ×8, first 2 shown]
	s_waitcnt lgkmcnt(0)
	s_barrier
	buffer_gl0_inv
	ds_load_u8 v5, v8 offset:256
	ds_load_u8 v6, v8 offset:768
	;; [unrolled: 1-line block ×4, first 2 shown]
	ds_load_u8 v25, v8
	ds_load_u8 v24, v8 offset:512
	ds_load_u8 v23, v8 offset:1024
	;; [unrolled: 1-line block ×3, first 2 shown]
	v_xor_b32_e32 v27, 0xffffff80, v26
	v_xor_b32_e32 v28, 0xffffff80, v28
	;; [unrolled: 1-line block ×8, first 2 shown]
	s_waitcnt lgkmcnt(7)
	v_lshlrev_b16 v0, 8, v5
	s_waitcnt lgkmcnt(6)
	v_lshlrev_b16 v1, 8, v6
	;; [unrolled: 2-line block ×4, first 2 shown]
	v_lshlrev_b16 v34, 8, v28
	v_and_b32_e32 v35, 0xff, v27
	v_lshlrev_b16 v36, 8, v30
	v_and_b32_e32 v37, 0xff, v29
	;; [unrolled: 2-line block ×4, first 2 shown]
	s_waitcnt lgkmcnt(3)
	v_or_b32_e32 v0, v25, v0
	s_waitcnt lgkmcnt(2)
	v_or_b32_e32 v1, v24, v1
	;; [unrolled: 2-line block ×4, first 2 shown]
	v_or_b32_e32 v34, v35, v34
	v_or_b32_e32 v35, v37, v36
	;; [unrolled: 1-line block ×4, first 2 shown]
	v_and_b32_e32 v0, 0xffff, v0
	v_lshlrev_b32_e32 v1, 16, v1
	v_and_b32_e32 v2, 0xffff, v2
	v_lshlrev_b32_e32 v3, 16, v3
	;; [unrolled: 2-line block ×4, first 2 shown]
	v_or_b32_e32 v0, v0, v1
	v_or_b32_e32 v1, v2, v3
	;; [unrolled: 1-line block ×3, first 2 shown]
	s_delay_alu instid0(VALU_DEP_4)
	v_or_b32_e32 v3, v36, v37
	s_cbranch_scc1 .LBB271_24
.LBB271_2:                              ; =>This Inner Loop Header: Depth=1
	s_delay_alu instid0(VALU_DEP_1) | instskip(NEXT) | instid1(VALU_DEP_3)
	v_lshrrev_b32_e32 v4, 16, v3
	v_lshrrev_b32_e32 v5, 16, v2
	v_xor_b32_e32 v6, 0x80, v3
	v_and_b32_e32 v7, 0xffffff00, v2
	v_xor_b32_e32 v2, 0x80, v2
	v_xor_b32_e32 v22, 0x80, v4
	;; [unrolled: 1-line block ×3, first 2 shown]
	v_and_b32_e32 v3, 0xffffff00, v3
	v_and_b32_e32 v6, 0xff, v6
	;; [unrolled: 1-line block ×7, first 2 shown]
	v_or_b32_e32 v3, v6, v3
	v_or_b32_e32 v4, v22, v4
	;; [unrolled: 1-line block ×3, first 2 shown]
	s_delay_alu instid0(VALU_DEP_4) | instskip(NEXT) | instid1(VALU_DEP_4)
	v_or_b32_e32 v5, v23, v5
	v_add_nc_u16 v3, v3, 0x8000
	s_delay_alu instid0(VALU_DEP_4) | instskip(NEXT) | instid1(VALU_DEP_4)
	v_add_nc_u16 v4, v4, 0x8000
	v_add_nc_u16 v2, v2, 0x8000
	s_delay_alu instid0(VALU_DEP_4) | instskip(NEXT) | instid1(VALU_DEP_4)
	v_add_nc_u16 v5, v5, 0x8000
	v_and_b32_e32 v3, 0xffff, v3
	s_delay_alu instid0(VALU_DEP_4) | instskip(NEXT) | instid1(VALU_DEP_4)
	v_lshlrev_b32_e32 v4, 16, v4
	v_and_b32_e32 v2, 0xffff, v2
	s_delay_alu instid0(VALU_DEP_4) | instskip(NEXT) | instid1(VALU_DEP_3)
	v_lshlrev_b32_e32 v5, 16, v5
	v_or_b32_e32 v3, v3, v4
	s_delay_alu instid0(VALU_DEP_2)
	v_or_b32_e32 v2, v2, v5
	ds_store_b64 v18, v[2:3]
	; wave barrier
	ds_load_u8 v22, v14
	ds_load_u8 v23, v14 offset:32
	ds_load_u8 v24, v14 offset:64
	;; [unrolled: 1-line block ×7, first 2 shown]
	; wave barrier
	ds_store_b64 v18, v[0:1]
	; wave barrier
	s_waitcnt lgkmcnt(8)
	v_and_b32_e32 v2, 1, v22
	v_lshlrev_b32_e32 v3, 30, v22
	v_lshlrev_b32_e32 v4, 29, v22
	;; [unrolled: 1-line block ×4, first 2 shown]
	v_add_co_u32 v2, s12, v2, -1
	s_delay_alu instid0(VALU_DEP_1)
	v_cndmask_b32_e64 v6, 0, 1, s12
	v_not_b32_e32 v32, v3
	v_cmp_gt_i32_e64 s13, 0, v3
	v_not_b32_e32 v3, v4
	v_lshlrev_b32_e32 v30, 26, v22
	v_cmp_ne_u32_e64 s12, 0, v6
	v_ashrrev_i32_e32 v32, 31, v32
	v_lshlrev_b32_e32 v31, 25, v22
	v_ashrrev_i32_e32 v3, 31, v3
	v_lshlrev_b32_e32 v6, 24, v22
	v_xor_b32_e32 v2, s12, v2
	v_cmp_gt_i32_e64 s12, 0, v4
	v_not_b32_e32 v4, v5
	v_xor_b32_e32 v32, s13, v32
	v_cmp_gt_i32_e64 s13, 0, v5
	v_and_b32_e32 v2, exec_lo, v2
	v_not_b32_e32 v5, v7
	v_ashrrev_i32_e32 v4, 31, v4
	v_xor_b32_e32 v3, s12, v3
	v_cmp_gt_i32_e64 s12, 0, v7
	v_and_b32_e32 v2, v2, v32
	v_not_b32_e32 v7, v30
	v_ashrrev_i32_e32 v5, 31, v5
	v_xor_b32_e32 v4, s13, v4
	v_cmp_gt_i32_e64 s13, 0, v30
	v_and_b32_e32 v2, v2, v3
	v_not_b32_e32 v3, v31
	v_ashrrev_i32_e32 v7, 31, v7
	v_xor_b32_e32 v5, s12, v5
	v_cmp_gt_i32_e64 s12, 0, v31
	v_and_b32_e32 v2, v2, v4
	v_not_b32_e32 v4, v6
	v_ashrrev_i32_e32 v3, 31, v3
	v_xor_b32_e32 v7, s13, v7
	v_cmp_gt_i32_e64 s13, 0, v6
	v_and_b32_e32 v2, v2, v5
	v_ashrrev_i32_e32 v4, 31, v4
	v_xor_b32_e32 v3, s12, v3
	ds_load_u8 v30, v14
	ds_load_u8 v31, v14 offset:32
	ds_load_u8 v32, v14 offset:64
	;; [unrolled: 1-line block ×7, first 2 shown]
	s_waitcnt lgkmcnt(0)
	v_and_b32_e32 v2, v2, v7
	v_xor_b32_e32 v0, s13, v4
	s_barrier
	buffer_gl0_inv
	ds_store_2addr_b64 v13, v[9:10], v[11:12] offset0:4 offset1:5
	ds_store_2addr_b64 v15, v[9:10], v[11:12] offset0:2 offset1:3
	v_and_b32_e32 v1, v2, v3
	s_waitcnt lgkmcnt(0)
	s_barrier
	buffer_gl0_inv
	v_and_b32_e32 v0, v1, v0
	v_and_b32_e32 v1, 0xff, v22
	; wave barrier
	s_delay_alu instid0(VALU_DEP_2) | instskip(NEXT) | instid1(VALU_DEP_2)
	v_mbcnt_lo_u32_b32 v38, v0, 0
	v_lshl_add_u32 v1, v1, 3, v20
	v_cmp_ne_u32_e64 s13, 0, v0
	s_delay_alu instid0(VALU_DEP_3) | instskip(NEXT) | instid1(VALU_DEP_3)
	v_cmp_eq_u32_e64 s12, 0, v38
	v_lshl_add_u32 v39, v1, 2, 32
	s_delay_alu instid0(VALU_DEP_2) | instskip(NEXT) | instid1(SALU_CYCLE_1)
	s_and_b32 s13, s13, s12
	s_and_saveexec_b32 s12, s13
	s_cbranch_execz .LBB271_4
; %bb.3:                                ;   in Loop: Header=BB271_2 Depth=1
	v_bcnt_u32_b32 v0, v0, 0
	ds_store_b32 v39, v0
.LBB271_4:                              ;   in Loop: Header=BB271_2 Depth=1
	s_or_b32 exec_lo, exec_lo, s12
	v_and_b32_e32 v0, 1, v23
	v_lshlrev_b32_e32 v2, 30, v23
	v_lshlrev_b32_e32 v4, 29, v23
	;; [unrolled: 1-line block ×4, first 2 shown]
	v_add_co_u32 v0, s12, v0, -1
	s_delay_alu instid0(VALU_DEP_1)
	v_cndmask_b32_e64 v3, 0, 1, s12
	v_not_b32_e32 v7, v2
	v_cmp_gt_i32_e64 s13, 0, v2
	v_not_b32_e32 v2, v4
	v_and_b32_e32 v1, 0xff, v23
	v_cmp_ne_u32_e64 s12, 0, v3
	v_ashrrev_i32_e32 v7, 31, v7
	v_lshlrev_b32_e32 v3, 26, v23
	v_ashrrev_i32_e32 v2, 31, v2
	v_lshlrev_b32_e32 v1, 3, v1
	v_xor_b32_e32 v0, s12, v0
	v_cmp_gt_i32_e64 s12, 0, v4
	v_not_b32_e32 v4, v5
	v_xor_b32_e32 v7, s13, v7
	v_cmp_gt_i32_e64 s13, 0, v5
	v_and_b32_e32 v0, exec_lo, v0
	v_not_b32_e32 v5, v6
	v_ashrrev_i32_e32 v4, 31, v4
	v_xor_b32_e32 v2, s12, v2
	v_cmp_gt_i32_e64 s12, 0, v6
	v_and_b32_e32 v0, v0, v7
	v_lshlrev_b32_e32 v7, 25, v23
	v_ashrrev_i32_e32 v5, 31, v5
	v_xor_b32_e32 v4, s13, v4
	v_not_b32_e32 v6, v3
	v_and_b32_e32 v0, v0, v2
	v_lshlrev_b32_e32 v2, 24, v23
	v_not_b32_e32 v40, v7
	v_xor_b32_e32 v5, s12, v5
	v_cmp_gt_i32_e64 s12, 0, v3
	v_and_b32_e32 v0, v0, v4
	v_ashrrev_i32_e32 v3, 31, v6
	v_cmp_gt_i32_e64 s13, 0, v7
	v_ashrrev_i32_e32 v4, 31, v40
	v_add_lshl_u32 v1, v20, v1, 2
	v_and_b32_e32 v0, v0, v5
	v_not_b32_e32 v5, v2
	v_xor_b32_e32 v3, s12, v3
	v_xor_b32_e32 v4, s13, v4
	v_cmp_gt_i32_e64 s12, 0, v2
	s_delay_alu instid0(VALU_DEP_4) | instskip(NEXT) | instid1(VALU_DEP_4)
	v_ashrrev_i32_e32 v2, 31, v5
	v_and_b32_e32 v0, v0, v3
	; wave barrier
	ds_load_b32 v40, v1 offset:32
	v_add_nc_u32_e32 v42, 32, v1
	v_xor_b32_e32 v2, s12, v2
	v_and_b32_e32 v0, v0, v4
	; wave barrier
	s_delay_alu instid0(VALU_DEP_1) | instskip(NEXT) | instid1(VALU_DEP_1)
	v_and_b32_e32 v0, v0, v2
	v_mbcnt_lo_u32_b32 v41, v0, 0
	v_cmp_ne_u32_e64 s13, 0, v0
	s_delay_alu instid0(VALU_DEP_2) | instskip(NEXT) | instid1(VALU_DEP_1)
	v_cmp_eq_u32_e64 s12, 0, v41
	s_and_b32 s13, s13, s12
	s_delay_alu instid0(SALU_CYCLE_1)
	s_and_saveexec_b32 s12, s13
	s_cbranch_execz .LBB271_6
; %bb.5:                                ;   in Loop: Header=BB271_2 Depth=1
	s_waitcnt lgkmcnt(0)
	v_bcnt_u32_b32 v0, v0, v40
	ds_store_b32 v42, v0
.LBB271_6:                              ;   in Loop: Header=BB271_2 Depth=1
	s_or_b32 exec_lo, exec_lo, s12
	v_and_b32_e32 v0, 1, v24
	v_lshlrev_b32_e32 v2, 30, v24
	v_lshlrev_b32_e32 v4, 29, v24
	;; [unrolled: 1-line block ×4, first 2 shown]
	v_add_co_u32 v0, s12, v0, -1
	s_delay_alu instid0(VALU_DEP_1)
	v_cndmask_b32_e64 v3, 0, 1, s12
	v_not_b32_e32 v7, v2
	v_cmp_gt_i32_e64 s13, 0, v2
	v_not_b32_e32 v2, v4
	v_and_b32_e32 v1, 0xff, v24
	v_cmp_ne_u32_e64 s12, 0, v3
	v_ashrrev_i32_e32 v7, 31, v7
	v_lshlrev_b32_e32 v3, 26, v24
	v_ashrrev_i32_e32 v2, 31, v2
	v_lshlrev_b32_e32 v1, 3, v1
	v_xor_b32_e32 v0, s12, v0
	v_cmp_gt_i32_e64 s12, 0, v4
	v_not_b32_e32 v4, v5
	v_xor_b32_e32 v7, s13, v7
	v_cmp_gt_i32_e64 s13, 0, v5
	v_and_b32_e32 v0, exec_lo, v0
	v_not_b32_e32 v5, v6
	v_ashrrev_i32_e32 v4, 31, v4
	v_xor_b32_e32 v2, s12, v2
	v_cmp_gt_i32_e64 s12, 0, v6
	v_and_b32_e32 v0, v0, v7
	v_lshlrev_b32_e32 v7, 25, v24
	v_ashrrev_i32_e32 v5, 31, v5
	v_xor_b32_e32 v4, s13, v4
	v_not_b32_e32 v6, v3
	v_and_b32_e32 v0, v0, v2
	v_lshlrev_b32_e32 v2, 24, v24
	v_not_b32_e32 v43, v7
	v_xor_b32_e32 v5, s12, v5
	v_cmp_gt_i32_e64 s12, 0, v3
	v_and_b32_e32 v0, v0, v4
	v_ashrrev_i32_e32 v3, 31, v6
	v_cmp_gt_i32_e64 s13, 0, v7
	v_ashrrev_i32_e32 v4, 31, v43
	v_add_lshl_u32 v1, v20, v1, 2
	v_and_b32_e32 v0, v0, v5
	v_not_b32_e32 v5, v2
	v_xor_b32_e32 v3, s12, v3
	v_xor_b32_e32 v4, s13, v4
	v_cmp_gt_i32_e64 s12, 0, v2
	s_delay_alu instid0(VALU_DEP_4) | instskip(NEXT) | instid1(VALU_DEP_4)
	v_ashrrev_i32_e32 v2, 31, v5
	v_and_b32_e32 v0, v0, v3
	; wave barrier
	ds_load_b32 v43, v1 offset:32
	v_add_nc_u32_e32 v45, 32, v1
	v_xor_b32_e32 v2, s12, v2
	v_and_b32_e32 v0, v0, v4
	; wave barrier
	s_delay_alu instid0(VALU_DEP_1) | instskip(NEXT) | instid1(VALU_DEP_1)
	v_and_b32_e32 v0, v0, v2
	v_mbcnt_lo_u32_b32 v44, v0, 0
	v_cmp_ne_u32_e64 s13, 0, v0
	s_delay_alu instid0(VALU_DEP_2) | instskip(NEXT) | instid1(VALU_DEP_1)
	v_cmp_eq_u32_e64 s12, 0, v44
	s_and_b32 s13, s13, s12
	s_delay_alu instid0(SALU_CYCLE_1)
	s_and_saveexec_b32 s12, s13
	s_cbranch_execz .LBB271_8
; %bb.7:                                ;   in Loop: Header=BB271_2 Depth=1
	s_waitcnt lgkmcnt(0)
	v_bcnt_u32_b32 v0, v0, v43
	ds_store_b32 v45, v0
.LBB271_8:                              ;   in Loop: Header=BB271_2 Depth=1
	s_or_b32 exec_lo, exec_lo, s12
	v_and_b32_e32 v0, 1, v25
	v_lshlrev_b32_e32 v2, 30, v25
	v_lshlrev_b32_e32 v4, 29, v25
	;; [unrolled: 1-line block ×4, first 2 shown]
	v_add_co_u32 v0, s12, v0, -1
	s_delay_alu instid0(VALU_DEP_1)
	v_cndmask_b32_e64 v3, 0, 1, s12
	v_not_b32_e32 v7, v2
	v_cmp_gt_i32_e64 s13, 0, v2
	v_not_b32_e32 v2, v4
	v_and_b32_e32 v1, 0xff, v25
	v_cmp_ne_u32_e64 s12, 0, v3
	v_ashrrev_i32_e32 v7, 31, v7
	v_lshlrev_b32_e32 v3, 26, v25
	v_ashrrev_i32_e32 v2, 31, v2
	v_lshlrev_b32_e32 v1, 3, v1
	v_xor_b32_e32 v0, s12, v0
	v_cmp_gt_i32_e64 s12, 0, v4
	v_not_b32_e32 v4, v5
	v_xor_b32_e32 v7, s13, v7
	v_cmp_gt_i32_e64 s13, 0, v5
	v_and_b32_e32 v0, exec_lo, v0
	v_not_b32_e32 v5, v6
	v_ashrrev_i32_e32 v4, 31, v4
	v_xor_b32_e32 v2, s12, v2
	v_cmp_gt_i32_e64 s12, 0, v6
	v_and_b32_e32 v0, v0, v7
	v_lshlrev_b32_e32 v7, 25, v25
	v_ashrrev_i32_e32 v5, 31, v5
	v_xor_b32_e32 v4, s13, v4
	v_not_b32_e32 v6, v3
	v_and_b32_e32 v0, v0, v2
	v_lshlrev_b32_e32 v2, 24, v25
	v_not_b32_e32 v46, v7
	v_xor_b32_e32 v5, s12, v5
	v_cmp_gt_i32_e64 s12, 0, v3
	v_and_b32_e32 v0, v0, v4
	v_ashrrev_i32_e32 v3, 31, v6
	v_cmp_gt_i32_e64 s13, 0, v7
	v_ashrrev_i32_e32 v4, 31, v46
	v_add_lshl_u32 v1, v20, v1, 2
	v_and_b32_e32 v0, v0, v5
	v_not_b32_e32 v5, v2
	v_xor_b32_e32 v3, s12, v3
	v_xor_b32_e32 v4, s13, v4
	v_cmp_gt_i32_e64 s12, 0, v2
	s_delay_alu instid0(VALU_DEP_4) | instskip(NEXT) | instid1(VALU_DEP_4)
	v_ashrrev_i32_e32 v2, 31, v5
	v_and_b32_e32 v0, v0, v3
	; wave barrier
	ds_load_b32 v46, v1 offset:32
	v_add_nc_u32_e32 v48, 32, v1
	v_xor_b32_e32 v2, s12, v2
	v_and_b32_e32 v0, v0, v4
	; wave barrier
	s_delay_alu instid0(VALU_DEP_1) | instskip(NEXT) | instid1(VALU_DEP_1)
	v_and_b32_e32 v0, v0, v2
	v_mbcnt_lo_u32_b32 v47, v0, 0
	v_cmp_ne_u32_e64 s13, 0, v0
	s_delay_alu instid0(VALU_DEP_2) | instskip(NEXT) | instid1(VALU_DEP_1)
	v_cmp_eq_u32_e64 s12, 0, v47
	s_and_b32 s13, s13, s12
	s_delay_alu instid0(SALU_CYCLE_1)
	s_and_saveexec_b32 s12, s13
	s_cbranch_execz .LBB271_10
; %bb.9:                                ;   in Loop: Header=BB271_2 Depth=1
	s_waitcnt lgkmcnt(0)
	v_bcnt_u32_b32 v0, v0, v46
	ds_store_b32 v48, v0
.LBB271_10:                             ;   in Loop: Header=BB271_2 Depth=1
	s_or_b32 exec_lo, exec_lo, s12
	v_and_b32_e32 v0, 1, v26
	v_lshlrev_b32_e32 v2, 30, v26
	v_lshlrev_b32_e32 v4, 29, v26
	;; [unrolled: 1-line block ×4, first 2 shown]
	v_add_co_u32 v0, s12, v0, -1
	s_delay_alu instid0(VALU_DEP_1)
	v_cndmask_b32_e64 v3, 0, 1, s12
	v_not_b32_e32 v7, v2
	v_cmp_gt_i32_e64 s13, 0, v2
	v_not_b32_e32 v2, v4
	v_and_b32_e32 v1, 0xff, v26
	v_cmp_ne_u32_e64 s12, 0, v3
	v_ashrrev_i32_e32 v7, 31, v7
	v_lshlrev_b32_e32 v3, 26, v26
	v_ashrrev_i32_e32 v2, 31, v2
	v_lshlrev_b32_e32 v1, 3, v1
	v_xor_b32_e32 v0, s12, v0
	v_cmp_gt_i32_e64 s12, 0, v4
	v_not_b32_e32 v4, v5
	v_xor_b32_e32 v7, s13, v7
	v_cmp_gt_i32_e64 s13, 0, v5
	v_and_b32_e32 v0, exec_lo, v0
	v_not_b32_e32 v5, v6
	v_ashrrev_i32_e32 v4, 31, v4
	v_xor_b32_e32 v2, s12, v2
	v_cmp_gt_i32_e64 s12, 0, v6
	v_and_b32_e32 v0, v0, v7
	v_lshlrev_b32_e32 v7, 25, v26
	v_ashrrev_i32_e32 v5, 31, v5
	v_xor_b32_e32 v4, s13, v4
	v_not_b32_e32 v6, v3
	v_and_b32_e32 v0, v0, v2
	v_lshlrev_b32_e32 v2, 24, v26
	v_not_b32_e32 v49, v7
	v_xor_b32_e32 v5, s12, v5
	v_cmp_gt_i32_e64 s12, 0, v3
	v_and_b32_e32 v0, v0, v4
	v_ashrrev_i32_e32 v3, 31, v6
	v_cmp_gt_i32_e64 s13, 0, v7
	v_ashrrev_i32_e32 v4, 31, v49
	v_add_lshl_u32 v1, v20, v1, 2
	v_and_b32_e32 v0, v0, v5
	v_not_b32_e32 v5, v2
	v_xor_b32_e32 v3, s12, v3
	v_xor_b32_e32 v4, s13, v4
	v_cmp_gt_i32_e64 s12, 0, v2
	s_delay_alu instid0(VALU_DEP_4) | instskip(NEXT) | instid1(VALU_DEP_4)
	v_ashrrev_i32_e32 v2, 31, v5
	v_and_b32_e32 v0, v0, v3
	; wave barrier
	ds_load_b32 v49, v1 offset:32
	v_add_nc_u32_e32 v51, 32, v1
	v_xor_b32_e32 v2, s12, v2
	v_and_b32_e32 v0, v0, v4
	; wave barrier
	s_delay_alu instid0(VALU_DEP_1) | instskip(NEXT) | instid1(VALU_DEP_1)
	v_and_b32_e32 v0, v0, v2
	v_mbcnt_lo_u32_b32 v50, v0, 0
	v_cmp_ne_u32_e64 s13, 0, v0
	s_delay_alu instid0(VALU_DEP_2) | instskip(NEXT) | instid1(VALU_DEP_1)
	v_cmp_eq_u32_e64 s12, 0, v50
	s_and_b32 s13, s13, s12
	s_delay_alu instid0(SALU_CYCLE_1)
	s_and_saveexec_b32 s12, s13
	s_cbranch_execz .LBB271_12
; %bb.11:                               ;   in Loop: Header=BB271_2 Depth=1
	s_waitcnt lgkmcnt(0)
	v_bcnt_u32_b32 v0, v0, v49
	ds_store_b32 v51, v0
.LBB271_12:                             ;   in Loop: Header=BB271_2 Depth=1
	s_or_b32 exec_lo, exec_lo, s12
	v_and_b32_e32 v0, 1, v27
	v_lshlrev_b32_e32 v2, 30, v27
	v_lshlrev_b32_e32 v4, 29, v27
	;; [unrolled: 1-line block ×4, first 2 shown]
	v_add_co_u32 v0, s12, v0, -1
	s_delay_alu instid0(VALU_DEP_1)
	v_cndmask_b32_e64 v3, 0, 1, s12
	v_not_b32_e32 v7, v2
	v_cmp_gt_i32_e64 s13, 0, v2
	v_not_b32_e32 v2, v4
	v_and_b32_e32 v1, 0xff, v27
	v_cmp_ne_u32_e64 s12, 0, v3
	v_ashrrev_i32_e32 v7, 31, v7
	v_lshlrev_b32_e32 v3, 26, v27
	v_ashrrev_i32_e32 v2, 31, v2
	v_lshlrev_b32_e32 v1, 3, v1
	v_xor_b32_e32 v0, s12, v0
	v_cmp_gt_i32_e64 s12, 0, v4
	v_not_b32_e32 v4, v5
	v_xor_b32_e32 v7, s13, v7
	v_cmp_gt_i32_e64 s13, 0, v5
	v_and_b32_e32 v0, exec_lo, v0
	v_not_b32_e32 v5, v6
	v_ashrrev_i32_e32 v4, 31, v4
	v_xor_b32_e32 v2, s12, v2
	v_cmp_gt_i32_e64 s12, 0, v6
	v_and_b32_e32 v0, v0, v7
	v_lshlrev_b32_e32 v7, 25, v27
	v_ashrrev_i32_e32 v5, 31, v5
	v_xor_b32_e32 v4, s13, v4
	v_not_b32_e32 v6, v3
	v_and_b32_e32 v0, v0, v2
	v_lshlrev_b32_e32 v2, 24, v27
	v_not_b32_e32 v52, v7
	v_xor_b32_e32 v5, s12, v5
	v_cmp_gt_i32_e64 s12, 0, v3
	v_and_b32_e32 v0, v0, v4
	v_ashrrev_i32_e32 v3, 31, v6
	v_cmp_gt_i32_e64 s13, 0, v7
	v_ashrrev_i32_e32 v4, 31, v52
	v_add_lshl_u32 v1, v20, v1, 2
	v_and_b32_e32 v0, v0, v5
	v_not_b32_e32 v5, v2
	v_xor_b32_e32 v3, s12, v3
	v_xor_b32_e32 v4, s13, v4
	v_cmp_gt_i32_e64 s12, 0, v2
	s_delay_alu instid0(VALU_DEP_4) | instskip(NEXT) | instid1(VALU_DEP_4)
	v_ashrrev_i32_e32 v2, 31, v5
	v_and_b32_e32 v0, v0, v3
	; wave barrier
	ds_load_b32 v52, v1 offset:32
	v_add_nc_u32_e32 v54, 32, v1
	v_xor_b32_e32 v2, s12, v2
	v_and_b32_e32 v0, v0, v4
	; wave barrier
	s_delay_alu instid0(VALU_DEP_1) | instskip(NEXT) | instid1(VALU_DEP_1)
	v_and_b32_e32 v0, v0, v2
	v_mbcnt_lo_u32_b32 v53, v0, 0
	v_cmp_ne_u32_e64 s13, 0, v0
	s_delay_alu instid0(VALU_DEP_2) | instskip(NEXT) | instid1(VALU_DEP_1)
	v_cmp_eq_u32_e64 s12, 0, v53
	s_and_b32 s13, s13, s12
	s_delay_alu instid0(SALU_CYCLE_1)
	s_and_saveexec_b32 s12, s13
	s_cbranch_execz .LBB271_14
; %bb.13:                               ;   in Loop: Header=BB271_2 Depth=1
	s_waitcnt lgkmcnt(0)
	v_bcnt_u32_b32 v0, v0, v52
	ds_store_b32 v54, v0
.LBB271_14:                             ;   in Loop: Header=BB271_2 Depth=1
	s_or_b32 exec_lo, exec_lo, s12
	v_and_b32_e32 v0, 1, v28
	v_lshlrev_b32_e32 v2, 30, v28
	v_lshlrev_b32_e32 v4, 29, v28
	;; [unrolled: 1-line block ×4, first 2 shown]
	v_add_co_u32 v0, s12, v0, -1
	s_delay_alu instid0(VALU_DEP_1)
	v_cndmask_b32_e64 v3, 0, 1, s12
	v_not_b32_e32 v7, v2
	v_cmp_gt_i32_e64 s13, 0, v2
	v_not_b32_e32 v2, v4
	v_and_b32_e32 v1, 0xff, v28
	v_cmp_ne_u32_e64 s12, 0, v3
	v_ashrrev_i32_e32 v7, 31, v7
	v_lshlrev_b32_e32 v3, 26, v28
	v_ashrrev_i32_e32 v2, 31, v2
	v_lshlrev_b32_e32 v1, 3, v1
	v_xor_b32_e32 v0, s12, v0
	v_cmp_gt_i32_e64 s12, 0, v4
	v_not_b32_e32 v4, v5
	v_xor_b32_e32 v7, s13, v7
	v_cmp_gt_i32_e64 s13, 0, v5
	v_and_b32_e32 v0, exec_lo, v0
	v_not_b32_e32 v5, v6
	v_ashrrev_i32_e32 v4, 31, v4
	v_xor_b32_e32 v2, s12, v2
	v_cmp_gt_i32_e64 s12, 0, v6
	v_and_b32_e32 v0, v0, v7
	v_lshlrev_b32_e32 v7, 25, v28
	v_ashrrev_i32_e32 v5, 31, v5
	v_xor_b32_e32 v4, s13, v4
	v_not_b32_e32 v6, v3
	v_and_b32_e32 v0, v0, v2
	v_lshlrev_b32_e32 v2, 24, v28
	v_not_b32_e32 v55, v7
	v_xor_b32_e32 v5, s12, v5
	v_cmp_gt_i32_e64 s12, 0, v3
	v_and_b32_e32 v0, v0, v4
	v_ashrrev_i32_e32 v3, 31, v6
	v_cmp_gt_i32_e64 s13, 0, v7
	v_ashrrev_i32_e32 v4, 31, v55
	v_add_lshl_u32 v1, v20, v1, 2
	v_and_b32_e32 v0, v0, v5
	v_not_b32_e32 v5, v2
	v_xor_b32_e32 v3, s12, v3
	v_xor_b32_e32 v4, s13, v4
	v_cmp_gt_i32_e64 s12, 0, v2
	s_delay_alu instid0(VALU_DEP_4) | instskip(NEXT) | instid1(VALU_DEP_4)
	v_ashrrev_i32_e32 v2, 31, v5
	v_and_b32_e32 v0, v0, v3
	; wave barrier
	ds_load_b32 v55, v1 offset:32
	v_add_nc_u32_e32 v57, 32, v1
	v_xor_b32_e32 v2, s12, v2
	v_and_b32_e32 v0, v0, v4
	; wave barrier
	s_delay_alu instid0(VALU_DEP_1) | instskip(NEXT) | instid1(VALU_DEP_1)
	v_and_b32_e32 v0, v0, v2
	v_mbcnt_lo_u32_b32 v56, v0, 0
	v_cmp_ne_u32_e64 s13, 0, v0
	s_delay_alu instid0(VALU_DEP_2) | instskip(NEXT) | instid1(VALU_DEP_1)
	v_cmp_eq_u32_e64 s12, 0, v56
	s_and_b32 s13, s13, s12
	s_delay_alu instid0(SALU_CYCLE_1)
	s_and_saveexec_b32 s12, s13
	s_cbranch_execz .LBB271_16
; %bb.15:                               ;   in Loop: Header=BB271_2 Depth=1
	s_waitcnt lgkmcnt(0)
	v_bcnt_u32_b32 v0, v0, v55
	ds_store_b32 v57, v0
.LBB271_16:                             ;   in Loop: Header=BB271_2 Depth=1
	s_or_b32 exec_lo, exec_lo, s12
	v_and_b32_e32 v0, 1, v29
	v_lshlrev_b32_e32 v2, 30, v29
	v_lshlrev_b32_e32 v4, 29, v29
	;; [unrolled: 1-line block ×4, first 2 shown]
	v_add_co_u32 v0, s12, v0, -1
	s_delay_alu instid0(VALU_DEP_1)
	v_cndmask_b32_e64 v3, 0, 1, s12
	v_not_b32_e32 v7, v2
	v_cmp_gt_i32_e64 s13, 0, v2
	v_not_b32_e32 v2, v4
	v_and_b32_e32 v1, 0xff, v29
	v_cmp_ne_u32_e64 s12, 0, v3
	v_ashrrev_i32_e32 v7, 31, v7
	v_lshlrev_b32_e32 v3, 26, v29
	v_ashrrev_i32_e32 v2, 31, v2
	v_lshlrev_b32_e32 v1, 3, v1
	v_xor_b32_e32 v0, s12, v0
	v_cmp_gt_i32_e64 s12, 0, v4
	v_not_b32_e32 v4, v5
	v_xor_b32_e32 v7, s13, v7
	v_cmp_gt_i32_e64 s13, 0, v5
	v_and_b32_e32 v0, exec_lo, v0
	v_not_b32_e32 v5, v6
	v_ashrrev_i32_e32 v4, 31, v4
	v_xor_b32_e32 v2, s12, v2
	v_cmp_gt_i32_e64 s12, 0, v6
	v_and_b32_e32 v0, v0, v7
	v_lshlrev_b32_e32 v7, 25, v29
	v_ashrrev_i32_e32 v5, 31, v5
	v_xor_b32_e32 v4, s13, v4
	v_not_b32_e32 v6, v3
	v_and_b32_e32 v0, v0, v2
	v_lshlrev_b32_e32 v2, 24, v29
	v_not_b32_e32 v58, v7
	v_xor_b32_e32 v5, s12, v5
	v_cmp_gt_i32_e64 s12, 0, v3
	v_and_b32_e32 v0, v0, v4
	v_ashrrev_i32_e32 v3, 31, v6
	v_cmp_gt_i32_e64 s13, 0, v7
	v_ashrrev_i32_e32 v4, 31, v58
	v_add_lshl_u32 v1, v20, v1, 2
	v_and_b32_e32 v0, v0, v5
	v_not_b32_e32 v5, v2
	v_xor_b32_e32 v3, s12, v3
	v_xor_b32_e32 v4, s13, v4
	v_cmp_gt_i32_e64 s12, 0, v2
	s_delay_alu instid0(VALU_DEP_4) | instskip(NEXT) | instid1(VALU_DEP_4)
	v_ashrrev_i32_e32 v2, 31, v5
	v_and_b32_e32 v0, v0, v3
	; wave barrier
	ds_load_b32 v58, v1 offset:32
	v_add_nc_u32_e32 v60, 32, v1
	v_xor_b32_e32 v2, s12, v2
	v_and_b32_e32 v0, v0, v4
	; wave barrier
	s_delay_alu instid0(VALU_DEP_1) | instskip(NEXT) | instid1(VALU_DEP_1)
	v_and_b32_e32 v0, v0, v2
	v_mbcnt_lo_u32_b32 v59, v0, 0
	v_cmp_ne_u32_e64 s13, 0, v0
	s_delay_alu instid0(VALU_DEP_2) | instskip(NEXT) | instid1(VALU_DEP_1)
	v_cmp_eq_u32_e64 s12, 0, v59
	s_and_b32 s13, s13, s12
	s_delay_alu instid0(SALU_CYCLE_1)
	s_and_saveexec_b32 s12, s13
	s_cbranch_execz .LBB271_18
; %bb.17:                               ;   in Loop: Header=BB271_2 Depth=1
	s_waitcnt lgkmcnt(0)
	v_bcnt_u32_b32 v0, v0, v58
	ds_store_b32 v60, v0
.LBB271_18:                             ;   in Loop: Header=BB271_2 Depth=1
	s_or_b32 exec_lo, exec_lo, s12
	; wave barrier
	s_waitcnt lgkmcnt(0)
	s_barrier
	buffer_gl0_inv
	ds_load_2addr_b64 v[4:7], v13 offset0:4 offset1:5
	ds_load_2addr_b64 v[0:3], v15 offset0:2 offset1:3
	s_waitcnt lgkmcnt(1)
	v_add_nc_u32_e32 v61, v5, v4
	s_delay_alu instid0(VALU_DEP_1) | instskip(SKIP_1) | instid1(VALU_DEP_1)
	v_add3_u32 v61, v61, v6, v7
	s_waitcnt lgkmcnt(0)
	v_add3_u32 v61, v61, v0, v1
	s_delay_alu instid0(VALU_DEP_1) | instskip(NEXT) | instid1(VALU_DEP_1)
	v_add3_u32 v3, v61, v2, v3
	v_mov_b32_dpp v61, v3 row_shr:1 row_mask:0xf bank_mask:0xf
	s_delay_alu instid0(VALU_DEP_1) | instskip(NEXT) | instid1(VALU_DEP_1)
	v_cndmask_b32_e64 v61, v61, 0, s0
	v_add_nc_u32_e32 v3, v61, v3
	s_delay_alu instid0(VALU_DEP_1) | instskip(NEXT) | instid1(VALU_DEP_1)
	v_mov_b32_dpp v61, v3 row_shr:2 row_mask:0xf bank_mask:0xf
	v_cndmask_b32_e64 v61, 0, v61, s1
	s_delay_alu instid0(VALU_DEP_1) | instskip(NEXT) | instid1(VALU_DEP_1)
	v_add_nc_u32_e32 v3, v3, v61
	v_mov_b32_dpp v61, v3 row_shr:4 row_mask:0xf bank_mask:0xf
	s_delay_alu instid0(VALU_DEP_1) | instskip(NEXT) | instid1(VALU_DEP_1)
	v_cndmask_b32_e64 v61, 0, v61, s2
	v_add_nc_u32_e32 v3, v3, v61
	s_delay_alu instid0(VALU_DEP_1) | instskip(NEXT) | instid1(VALU_DEP_1)
	v_mov_b32_dpp v61, v3 row_shr:8 row_mask:0xf bank_mask:0xf
	v_cndmask_b32_e64 v61, 0, v61, s3
	s_delay_alu instid0(VALU_DEP_1) | instskip(SKIP_3) | instid1(VALU_DEP_1)
	v_add_nc_u32_e32 v3, v3, v61
	ds_swizzle_b32 v61, v3 offset:swizzle(BROADCAST,32,15)
	s_waitcnt lgkmcnt(0)
	v_cndmask_b32_e64 v61, v61, 0, s4
	v_add_nc_u32_e32 v3, v3, v61
	s_and_saveexec_b32 s12, s11
	s_cbranch_execz .LBB271_20
; %bb.19:                               ;   in Loop: Header=BB271_2 Depth=1
	ds_store_b32 v17, v3
.LBB271_20:                             ;   in Loop: Header=BB271_2 Depth=1
	s_or_b32 exec_lo, exec_lo, s12
	s_waitcnt lgkmcnt(0)
	s_barrier
	buffer_gl0_inv
	s_and_saveexec_b32 s12, s5
	s_cbranch_execz .LBB271_22
; %bb.21:                               ;   in Loop: Header=BB271_2 Depth=1
	ds_load_b32 v61, v21
	s_waitcnt lgkmcnt(0)
	v_mov_b32_dpp v62, v61 row_shr:1 row_mask:0xf bank_mask:0xf
	s_delay_alu instid0(VALU_DEP_1) | instskip(NEXT) | instid1(VALU_DEP_1)
	v_cndmask_b32_e64 v62, v62, 0, s8
	v_add_nc_u32_e32 v61, v62, v61
	s_delay_alu instid0(VALU_DEP_1) | instskip(NEXT) | instid1(VALU_DEP_1)
	v_mov_b32_dpp v62, v61 row_shr:2 row_mask:0xf bank_mask:0xf
	v_cndmask_b32_e64 v62, 0, v62, s9
	s_delay_alu instid0(VALU_DEP_1) | instskip(NEXT) | instid1(VALU_DEP_1)
	v_add_nc_u32_e32 v61, v61, v62
	v_mov_b32_dpp v62, v61 row_shr:4 row_mask:0xf bank_mask:0xf
	s_delay_alu instid0(VALU_DEP_1) | instskip(NEXT) | instid1(VALU_DEP_1)
	v_cndmask_b32_e64 v62, 0, v62, s10
	v_add_nc_u32_e32 v61, v61, v62
	ds_store_b32 v21, v61
.LBB271_22:                             ;   in Loop: Header=BB271_2 Depth=1
	s_or_b32 exec_lo, exec_lo, s12
	v_mov_b32_e32 v61, 0
	s_waitcnt lgkmcnt(0)
	s_barrier
	buffer_gl0_inv
	s_and_saveexec_b32 s12, s6
	s_cbranch_execz .LBB271_1
; %bb.23:                               ;   in Loop: Header=BB271_2 Depth=1
	ds_load_b32 v61, v19
	s_branch .LBB271_1
.LBB271_24:
	v_add_nc_u16 v0, v27, v25
	v_add_nc_u16 v1, v28, v5
	;; [unrolled: 1-line block ×3, first 2 shown]
	s_add_u32 s0, s18, s14
	v_add_nc_u16 v3, v30, v6
	s_addc_u32 s1, s19, 0
	v_add_nc_u16 v5, v31, v23
	v_add_nc_u16 v6, v32, v7
	;; [unrolled: 1-line block ×4, first 2 shown]
	s_clause 0x7
	global_store_b8 v8, v0, s[0:1]
	global_store_b8 v8, v1, s[0:1] offset:256
	global_store_b8 v8, v2, s[0:1] offset:512
	global_store_b8 v8, v3, s[0:1] offset:768
	global_store_b8 v8, v5, s[0:1] offset:1024
	global_store_b8 v8, v6, s[0:1] offset:1280
	global_store_b8 v8, v7, s[0:1] offset:1536
	global_store_b8 v8, v4, s[0:1] offset:1792
	s_nop 0
	s_sendmsg sendmsg(MSG_DEALLOC_VGPRS)
	s_endpgm
	.section	.rodata,"a",@progbits
	.p2align	6, 0x0
	.amdhsa_kernel _Z17sort_pairs_kernelI22helper_blocked_stripedaLj256ELj8ELj10EEvPKT0_PS1_
		.amdhsa_group_segment_fixed_size 8224
		.amdhsa_private_segment_fixed_size 0
		.amdhsa_kernarg_size 272
		.amdhsa_user_sgpr_count 15
		.amdhsa_user_sgpr_dispatch_ptr 0
		.amdhsa_user_sgpr_queue_ptr 0
		.amdhsa_user_sgpr_kernarg_segment_ptr 1
		.amdhsa_user_sgpr_dispatch_id 0
		.amdhsa_user_sgpr_private_segment_size 0
		.amdhsa_wavefront_size32 1
		.amdhsa_uses_dynamic_stack 0
		.amdhsa_enable_private_segment 0
		.amdhsa_system_sgpr_workgroup_id_x 1
		.amdhsa_system_sgpr_workgroup_id_y 0
		.amdhsa_system_sgpr_workgroup_id_z 0
		.amdhsa_system_sgpr_workgroup_info 0
		.amdhsa_system_vgpr_workitem_id 2
		.amdhsa_next_free_vgpr 63
		.amdhsa_next_free_sgpr 20
		.amdhsa_reserve_vcc 1
		.amdhsa_float_round_mode_32 0
		.amdhsa_float_round_mode_16_64 0
		.amdhsa_float_denorm_mode_32 3
		.amdhsa_float_denorm_mode_16_64 3
		.amdhsa_dx10_clamp 1
		.amdhsa_ieee_mode 1
		.amdhsa_fp16_overflow 0
		.amdhsa_workgroup_processor_mode 1
		.amdhsa_memory_ordered 1
		.amdhsa_forward_progress 0
		.amdhsa_shared_vgpr_count 0
		.amdhsa_exception_fp_ieee_invalid_op 0
		.amdhsa_exception_fp_denorm_src 0
		.amdhsa_exception_fp_ieee_div_zero 0
		.amdhsa_exception_fp_ieee_overflow 0
		.amdhsa_exception_fp_ieee_underflow 0
		.amdhsa_exception_fp_ieee_inexact 0
		.amdhsa_exception_int_div_zero 0
	.end_amdhsa_kernel
	.section	.text._Z17sort_pairs_kernelI22helper_blocked_stripedaLj256ELj8ELj10EEvPKT0_PS1_,"axG",@progbits,_Z17sort_pairs_kernelI22helper_blocked_stripedaLj256ELj8ELj10EEvPKT0_PS1_,comdat
.Lfunc_end271:
	.size	_Z17sort_pairs_kernelI22helper_blocked_stripedaLj256ELj8ELj10EEvPKT0_PS1_, .Lfunc_end271-_Z17sort_pairs_kernelI22helper_blocked_stripedaLj256ELj8ELj10EEvPKT0_PS1_
                                        ; -- End function
	.section	.AMDGPU.csdata,"",@progbits
; Kernel info:
; codeLenInByte = 5152
; NumSgprs: 22
; NumVgprs: 63
; ScratchSize: 0
; MemoryBound: 0
; FloatMode: 240
; IeeeMode: 1
; LDSByteSize: 8224 bytes/workgroup (compile time only)
; SGPRBlocks: 2
; VGPRBlocks: 7
; NumSGPRsForWavesPerEU: 22
; NumVGPRsForWavesPerEU: 63
; Occupancy: 16
; WaveLimiterHint : 1
; COMPUTE_PGM_RSRC2:SCRATCH_EN: 0
; COMPUTE_PGM_RSRC2:USER_SGPR: 15
; COMPUTE_PGM_RSRC2:TRAP_HANDLER: 0
; COMPUTE_PGM_RSRC2:TGID_X_EN: 1
; COMPUTE_PGM_RSRC2:TGID_Y_EN: 0
; COMPUTE_PGM_RSRC2:TGID_Z_EN: 0
; COMPUTE_PGM_RSRC2:TIDIG_COMP_CNT: 2
	.section	.text._Z16sort_keys_kernelI22helper_blocked_stripedaLj320ELj1ELj10EEvPKT0_PS1_,"axG",@progbits,_Z16sort_keys_kernelI22helper_blocked_stripedaLj320ELj1ELj10EEvPKT0_PS1_,comdat
	.protected	_Z16sort_keys_kernelI22helper_blocked_stripedaLj320ELj1ELj10EEvPKT0_PS1_ ; -- Begin function _Z16sort_keys_kernelI22helper_blocked_stripedaLj320ELj1ELj10EEvPKT0_PS1_
	.globl	_Z16sort_keys_kernelI22helper_blocked_stripedaLj320ELj1ELj10EEvPKT0_PS1_
	.p2align	8
	.type	_Z16sort_keys_kernelI22helper_blocked_stripedaLj320ELj1ELj10EEvPKT0_PS1_,@function
_Z16sort_keys_kernelI22helper_blocked_stripedaLj320ELj1ELj10EEvPKT0_PS1_: ; @_Z16sort_keys_kernelI22helper_blocked_stripedaLj320ELj1ELj10EEvPKT0_PS1_
; %bb.0:
	s_clause 0x1
	s_load_b128 s[16:19], s[0:1], 0x0
	s_load_b32 s8, s[0:1], 0x1c
	s_mul_i32 s12, s15, 0x140
	v_and_b32_e32 v8, 0x3ff, v0
	v_mbcnt_lo_u32_b32 v1, -1, 0
	v_bfe_u32 v3, v0, 10, 10
	v_bfe_u32 v0, v0, 20, 10
	s_mov_b32 s13, 10
	s_delay_alu instid0(VALU_DEP_3) | instskip(SKIP_3) | instid1(VALU_DEP_3)
	v_and_b32_e32 v4, 15, v1
	v_add_nc_u32_e32 v6, -1, v1
	v_cmp_eq_u32_e32 vcc_lo, 0, v1
	v_and_b32_e32 v5, 16, v1
	v_cmp_gt_i32_e64 s7, 0, v6
	s_delay_alu instid0(VALU_DEP_2)
	v_cmp_eq_u32_e64 s4, 0, v5
	s_waitcnt lgkmcnt(0)
	s_add_u32 s0, s16, s12
	s_addc_u32 s1, s17, 0
	s_lshr_b32 s9, s8, 16
	global_load_u8 v2, v8, s[0:1]
	s_mov_b32 s0, 0
	v_mad_u32_u24 v3, v0, s9, v3
	s_mov_b32 s1, s0
	s_mov_b32 s3, s0
	;; [unrolled: 1-line block ×3, first 2 shown]
	v_mov_b32_e32 v10, s1
	v_dual_mov_b32 v12, s3 :: v_dual_mov_b32 v9, s0
	v_mov_b32_e32 v11, s2
	v_cmp_eq_u32_e64 s0, 0, v4
	v_cmp_lt_u32_e64 s1, 1, v4
	v_cmp_lt_u32_e64 s2, 3, v4
	;; [unrolled: 1-line block ×3, first 2 shown]
	v_and_b32_e32 v4, 0x1e0, v8
	v_cndmask_b32_e64 v5, v6, v1, s7
	v_lshrrev_b32_e32 v6, 3, v8
	s_and_b32 s8, s8, 0xffff
	v_lshlrev_b32_e32 v13, 5, v8
	v_min_u32_e32 v4, 0x120, v4
	v_mad_u64_u32 v[0:1], null, v3, s8, v[8:9]
	v_and_b32_e32 v14, 60, v6
	v_mul_u32_u24_e32 v3, 3, v8
	s_delay_alu instid0(VALU_DEP_4)
	v_or_b32_e32 v1, 31, v4
	v_cmp_gt_u32_e64 s5, 10, v8
	v_cmp_lt_u32_e64 s6, 31, v8
	v_cmp_eq_u32_e64 s7, 0, v8
	v_add_nc_u32_e32 v15, 40, v13
	v_lshlrev_b32_e32 v16, 2, v5
	v_add_nc_u32_e32 v17, -4, v14
	v_cmp_eq_u32_e64 s8, v1, v8
	v_lshrrev_b32_e32 v18, 5, v0
	v_add_nc_u32_e32 v19, v8, v3
	s_waitcnt vmcnt(0)
	v_xor_b32_e32 v20, 0xffffff80, v2
	s_branch .LBB272_2
.LBB272_1:                              ;   in Loop: Header=BB272_2 Depth=1
	s_or_b32 exec_lo, exec_lo, s9
	s_waitcnt lgkmcnt(0)
	v_add_nc_u32_e32 v3, v23, v3
	s_add_i32 s13, s13, -1
	s_delay_alu instid0(SALU_CYCLE_1) | instskip(SKIP_3) | instid1(VALU_DEP_1)
	s_cmp_eq_u32 s13, 0
	ds_bpermute_b32 v3, v16, v3
	s_waitcnt lgkmcnt(0)
	v_cndmask_b32_e32 v3, v3, v23, vcc_lo
	v_cndmask_b32_e64 v3, v3, 0, s7
	s_delay_alu instid0(VALU_DEP_1) | instskip(NEXT) | instid1(VALU_DEP_1)
	v_add_nc_u32_e32 v4, v3, v4
	v_add_nc_u32_e32 v5, v4, v5
	s_delay_alu instid0(VALU_DEP_1) | instskip(NEXT) | instid1(VALU_DEP_1)
	v_add_nc_u32_e32 v6, v5, v6
	v_add_nc_u32_e32 v23, v6, v7
	s_delay_alu instid0(VALU_DEP_1) | instskip(NEXT) | instid1(VALU_DEP_1)
	v_add_nc_u32_e32 v24, v23, v0
	v_add_nc_u32_e32 v0, v24, v1
	s_delay_alu instid0(VALU_DEP_1)
	v_add_nc_u32_e32 v1, v0, v2
	ds_store_2addr_b64 v13, v[3:4], v[5:6] offset0:5 offset1:6
	ds_store_2addr_b64 v15, v[23:24], v[0:1] offset0:2 offset1:3
	s_waitcnt lgkmcnt(0)
	s_barrier
	buffer_gl0_inv
	ds_load_b32 v0, v22
	s_waitcnt lgkmcnt(0)
	s_barrier
	buffer_gl0_inv
	v_add_nc_u32_e32 v0, v0, v21
	ds_store_b8 v0, v20
	s_waitcnt lgkmcnt(0)
	s_barrier
	buffer_gl0_inv
	ds_load_u8 v20, v8
	s_cbranch_scc1 .LBB272_10
.LBB272_2:                              ; =>This Inner Loop Header: Depth=1
	s_waitcnt lgkmcnt(0)
	s_delay_alu instid0(VALU_DEP_1)
	v_and_b32_e32 v0, 1, v20
	v_lshlrev_b32_e32 v1, 30, v20
	v_lshlrev_b32_e32 v2, 29, v20
	;; [unrolled: 1-line block ×4, first 2 shown]
	v_add_co_u32 v0, s9, v0, -1
	s_delay_alu instid0(VALU_DEP_1)
	v_cndmask_b32_e64 v3, 0, 1, s9
	v_not_b32_e32 v7, v1
	v_cmp_gt_i32_e64 s10, 0, v1
	v_not_b32_e32 v1, v2
	v_lshlrev_b32_e32 v6, 26, v20
	v_cmp_ne_u32_e64 s9, 0, v3
	v_ashrrev_i32_e32 v7, 31, v7
	v_lshlrev_b32_e32 v3, 25, v20
	v_ashrrev_i32_e32 v1, 31, v1
	v_cmp_gt_i32_e64 s11, 0, v5
	v_xor_b32_e32 v0, s9, v0
	v_cmp_gt_i32_e64 s9, 0, v2
	v_not_b32_e32 v2, v4
	v_xor_b32_e32 v7, s10, v7
	v_cmp_gt_i32_e64 s10, 0, v4
	v_and_b32_e32 v0, exec_lo, v0
	v_xor_b32_e32 v1, s9, v1
	v_ashrrev_i32_e32 v2, 31, v2
	v_not_b32_e32 v4, v5
	v_not_b32_e32 v5, v6
	v_and_b32_e32 v0, v0, v7
	v_cmp_gt_i32_e64 s9, 0, v6
	v_xor_b32_e32 v2, s10, v2
	v_not_b32_e32 v6, v3
	ds_store_2addr_b64 v13, v[9:10], v[11:12] offset0:5 offset1:6
	ds_store_2addr_b64 v15, v[9:10], v[11:12] offset0:2 offset1:3
	v_and_b32_e32 v0, v0, v1
	v_ashrrev_i32_e32 v1, 31, v4
	v_ashrrev_i32_e32 v4, 31, v5
	v_lshlrev_b32_e32 v5, 24, v20
	s_waitcnt lgkmcnt(0)
	v_and_b32_e32 v0, v0, v2
	v_xor_b32_e32 v1, s11, v1
	v_xor_b32_e32 v2, s9, v4
	v_cmp_gt_i32_e64 s9, 0, v3
	v_not_b32_e32 v3, v5
	v_ashrrev_i32_e32 v4, 31, v6
	v_and_b32_e32 v0, v0, v1
	v_cmp_gt_i32_e64 s10, 0, v5
	s_barrier
	v_ashrrev_i32_e32 v1, 31, v3
	v_xor_b32_e32 v3, s9, v4
	v_and_b32_e32 v0, v0, v2
	buffer_gl0_inv
	v_xor_b32_e32 v1, s10, v1
	; wave barrier
	v_and_b32_e32 v0, v0, v3
	s_delay_alu instid0(VALU_DEP_1) | instskip(SKIP_1) | instid1(VALU_DEP_2)
	v_and_b32_e32 v0, v0, v1
	v_and_b32_e32 v1, 0xff, v20
	v_mbcnt_lo_u32_b32 v21, v0, 0
	s_delay_alu instid0(VALU_DEP_2) | instskip(SKIP_1) | instid1(VALU_DEP_3)
	v_mad_u32_u24 v1, v1, 10, v18
	v_cmp_ne_u32_e64 s10, 0, v0
	v_cmp_eq_u32_e64 s9, 0, v21
	s_delay_alu instid0(VALU_DEP_3) | instskip(NEXT) | instid1(VALU_DEP_2)
	v_lshl_add_u32 v22, v1, 2, 40
	s_and_b32 s10, s10, s9
	s_delay_alu instid0(SALU_CYCLE_1)
	s_and_saveexec_b32 s9, s10
	s_cbranch_execz .LBB272_4
; %bb.3:                                ;   in Loop: Header=BB272_2 Depth=1
	v_bcnt_u32_b32 v0, v0, 0
	ds_store_b32 v22, v0
.LBB272_4:                              ;   in Loop: Header=BB272_2 Depth=1
	s_or_b32 exec_lo, exec_lo, s9
	; wave barrier
	s_waitcnt lgkmcnt(0)
	s_barrier
	buffer_gl0_inv
	ds_load_2addr_b64 v[4:7], v13 offset0:5 offset1:6
	ds_load_2addr_b64 v[0:3], v15 offset0:2 offset1:3
	s_waitcnt lgkmcnt(1)
	v_add_nc_u32_e32 v23, v5, v4
	s_delay_alu instid0(VALU_DEP_1) | instskip(SKIP_1) | instid1(VALU_DEP_1)
	v_add3_u32 v23, v23, v6, v7
	s_waitcnt lgkmcnt(0)
	v_add3_u32 v23, v23, v0, v1
	s_delay_alu instid0(VALU_DEP_1) | instskip(NEXT) | instid1(VALU_DEP_1)
	v_add3_u32 v3, v23, v2, v3
	v_mov_b32_dpp v23, v3 row_shr:1 row_mask:0xf bank_mask:0xf
	s_delay_alu instid0(VALU_DEP_1) | instskip(NEXT) | instid1(VALU_DEP_1)
	v_cndmask_b32_e64 v23, v23, 0, s0
	v_add_nc_u32_e32 v3, v23, v3
	s_delay_alu instid0(VALU_DEP_1) | instskip(NEXT) | instid1(VALU_DEP_1)
	v_mov_b32_dpp v23, v3 row_shr:2 row_mask:0xf bank_mask:0xf
	v_cndmask_b32_e64 v23, 0, v23, s1
	s_delay_alu instid0(VALU_DEP_1) | instskip(NEXT) | instid1(VALU_DEP_1)
	v_add_nc_u32_e32 v3, v3, v23
	v_mov_b32_dpp v23, v3 row_shr:4 row_mask:0xf bank_mask:0xf
	s_delay_alu instid0(VALU_DEP_1) | instskip(NEXT) | instid1(VALU_DEP_1)
	v_cndmask_b32_e64 v23, 0, v23, s2
	v_add_nc_u32_e32 v3, v3, v23
	s_delay_alu instid0(VALU_DEP_1) | instskip(NEXT) | instid1(VALU_DEP_1)
	v_mov_b32_dpp v23, v3 row_shr:8 row_mask:0xf bank_mask:0xf
	v_cndmask_b32_e64 v23, 0, v23, s3
	s_delay_alu instid0(VALU_DEP_1) | instskip(SKIP_3) | instid1(VALU_DEP_1)
	v_add_nc_u32_e32 v3, v3, v23
	ds_swizzle_b32 v23, v3 offset:swizzle(BROADCAST,32,15)
	s_waitcnt lgkmcnt(0)
	v_cndmask_b32_e64 v23, v23, 0, s4
	v_add_nc_u32_e32 v3, v3, v23
	s_and_saveexec_b32 s9, s8
	s_cbranch_execz .LBB272_6
; %bb.5:                                ;   in Loop: Header=BB272_2 Depth=1
	ds_store_b32 v14, v3
.LBB272_6:                              ;   in Loop: Header=BB272_2 Depth=1
	s_or_b32 exec_lo, exec_lo, s9
	s_waitcnt lgkmcnt(0)
	s_barrier
	buffer_gl0_inv
	s_and_saveexec_b32 s9, s5
	s_cbranch_execz .LBB272_8
; %bb.7:                                ;   in Loop: Header=BB272_2 Depth=1
	ds_load_b32 v23, v19
	s_waitcnt lgkmcnt(0)
	v_mov_b32_dpp v24, v23 row_shr:1 row_mask:0xf bank_mask:0xf
	s_delay_alu instid0(VALU_DEP_1) | instskip(NEXT) | instid1(VALU_DEP_1)
	v_cndmask_b32_e64 v24, v24, 0, s0
	v_add_nc_u32_e32 v23, v24, v23
	s_delay_alu instid0(VALU_DEP_1) | instskip(NEXT) | instid1(VALU_DEP_1)
	v_mov_b32_dpp v24, v23 row_shr:2 row_mask:0xf bank_mask:0xf
	v_cndmask_b32_e64 v24, 0, v24, s1
	s_delay_alu instid0(VALU_DEP_1) | instskip(NEXT) | instid1(VALU_DEP_1)
	v_add_nc_u32_e32 v23, v23, v24
	v_mov_b32_dpp v24, v23 row_shr:4 row_mask:0xf bank_mask:0xf
	s_delay_alu instid0(VALU_DEP_1) | instskip(NEXT) | instid1(VALU_DEP_1)
	v_cndmask_b32_e64 v24, 0, v24, s2
	v_add_nc_u32_e32 v23, v23, v24
	s_delay_alu instid0(VALU_DEP_1) | instskip(NEXT) | instid1(VALU_DEP_1)
	v_mov_b32_dpp v24, v23 row_shr:8 row_mask:0xf bank_mask:0xf
	v_cndmask_b32_e64 v24, 0, v24, s3
	s_delay_alu instid0(VALU_DEP_1)
	v_add_nc_u32_e32 v23, v23, v24
	ds_store_b32 v19, v23
.LBB272_8:                              ;   in Loop: Header=BB272_2 Depth=1
	s_or_b32 exec_lo, exec_lo, s9
	v_mov_b32_e32 v23, 0
	s_waitcnt lgkmcnt(0)
	s_barrier
	buffer_gl0_inv
	s_and_saveexec_b32 s9, s6
	s_cbranch_execz .LBB272_1
; %bb.9:                                ;   in Loop: Header=BB272_2 Depth=1
	ds_load_b32 v23, v17
	s_branch .LBB272_1
.LBB272_10:
	s_add_u32 s0, s18, s12
	s_addc_u32 s1, s19, 0
	v_add_co_u32 v0, s0, s0, v8
	s_waitcnt lgkmcnt(0)
	v_xor_b32_e32 v2, 0x80, v20
	v_add_co_ci_u32_e64 v1, null, s1, 0, s0
	global_store_b8 v[0:1], v2, off
	s_nop 0
	s_sendmsg sendmsg(MSG_DEALLOC_VGPRS)
	s_endpgm
	.section	.rodata,"a",@progbits
	.p2align	6, 0x0
	.amdhsa_kernel _Z16sort_keys_kernelI22helper_blocked_stripedaLj320ELj1ELj10EEvPKT0_PS1_
		.amdhsa_group_segment_fixed_size 10288
		.amdhsa_private_segment_fixed_size 0
		.amdhsa_kernarg_size 272
		.amdhsa_user_sgpr_count 15
		.amdhsa_user_sgpr_dispatch_ptr 0
		.amdhsa_user_sgpr_queue_ptr 0
		.amdhsa_user_sgpr_kernarg_segment_ptr 1
		.amdhsa_user_sgpr_dispatch_id 0
		.amdhsa_user_sgpr_private_segment_size 0
		.amdhsa_wavefront_size32 1
		.amdhsa_uses_dynamic_stack 0
		.amdhsa_enable_private_segment 0
		.amdhsa_system_sgpr_workgroup_id_x 1
		.amdhsa_system_sgpr_workgroup_id_y 0
		.amdhsa_system_sgpr_workgroup_id_z 0
		.amdhsa_system_sgpr_workgroup_info 0
		.amdhsa_system_vgpr_workitem_id 2
		.amdhsa_next_free_vgpr 25
		.amdhsa_next_free_sgpr 20
		.amdhsa_reserve_vcc 1
		.amdhsa_float_round_mode_32 0
		.amdhsa_float_round_mode_16_64 0
		.amdhsa_float_denorm_mode_32 3
		.amdhsa_float_denorm_mode_16_64 3
		.amdhsa_dx10_clamp 1
		.amdhsa_ieee_mode 1
		.amdhsa_fp16_overflow 0
		.amdhsa_workgroup_processor_mode 1
		.amdhsa_memory_ordered 1
		.amdhsa_forward_progress 0
		.amdhsa_shared_vgpr_count 0
		.amdhsa_exception_fp_ieee_invalid_op 0
		.amdhsa_exception_fp_denorm_src 0
		.amdhsa_exception_fp_ieee_div_zero 0
		.amdhsa_exception_fp_ieee_overflow 0
		.amdhsa_exception_fp_ieee_underflow 0
		.amdhsa_exception_fp_ieee_inexact 0
		.amdhsa_exception_int_div_zero 0
	.end_amdhsa_kernel
	.section	.text._Z16sort_keys_kernelI22helper_blocked_stripedaLj320ELj1ELj10EEvPKT0_PS1_,"axG",@progbits,_Z16sort_keys_kernelI22helper_blocked_stripedaLj320ELj1ELj10EEvPKT0_PS1_,comdat
.Lfunc_end272:
	.size	_Z16sort_keys_kernelI22helper_blocked_stripedaLj320ELj1ELj10EEvPKT0_PS1_, .Lfunc_end272-_Z16sort_keys_kernelI22helper_blocked_stripedaLj320ELj1ELj10EEvPKT0_PS1_
                                        ; -- End function
	.section	.AMDGPU.csdata,"",@progbits
; Kernel info:
; codeLenInByte = 1364
; NumSgprs: 22
; NumVgprs: 25
; ScratchSize: 0
; MemoryBound: 0
; FloatMode: 240
; IeeeMode: 1
; LDSByteSize: 10288 bytes/workgroup (compile time only)
; SGPRBlocks: 2
; VGPRBlocks: 3
; NumSGPRsForWavesPerEU: 22
; NumVGPRsForWavesPerEU: 25
; Occupancy: 15
; WaveLimiterHint : 0
; COMPUTE_PGM_RSRC2:SCRATCH_EN: 0
; COMPUTE_PGM_RSRC2:USER_SGPR: 15
; COMPUTE_PGM_RSRC2:TRAP_HANDLER: 0
; COMPUTE_PGM_RSRC2:TGID_X_EN: 1
; COMPUTE_PGM_RSRC2:TGID_Y_EN: 0
; COMPUTE_PGM_RSRC2:TGID_Z_EN: 0
; COMPUTE_PGM_RSRC2:TIDIG_COMP_CNT: 2
	.section	.text._Z17sort_pairs_kernelI22helper_blocked_stripedaLj320ELj1ELj10EEvPKT0_PS1_,"axG",@progbits,_Z17sort_pairs_kernelI22helper_blocked_stripedaLj320ELj1ELj10EEvPKT0_PS1_,comdat
	.protected	_Z17sort_pairs_kernelI22helper_blocked_stripedaLj320ELj1ELj10EEvPKT0_PS1_ ; -- Begin function _Z17sort_pairs_kernelI22helper_blocked_stripedaLj320ELj1ELj10EEvPKT0_PS1_
	.globl	_Z17sort_pairs_kernelI22helper_blocked_stripedaLj320ELj1ELj10EEvPKT0_PS1_
	.p2align	8
	.type	_Z17sort_pairs_kernelI22helper_blocked_stripedaLj320ELj1ELj10EEvPKT0_PS1_,@function
_Z17sort_pairs_kernelI22helper_blocked_stripedaLj320ELj1ELj10EEvPKT0_PS1_: ; @_Z17sort_pairs_kernelI22helper_blocked_stripedaLj320ELj1ELj10EEvPKT0_PS1_
; %bb.0:
	s_clause 0x1
	s_load_b128 s[16:19], s[0:1], 0x0
	s_load_b32 s8, s[0:1], 0x1c
	s_mul_i32 s12, s15, 0x140
	v_and_b32_e32 v8, 0x3ff, v0
	v_mbcnt_lo_u32_b32 v1, -1, 0
	v_bfe_u32 v3, v0, 10, 10
	v_bfe_u32 v0, v0, 20, 10
	s_mov_b32 s13, 10
	s_delay_alu instid0(VALU_DEP_3) | instskip(SKIP_3) | instid1(VALU_DEP_3)
	v_and_b32_e32 v4, 15, v1
	v_add_nc_u32_e32 v6, -1, v1
	v_cmp_eq_u32_e32 vcc_lo, 0, v1
	v_and_b32_e32 v5, 16, v1
	v_cmp_gt_i32_e64 s7, 0, v6
	s_delay_alu instid0(VALU_DEP_2)
	v_cmp_eq_u32_e64 s4, 0, v5
	s_waitcnt lgkmcnt(0)
	s_add_u32 s0, s16, s12
	s_addc_u32 s1, s17, 0
	s_lshr_b32 s9, s8, 16
	global_load_u8 v2, v8, s[0:1]
	s_mov_b32 s0, 0
	v_mad_u32_u24 v3, v0, s9, v3
	s_mov_b32 s1, s0
	s_mov_b32 s3, s0
	;; [unrolled: 1-line block ×3, first 2 shown]
	v_mov_b32_e32 v10, s1
	v_dual_mov_b32 v12, s3 :: v_dual_mov_b32 v9, s0
	v_mov_b32_e32 v11, s2
	v_cmp_eq_u32_e64 s0, 0, v4
	v_cmp_lt_u32_e64 s1, 1, v4
	v_cmp_lt_u32_e64 s2, 3, v4
	v_cmp_lt_u32_e64 s3, 7, v4
	v_and_b32_e32 v4, 0x1e0, v8
	v_cndmask_b32_e64 v5, v6, v1, s7
	v_lshrrev_b32_e32 v6, 3, v8
	s_and_b32 s8, s8, 0xffff
	v_lshlrev_b32_e32 v13, 5, v8
	v_min_u32_e32 v4, 0x120, v4
	v_mad_u64_u32 v[0:1], null, v3, s8, v[8:9]
	v_and_b32_e32 v14, 60, v6
	v_mul_u32_u24_e32 v3, 3, v8
	s_delay_alu instid0(VALU_DEP_4)
	v_or_b32_e32 v1, 31, v4
	v_cmp_gt_u32_e64 s5, 10, v8
	v_cmp_lt_u32_e64 s6, 31, v8
	v_cmp_eq_u32_e64 s7, 0, v8
	v_add_nc_u32_e32 v15, 40, v13
	v_lshlrev_b32_e32 v16, 2, v5
	v_add_nc_u32_e32 v17, -4, v14
	v_cmp_eq_u32_e64 s8, v1, v8
	v_lshrrev_b32_e32 v18, 5, v0
	v_add_nc_u32_e32 v19, v8, v3
	s_waitcnt vmcnt(0)
	v_add_nc_u16 v20, v2, 1
	v_xor_b32_e32 v21, 0xffffff80, v2
	s_branch .LBB273_2
.LBB273_1:                              ;   in Loop: Header=BB273_2 Depth=1
	s_or_b32 exec_lo, exec_lo, s9
	s_waitcnt lgkmcnt(0)
	v_add_nc_u32_e32 v3, v24, v3
	s_add_i32 s13, s13, -1
	s_delay_alu instid0(SALU_CYCLE_1) | instskip(SKIP_3) | instid1(VALU_DEP_1)
	s_cmp_lg_u32 s13, 0
	ds_bpermute_b32 v3, v16, v3
	s_waitcnt lgkmcnt(0)
	v_cndmask_b32_e32 v3, v3, v24, vcc_lo
	v_cndmask_b32_e64 v3, v3, 0, s7
	s_delay_alu instid0(VALU_DEP_1) | instskip(NEXT) | instid1(VALU_DEP_1)
	v_add_nc_u32_e32 v4, v3, v4
	v_add_nc_u32_e32 v5, v4, v5
	s_delay_alu instid0(VALU_DEP_1) | instskip(NEXT) | instid1(VALU_DEP_1)
	v_add_nc_u32_e32 v6, v5, v6
	v_add_nc_u32_e32 v24, v6, v7
	;; [unrolled: 3-line block ×3, first 2 shown]
	s_delay_alu instid0(VALU_DEP_1)
	v_add_nc_u32_e32 v1, v0, v2
	ds_store_2addr_b64 v13, v[3:4], v[5:6] offset0:5 offset1:6
	ds_store_2addr_b64 v15, v[24:25], v[0:1] offset0:2 offset1:3
	s_waitcnt lgkmcnt(0)
	s_barrier
	buffer_gl0_inv
	ds_load_b32 v0, v23
	s_waitcnt lgkmcnt(0)
	s_barrier
	buffer_gl0_inv
	v_add_nc_u32_e32 v0, v0, v22
	ds_store_b8 v0, v21
	s_waitcnt lgkmcnt(0)
	s_barrier
	buffer_gl0_inv
	ds_load_u8 v21, v8
	s_waitcnt lgkmcnt(0)
	s_barrier
	buffer_gl0_inv
	ds_store_b8 v0, v20
	s_waitcnt lgkmcnt(0)
	s_barrier
	buffer_gl0_inv
	ds_load_u8 v20, v8
	s_cbranch_scc0 .LBB273_10
.LBB273_2:                              ; =>This Inner Loop Header: Depth=1
	s_delay_alu instid0(VALU_DEP_1)
	v_and_b32_e32 v0, 1, v21
	v_lshlrev_b32_e32 v1, 30, v21
	v_lshlrev_b32_e32 v2, 29, v21
	;; [unrolled: 1-line block ×4, first 2 shown]
	v_add_co_u32 v0, s9, v0, -1
	s_delay_alu instid0(VALU_DEP_1)
	v_cndmask_b32_e64 v3, 0, 1, s9
	v_not_b32_e32 v7, v1
	v_cmp_gt_i32_e64 s10, 0, v1
	v_not_b32_e32 v1, v2
	v_lshlrev_b32_e32 v6, 26, v21
	v_cmp_ne_u32_e64 s9, 0, v3
	v_ashrrev_i32_e32 v7, 31, v7
	v_lshlrev_b32_e32 v3, 25, v21
	v_ashrrev_i32_e32 v1, 31, v1
	v_cmp_gt_i32_e64 s11, 0, v5
	v_xor_b32_e32 v0, s9, v0
	v_cmp_gt_i32_e64 s9, 0, v2
	v_not_b32_e32 v2, v4
	v_xor_b32_e32 v7, s10, v7
	v_cmp_gt_i32_e64 s10, 0, v4
	v_and_b32_e32 v0, exec_lo, v0
	v_xor_b32_e32 v1, s9, v1
	v_ashrrev_i32_e32 v2, 31, v2
	v_not_b32_e32 v4, v5
	v_not_b32_e32 v5, v6
	v_and_b32_e32 v0, v0, v7
	v_cmp_gt_i32_e64 s9, 0, v6
	v_xor_b32_e32 v2, s10, v2
	v_not_b32_e32 v6, v3
	ds_store_2addr_b64 v13, v[9:10], v[11:12] offset0:5 offset1:6
	ds_store_2addr_b64 v15, v[9:10], v[11:12] offset0:2 offset1:3
	v_and_b32_e32 v0, v0, v1
	v_ashrrev_i32_e32 v1, 31, v4
	v_ashrrev_i32_e32 v4, 31, v5
	v_lshlrev_b32_e32 v5, 24, v21
	s_waitcnt lgkmcnt(0)
	v_and_b32_e32 v0, v0, v2
	v_xor_b32_e32 v1, s11, v1
	v_xor_b32_e32 v2, s9, v4
	v_cmp_gt_i32_e64 s9, 0, v3
	v_not_b32_e32 v3, v5
	v_ashrrev_i32_e32 v4, 31, v6
	v_and_b32_e32 v0, v0, v1
	v_cmp_gt_i32_e64 s10, 0, v5
	s_barrier
	v_ashrrev_i32_e32 v1, 31, v3
	v_xor_b32_e32 v3, s9, v4
	v_and_b32_e32 v0, v0, v2
	buffer_gl0_inv
	v_xor_b32_e32 v1, s10, v1
	; wave barrier
	v_and_b32_e32 v0, v0, v3
	s_delay_alu instid0(VALU_DEP_1) | instskip(SKIP_1) | instid1(VALU_DEP_2)
	v_and_b32_e32 v0, v0, v1
	v_and_b32_e32 v1, 0xff, v21
	v_mbcnt_lo_u32_b32 v22, v0, 0
	s_delay_alu instid0(VALU_DEP_2) | instskip(SKIP_1) | instid1(VALU_DEP_3)
	v_mad_u32_u24 v1, v1, 10, v18
	v_cmp_ne_u32_e64 s10, 0, v0
	v_cmp_eq_u32_e64 s9, 0, v22
	s_delay_alu instid0(VALU_DEP_3) | instskip(NEXT) | instid1(VALU_DEP_2)
	v_lshl_add_u32 v23, v1, 2, 40
	s_and_b32 s10, s10, s9
	s_delay_alu instid0(SALU_CYCLE_1)
	s_and_saveexec_b32 s9, s10
	s_cbranch_execz .LBB273_4
; %bb.3:                                ;   in Loop: Header=BB273_2 Depth=1
	v_bcnt_u32_b32 v0, v0, 0
	ds_store_b32 v23, v0
.LBB273_4:                              ;   in Loop: Header=BB273_2 Depth=1
	s_or_b32 exec_lo, exec_lo, s9
	; wave barrier
	s_waitcnt lgkmcnt(0)
	s_barrier
	buffer_gl0_inv
	ds_load_2addr_b64 v[4:7], v13 offset0:5 offset1:6
	ds_load_2addr_b64 v[0:3], v15 offset0:2 offset1:3
	s_waitcnt lgkmcnt(1)
	v_add_nc_u32_e32 v24, v5, v4
	s_delay_alu instid0(VALU_DEP_1) | instskip(SKIP_1) | instid1(VALU_DEP_1)
	v_add3_u32 v24, v24, v6, v7
	s_waitcnt lgkmcnt(0)
	v_add3_u32 v24, v24, v0, v1
	s_delay_alu instid0(VALU_DEP_1) | instskip(NEXT) | instid1(VALU_DEP_1)
	v_add3_u32 v3, v24, v2, v3
	v_mov_b32_dpp v24, v3 row_shr:1 row_mask:0xf bank_mask:0xf
	s_delay_alu instid0(VALU_DEP_1) | instskip(NEXT) | instid1(VALU_DEP_1)
	v_cndmask_b32_e64 v24, v24, 0, s0
	v_add_nc_u32_e32 v3, v24, v3
	s_delay_alu instid0(VALU_DEP_1) | instskip(NEXT) | instid1(VALU_DEP_1)
	v_mov_b32_dpp v24, v3 row_shr:2 row_mask:0xf bank_mask:0xf
	v_cndmask_b32_e64 v24, 0, v24, s1
	s_delay_alu instid0(VALU_DEP_1) | instskip(NEXT) | instid1(VALU_DEP_1)
	v_add_nc_u32_e32 v3, v3, v24
	v_mov_b32_dpp v24, v3 row_shr:4 row_mask:0xf bank_mask:0xf
	s_delay_alu instid0(VALU_DEP_1) | instskip(NEXT) | instid1(VALU_DEP_1)
	v_cndmask_b32_e64 v24, 0, v24, s2
	v_add_nc_u32_e32 v3, v3, v24
	s_delay_alu instid0(VALU_DEP_1) | instskip(NEXT) | instid1(VALU_DEP_1)
	v_mov_b32_dpp v24, v3 row_shr:8 row_mask:0xf bank_mask:0xf
	v_cndmask_b32_e64 v24, 0, v24, s3
	s_delay_alu instid0(VALU_DEP_1) | instskip(SKIP_3) | instid1(VALU_DEP_1)
	v_add_nc_u32_e32 v3, v3, v24
	ds_swizzle_b32 v24, v3 offset:swizzle(BROADCAST,32,15)
	s_waitcnt lgkmcnt(0)
	v_cndmask_b32_e64 v24, v24, 0, s4
	v_add_nc_u32_e32 v3, v3, v24
	s_and_saveexec_b32 s9, s8
	s_cbranch_execz .LBB273_6
; %bb.5:                                ;   in Loop: Header=BB273_2 Depth=1
	ds_store_b32 v14, v3
.LBB273_6:                              ;   in Loop: Header=BB273_2 Depth=1
	s_or_b32 exec_lo, exec_lo, s9
	s_waitcnt lgkmcnt(0)
	s_barrier
	buffer_gl0_inv
	s_and_saveexec_b32 s9, s5
	s_cbranch_execz .LBB273_8
; %bb.7:                                ;   in Loop: Header=BB273_2 Depth=1
	ds_load_b32 v24, v19
	s_waitcnt lgkmcnt(0)
	v_mov_b32_dpp v25, v24 row_shr:1 row_mask:0xf bank_mask:0xf
	s_delay_alu instid0(VALU_DEP_1) | instskip(NEXT) | instid1(VALU_DEP_1)
	v_cndmask_b32_e64 v25, v25, 0, s0
	v_add_nc_u32_e32 v24, v25, v24
	s_delay_alu instid0(VALU_DEP_1) | instskip(NEXT) | instid1(VALU_DEP_1)
	v_mov_b32_dpp v25, v24 row_shr:2 row_mask:0xf bank_mask:0xf
	v_cndmask_b32_e64 v25, 0, v25, s1
	s_delay_alu instid0(VALU_DEP_1) | instskip(NEXT) | instid1(VALU_DEP_1)
	v_add_nc_u32_e32 v24, v24, v25
	v_mov_b32_dpp v25, v24 row_shr:4 row_mask:0xf bank_mask:0xf
	s_delay_alu instid0(VALU_DEP_1) | instskip(NEXT) | instid1(VALU_DEP_1)
	v_cndmask_b32_e64 v25, 0, v25, s2
	v_add_nc_u32_e32 v24, v24, v25
	s_delay_alu instid0(VALU_DEP_1) | instskip(NEXT) | instid1(VALU_DEP_1)
	v_mov_b32_dpp v25, v24 row_shr:8 row_mask:0xf bank_mask:0xf
	v_cndmask_b32_e64 v25, 0, v25, s3
	s_delay_alu instid0(VALU_DEP_1)
	v_add_nc_u32_e32 v24, v24, v25
	ds_store_b32 v19, v24
.LBB273_8:                              ;   in Loop: Header=BB273_2 Depth=1
	s_or_b32 exec_lo, exec_lo, s9
	v_mov_b32_e32 v24, 0
	s_waitcnt lgkmcnt(0)
	s_barrier
	buffer_gl0_inv
	s_and_saveexec_b32 s9, s6
	s_cbranch_execz .LBB273_1
; %bb.9:                                ;   in Loop: Header=BB273_2 Depth=1
	ds_load_b32 v24, v17
	s_branch .LBB273_1
.LBB273_10:
	s_waitcnt lgkmcnt(0)
	v_add_nc_u16 v0, v20, v21
	s_add_u32 s0, s18, s12
	s_addc_u32 s1, s19, 0
	s_delay_alu instid0(VALU_DEP_1) | instskip(SKIP_1) | instid1(VALU_DEP_1)
	v_add_nc_u16 v2, v0, 0xff80
	v_add_co_u32 v0, s0, s0, v8
	v_add_co_ci_u32_e64 v1, null, s1, 0, s0
	global_store_b8 v[0:1], v2, off
	s_nop 0
	s_sendmsg sendmsg(MSG_DEALLOC_VGPRS)
	s_endpgm
	.section	.rodata,"a",@progbits
	.p2align	6, 0x0
	.amdhsa_kernel _Z17sort_pairs_kernelI22helper_blocked_stripedaLj320ELj1ELj10EEvPKT0_PS1_
		.amdhsa_group_segment_fixed_size 10288
		.amdhsa_private_segment_fixed_size 0
		.amdhsa_kernarg_size 272
		.amdhsa_user_sgpr_count 15
		.amdhsa_user_sgpr_dispatch_ptr 0
		.amdhsa_user_sgpr_queue_ptr 0
		.amdhsa_user_sgpr_kernarg_segment_ptr 1
		.amdhsa_user_sgpr_dispatch_id 0
		.amdhsa_user_sgpr_private_segment_size 0
		.amdhsa_wavefront_size32 1
		.amdhsa_uses_dynamic_stack 0
		.amdhsa_enable_private_segment 0
		.amdhsa_system_sgpr_workgroup_id_x 1
		.amdhsa_system_sgpr_workgroup_id_y 0
		.amdhsa_system_sgpr_workgroup_id_z 0
		.amdhsa_system_sgpr_workgroup_info 0
		.amdhsa_system_vgpr_workitem_id 2
		.amdhsa_next_free_vgpr 26
		.amdhsa_next_free_sgpr 20
		.amdhsa_reserve_vcc 1
		.amdhsa_float_round_mode_32 0
		.amdhsa_float_round_mode_16_64 0
		.amdhsa_float_denorm_mode_32 3
		.amdhsa_float_denorm_mode_16_64 3
		.amdhsa_dx10_clamp 1
		.amdhsa_ieee_mode 1
		.amdhsa_fp16_overflow 0
		.amdhsa_workgroup_processor_mode 1
		.amdhsa_memory_ordered 1
		.amdhsa_forward_progress 0
		.amdhsa_shared_vgpr_count 0
		.amdhsa_exception_fp_ieee_invalid_op 0
		.amdhsa_exception_fp_denorm_src 0
		.amdhsa_exception_fp_ieee_div_zero 0
		.amdhsa_exception_fp_ieee_overflow 0
		.amdhsa_exception_fp_ieee_underflow 0
		.amdhsa_exception_fp_ieee_inexact 0
		.amdhsa_exception_int_div_zero 0
	.end_amdhsa_kernel
	.section	.text._Z17sort_pairs_kernelI22helper_blocked_stripedaLj320ELj1ELj10EEvPKT0_PS1_,"axG",@progbits,_Z17sort_pairs_kernelI22helper_blocked_stripedaLj320ELj1ELj10EEvPKT0_PS1_,comdat
.Lfunc_end273:
	.size	_Z17sort_pairs_kernelI22helper_blocked_stripedaLj320ELj1ELj10EEvPKT0_PS1_, .Lfunc_end273-_Z17sort_pairs_kernelI22helper_blocked_stripedaLj320ELj1ELj10EEvPKT0_PS1_
                                        ; -- End function
	.section	.AMDGPU.csdata,"",@progbits
; Kernel info:
; codeLenInByte = 1432
; NumSgprs: 22
; NumVgprs: 26
; ScratchSize: 0
; MemoryBound: 0
; FloatMode: 240
; IeeeMode: 1
; LDSByteSize: 10288 bytes/workgroup (compile time only)
; SGPRBlocks: 2
; VGPRBlocks: 3
; NumSGPRsForWavesPerEU: 22
; NumVGPRsForWavesPerEU: 26
; Occupancy: 15
; WaveLimiterHint : 0
; COMPUTE_PGM_RSRC2:SCRATCH_EN: 0
; COMPUTE_PGM_RSRC2:USER_SGPR: 15
; COMPUTE_PGM_RSRC2:TRAP_HANDLER: 0
; COMPUTE_PGM_RSRC2:TGID_X_EN: 1
; COMPUTE_PGM_RSRC2:TGID_Y_EN: 0
; COMPUTE_PGM_RSRC2:TGID_Z_EN: 0
; COMPUTE_PGM_RSRC2:TIDIG_COMP_CNT: 2
	.section	.text._Z16sort_keys_kernelI22helper_blocked_stripedaLj320ELj3ELj10EEvPKT0_PS1_,"axG",@progbits,_Z16sort_keys_kernelI22helper_blocked_stripedaLj320ELj3ELj10EEvPKT0_PS1_,comdat
	.protected	_Z16sort_keys_kernelI22helper_blocked_stripedaLj320ELj3ELj10EEvPKT0_PS1_ ; -- Begin function _Z16sort_keys_kernelI22helper_blocked_stripedaLj320ELj3ELj10EEvPKT0_PS1_
	.globl	_Z16sort_keys_kernelI22helper_blocked_stripedaLj320ELj3ELj10EEvPKT0_PS1_
	.p2align	8
	.type	_Z16sort_keys_kernelI22helper_blocked_stripedaLj320ELj3ELj10EEvPKT0_PS1_,@function
_Z16sort_keys_kernelI22helper_blocked_stripedaLj320ELj3ELj10EEvPKT0_PS1_: ; @_Z16sort_keys_kernelI22helper_blocked_stripedaLj320ELj3ELj10EEvPKT0_PS1_
; %bb.0:
	s_clause 0x1
	s_load_b128 s[16:19], s[0:1], 0x0
	s_load_b32 s8, s[0:1], 0x1c
	v_and_b32_e32 v8, 0x3ff, v0
	s_mul_i32 s11, s15, 0x3c0
	v_mbcnt_lo_u32_b32 v4, -1, 0
	v_bfe_u32 v6, v0, 10, 10
	v_bfe_u32 v0, v0, 20, 10
	v_mul_u32_u24_e32 v2, 3, v8
	s_mov_b32 s12, 10
	v_add_nc_u32_e32 v15, -1, v4
	v_mul_u32_u24_e32 v5, 3, v4
	v_and_b32_e32 v14, 16, v4
	v_cmp_eq_u32_e32 vcc_lo, 0, v4
	v_and_b32_e32 v7, 15, v4
	v_cmp_gt_i32_e64 s7, 0, v15
	s_delay_alu instid0(VALU_DEP_4) | instskip(NEXT) | instid1(VALU_DEP_2)
	v_cmp_eq_u32_e64 s4, 0, v14
	v_cndmask_b32_e64 v17, v15, v4, s7
	s_waitcnt lgkmcnt(0)
	s_add_u32 s0, s16, s11
	s_addc_u32 s1, s17, 0
	s_clause 0x1
	global_load_u16 v1, v2, s[0:1]
	global_load_u8 v3, v2, s[0:1] offset:2
	s_mov_b32 s0, 0
	s_lshr_b32 s9, s8, 16
	s_mov_b32 s3, s0
	s_mov_b32 s2, s0
	v_mov_b32_e32 v12, s3
	s_mov_b32 s1, s0
	s_delay_alu instid0(SALU_CYCLE_1)
	v_dual_mov_b32 v11, s2 :: v_dual_mov_b32 v10, s1
	v_mov_b32_e32 v9, s0
	v_lshrrev_b32_e32 v16, 5, v8
	v_cmp_eq_u32_e64 s0, 0, v7
	v_cmp_lt_u32_e64 s1, 1, v7
	v_cmp_lt_u32_e64 s2, 3, v7
	;; [unrolled: 1-line block ×3, first 2 shown]
	v_and_b32_e32 v7, 0x1e0, v8
	v_mad_u32_u24 v6, v0, s9, v6
	v_mul_u32_u24_e32 v19, 0x60, v16
	s_and_b32 s8, s8, 0xffff
	v_lshlrev_b32_e32 v13, 5, v8
	v_min_u32_e32 v7, 0x120, v7
	v_cmp_gt_u32_e64 s5, 10, v8
	v_cmp_lt_u32_e64 s6, 31, v8
	v_cmp_eq_u32_e64 s7, 0, v8
	v_add_nc_u32_e32 v14, 40, v13
	v_add_nc_u32_e32 v21, v8, v2
	s_waitcnt vmcnt(1)
	v_lshrrev_b32_e32 v15, 8, v1
	v_and_b32_e32 v1, 0xff, v1
	s_delay_alu instid0(VALU_DEP_2)
	v_lshlrev_b16 v18, 8, v15
	v_lshlrev_b32_e32 v15, 2, v16
	v_lshlrev_b32_e32 v16, 2, v17
	v_or_b32_e32 v17, v4, v19
	v_add_nc_u32_e32 v19, v5, v19
	v_or_b32_e32 v18, v1, v18
	v_mad_u64_u32 v[0:1], null, v6, s8, v[8:9]
	v_or_b32_e32 v1, 31, v7
	s_delay_alu instid0(VALU_DEP_3) | instskip(SKIP_1) | instid1(VALU_DEP_3)
	v_and_b32_e32 v4, 0xffff, v18
	v_add_nc_u32_e32 v18, -4, v15
	v_cmp_eq_u32_e64 s8, v1, v8
	v_lshrrev_b32_e32 v20, 5, v0
	s_waitcnt vmcnt(0)
	v_lshl_or_b32 v3, v3, 16, v4
	s_branch .LBB274_2
.LBB274_1:                              ;   in Loop: Header=BB274_2 Depth=1
	s_or_b32 exec_lo, exec_lo, s9
	s_waitcnt lgkmcnt(0)
	v_add_nc_u32_e32 v3, v33, v3
	s_add_i32 s12, s12, -1
	s_delay_alu instid0(SALU_CYCLE_1) | instskip(SKIP_3) | instid1(VALU_DEP_1)
	s_cmp_eq_u32 s12, 0
	ds_bpermute_b32 v3, v16, v3
	s_waitcnt lgkmcnt(0)
	v_cndmask_b32_e32 v3, v3, v33, vcc_lo
	v_cndmask_b32_e64 v3, v3, 0, s7
	s_delay_alu instid0(VALU_DEP_1) | instskip(NEXT) | instid1(VALU_DEP_1)
	v_add_nc_u32_e32 v4, v3, v4
	v_add_nc_u32_e32 v5, v4, v5
	s_delay_alu instid0(VALU_DEP_1) | instskip(NEXT) | instid1(VALU_DEP_1)
	v_add_nc_u32_e32 v6, v5, v6
	v_add_nc_u32_e32 v33, v6, v7
	;; [unrolled: 3-line block ×3, first 2 shown]
	s_delay_alu instid0(VALU_DEP_1)
	v_add_nc_u32_e32 v1, v0, v2
	ds_store_2addr_b64 v13, v[3:4], v[5:6] offset0:5 offset1:6
	ds_store_2addr_b64 v14, v[33:34], v[0:1] offset0:2 offset1:3
	s_waitcnt lgkmcnt(0)
	s_barrier
	buffer_gl0_inv
	ds_load_b32 v0, v26
	ds_load_b32 v1, v29
	;; [unrolled: 1-line block ×3, first 2 shown]
	s_waitcnt lgkmcnt(0)
	s_barrier
	buffer_gl0_inv
	v_add_nc_u32_e32 v0, v0, v25
	v_add3_u32 v1, v28, v27, v1
	v_add3_u32 v2, v31, v30, v2
	ds_store_b8 v0, v22
	ds_store_b8 v1, v23
	;; [unrolled: 1-line block ×3, first 2 shown]
	s_waitcnt lgkmcnt(0)
	s_barrier
	buffer_gl0_inv
	ds_load_u8 v0, v8 offset:320
	ds_load_u8 v1, v8
	ds_load_u8 v3, v8 offset:640
	s_waitcnt lgkmcnt(2)
	v_xor_b32_e32 v0, 0xffffff80, v0
	s_waitcnt lgkmcnt(1)
	v_xor_b32_e32 v2, 0xffffff80, v1
	;; [unrolled: 2-line block ×3, first 2 shown]
	v_lshlrev_b16 v3, 8, v0
	s_delay_alu instid0(VALU_DEP_3) | instskip(NEXT) | instid1(VALU_DEP_3)
	v_and_b32_e32 v4, 0xff, v2
	v_and_b32_e32 v5, 0xff, v1
	s_delay_alu instid0(VALU_DEP_2) | instskip(NEXT) | instid1(VALU_DEP_2)
	v_or_b32_e32 v3, v4, v3
	v_lshlrev_b32_e32 v4, 16, v5
	s_delay_alu instid0(VALU_DEP_2) | instskip(NEXT) | instid1(VALU_DEP_1)
	v_and_b32_e32 v3, 0xffff, v3
	v_or_b32_e32 v3, v3, v4
	s_cbranch_scc1 .LBB274_14
.LBB274_2:                              ; =>This Inner Loop Header: Depth=1
	s_delay_alu instid0(VALU_DEP_1) | instskip(SKIP_2) | instid1(VALU_DEP_3)
	v_lshrrev_b32_e32 v0, 8, v3
	v_lshrrev_b32_e32 v1, 16, v3
	v_xor_b32_e32 v2, 0x80, v3
	v_xor_b32_e32 v0, 0x80, v0
	s_delay_alu instid0(VALU_DEP_3)
	v_xor_b32_e32 v1, 0x80, v1
	ds_store_b8 v19, v2
	ds_store_b8 v19, v0 offset:1
	ds_store_b8 v19, v1 offset:2
	; wave barrier
	ds_load_u8 v22, v17
	ds_load_u8 v23, v17 offset:32
	ds_load_u8 v24, v17 offset:64
	; wave barrier
	; wave barrier
	s_waitcnt lgkmcnt(0)
	s_barrier
	buffer_gl0_inv
	ds_store_2addr_b64 v13, v[9:10], v[11:12] offset0:5 offset1:6
	ds_store_2addr_b64 v14, v[9:10], v[11:12] offset0:2 offset1:3
	s_waitcnt lgkmcnt(0)
	s_barrier
	buffer_gl0_inv
	; wave barrier
	v_and_b32_e32 v0, 1, v22
	v_lshlrev_b32_e32 v1, 30, v22
	v_lshlrev_b32_e32 v2, 29, v22
	;; [unrolled: 1-line block ×4, first 2 shown]
	v_add_co_u32 v0, s9, v0, -1
	s_delay_alu instid0(VALU_DEP_1)
	v_cndmask_b32_e64 v4, 0, 1, s9
	v_not_b32_e32 v25, v1
	v_cmp_gt_i32_e64 s10, 0, v1
	v_not_b32_e32 v1, v2
	v_lshlrev_b32_e32 v6, 26, v22
	v_cmp_ne_u32_e64 s9, 0, v4
	v_ashrrev_i32_e32 v25, 31, v25
	v_lshlrev_b32_e32 v7, 25, v22
	v_ashrrev_i32_e32 v1, 31, v1
	v_lshlrev_b32_e32 v4, 24, v22
	v_xor_b32_e32 v0, s9, v0
	v_cmp_gt_i32_e64 s9, 0, v2
	v_not_b32_e32 v2, v3
	v_xor_b32_e32 v25, s10, v25
	v_cmp_gt_i32_e64 s10, 0, v3
	v_and_b32_e32 v0, exec_lo, v0
	v_not_b32_e32 v3, v5
	v_ashrrev_i32_e32 v2, 31, v2
	v_xor_b32_e32 v1, s9, v1
	v_cmp_gt_i32_e64 s9, 0, v5
	v_and_b32_e32 v0, v0, v25
	v_not_b32_e32 v5, v6
	v_ashrrev_i32_e32 v3, 31, v3
	v_xor_b32_e32 v2, s10, v2
	v_cmp_gt_i32_e64 s10, 0, v6
	v_and_b32_e32 v0, v0, v1
	;; [unrolled: 5-line block ×4, first 2 shown]
	v_ashrrev_i32_e32 v2, 31, v2
	v_xor_b32_e32 v1, s9, v1
	s_delay_alu instid0(VALU_DEP_3) | instskip(NEXT) | instid1(VALU_DEP_3)
	v_and_b32_e32 v0, v0, v5
	v_xor_b32_e32 v2, s10, v2
	s_delay_alu instid0(VALU_DEP_2) | instskip(SKIP_1) | instid1(VALU_DEP_2)
	v_and_b32_e32 v0, v0, v1
	v_and_b32_e32 v1, 0xff, v22
	;; [unrolled: 1-line block ×3, first 2 shown]
	s_delay_alu instid0(VALU_DEP_2) | instskip(NEXT) | instid1(VALU_DEP_2)
	v_mad_u32_u24 v1, v1, 10, v20
	v_mbcnt_lo_u32_b32 v25, v0, 0
	v_cmp_ne_u32_e64 s10, 0, v0
	s_delay_alu instid0(VALU_DEP_3) | instskip(NEXT) | instid1(VALU_DEP_3)
	v_lshl_add_u32 v26, v1, 2, 40
	v_cmp_eq_u32_e64 s9, 0, v25
	s_delay_alu instid0(VALU_DEP_1) | instskip(NEXT) | instid1(SALU_CYCLE_1)
	s_and_b32 s10, s10, s9
	s_and_saveexec_b32 s9, s10
	s_cbranch_execz .LBB274_4
; %bb.3:                                ;   in Loop: Header=BB274_2 Depth=1
	v_bcnt_u32_b32 v0, v0, 0
	ds_store_b32 v26, v0
.LBB274_4:                              ;   in Loop: Header=BB274_2 Depth=1
	s_or_b32 exec_lo, exec_lo, s9
	v_and_b32_e32 v0, 1, v23
	v_lshlrev_b32_e32 v2, 30, v23
	v_lshlrev_b32_e32 v4, 29, v23
	;; [unrolled: 1-line block ×4, first 2 shown]
	v_add_co_u32 v0, s9, v0, -1
	s_delay_alu instid0(VALU_DEP_1)
	v_cndmask_b32_e64 v3, 0, 1, s9
	v_not_b32_e32 v7, v2
	v_cmp_gt_i32_e64 s10, 0, v2
	v_not_b32_e32 v2, v4
	v_and_b32_e32 v1, 0xff, v23
	v_cmp_ne_u32_e64 s9, 0, v3
	v_ashrrev_i32_e32 v7, 31, v7
	v_lshlrev_b32_e32 v3, 26, v23
	v_ashrrev_i32_e32 v2, 31, v2
	v_mul_u32_u24_e32 v1, 10, v1
	v_xor_b32_e32 v0, s9, v0
	v_cmp_gt_i32_e64 s9, 0, v4
	v_not_b32_e32 v4, v5
	v_xor_b32_e32 v7, s10, v7
	v_cmp_gt_i32_e64 s10, 0, v5
	v_and_b32_e32 v0, exec_lo, v0
	v_not_b32_e32 v5, v6
	v_ashrrev_i32_e32 v4, 31, v4
	v_xor_b32_e32 v2, s9, v2
	v_cmp_gt_i32_e64 s9, 0, v6
	v_and_b32_e32 v0, v0, v7
	v_lshlrev_b32_e32 v7, 25, v23
	v_ashrrev_i32_e32 v5, 31, v5
	v_xor_b32_e32 v4, s10, v4
	v_not_b32_e32 v6, v3
	v_and_b32_e32 v0, v0, v2
	v_lshlrev_b32_e32 v2, 24, v23
	v_not_b32_e32 v27, v7
	v_xor_b32_e32 v5, s9, v5
	v_cmp_gt_i32_e64 s9, 0, v3
	v_and_b32_e32 v0, v0, v4
	v_ashrrev_i32_e32 v3, 31, v6
	v_cmp_gt_i32_e64 s10, 0, v7
	v_ashrrev_i32_e32 v4, 31, v27
	v_add_lshl_u32 v1, v20, v1, 2
	v_and_b32_e32 v0, v0, v5
	v_not_b32_e32 v5, v2
	v_xor_b32_e32 v3, s9, v3
	v_xor_b32_e32 v4, s10, v4
	v_cmp_gt_i32_e64 s9, 0, v2
	s_delay_alu instid0(VALU_DEP_4) | instskip(NEXT) | instid1(VALU_DEP_4)
	v_ashrrev_i32_e32 v2, 31, v5
	v_and_b32_e32 v0, v0, v3
	; wave barrier
	ds_load_b32 v27, v1 offset:40
	v_add_nc_u32_e32 v29, 40, v1
	v_xor_b32_e32 v2, s9, v2
	v_and_b32_e32 v0, v0, v4
	; wave barrier
	s_delay_alu instid0(VALU_DEP_1) | instskip(NEXT) | instid1(VALU_DEP_1)
	v_and_b32_e32 v0, v0, v2
	v_mbcnt_lo_u32_b32 v28, v0, 0
	v_cmp_ne_u32_e64 s10, 0, v0
	s_delay_alu instid0(VALU_DEP_2) | instskip(NEXT) | instid1(VALU_DEP_1)
	v_cmp_eq_u32_e64 s9, 0, v28
	s_and_b32 s10, s10, s9
	s_delay_alu instid0(SALU_CYCLE_1)
	s_and_saveexec_b32 s9, s10
	s_cbranch_execz .LBB274_6
; %bb.5:                                ;   in Loop: Header=BB274_2 Depth=1
	s_waitcnt lgkmcnt(0)
	v_bcnt_u32_b32 v0, v0, v27
	ds_store_b32 v29, v0
.LBB274_6:                              ;   in Loop: Header=BB274_2 Depth=1
	s_or_b32 exec_lo, exec_lo, s9
	v_and_b32_e32 v0, 1, v24
	v_lshlrev_b32_e32 v2, 30, v24
	v_lshlrev_b32_e32 v4, 29, v24
	v_lshlrev_b32_e32 v5, 28, v24
	v_lshlrev_b32_e32 v6, 27, v24
	v_add_co_u32 v0, s9, v0, -1
	s_delay_alu instid0(VALU_DEP_1)
	v_cndmask_b32_e64 v3, 0, 1, s9
	v_not_b32_e32 v7, v2
	v_cmp_gt_i32_e64 s10, 0, v2
	v_not_b32_e32 v2, v4
	v_and_b32_e32 v1, 0xff, v24
	v_cmp_ne_u32_e64 s9, 0, v3
	v_ashrrev_i32_e32 v7, 31, v7
	v_lshlrev_b32_e32 v3, 26, v24
	v_ashrrev_i32_e32 v2, 31, v2
	v_mul_u32_u24_e32 v1, 10, v1
	v_xor_b32_e32 v0, s9, v0
	v_cmp_gt_i32_e64 s9, 0, v4
	v_not_b32_e32 v4, v5
	v_xor_b32_e32 v7, s10, v7
	v_cmp_gt_i32_e64 s10, 0, v5
	v_and_b32_e32 v0, exec_lo, v0
	v_not_b32_e32 v5, v6
	v_ashrrev_i32_e32 v4, 31, v4
	v_xor_b32_e32 v2, s9, v2
	v_cmp_gt_i32_e64 s9, 0, v6
	v_and_b32_e32 v0, v0, v7
	v_lshlrev_b32_e32 v7, 25, v24
	v_ashrrev_i32_e32 v5, 31, v5
	v_xor_b32_e32 v4, s10, v4
	v_not_b32_e32 v6, v3
	v_and_b32_e32 v0, v0, v2
	v_lshlrev_b32_e32 v2, 24, v24
	v_not_b32_e32 v30, v7
	v_xor_b32_e32 v5, s9, v5
	v_cmp_gt_i32_e64 s9, 0, v3
	v_and_b32_e32 v0, v0, v4
	v_ashrrev_i32_e32 v3, 31, v6
	v_cmp_gt_i32_e64 s10, 0, v7
	v_ashrrev_i32_e32 v4, 31, v30
	v_add_lshl_u32 v1, v20, v1, 2
	v_and_b32_e32 v0, v0, v5
	v_not_b32_e32 v5, v2
	v_xor_b32_e32 v3, s9, v3
	v_xor_b32_e32 v4, s10, v4
	v_cmp_gt_i32_e64 s9, 0, v2
	s_delay_alu instid0(VALU_DEP_4) | instskip(NEXT) | instid1(VALU_DEP_4)
	v_ashrrev_i32_e32 v2, 31, v5
	v_and_b32_e32 v0, v0, v3
	; wave barrier
	ds_load_b32 v30, v1 offset:40
	v_add_nc_u32_e32 v32, 40, v1
	v_xor_b32_e32 v2, s9, v2
	v_and_b32_e32 v0, v0, v4
	; wave barrier
	s_delay_alu instid0(VALU_DEP_1) | instskip(NEXT) | instid1(VALU_DEP_1)
	v_and_b32_e32 v0, v0, v2
	v_mbcnt_lo_u32_b32 v31, v0, 0
	v_cmp_ne_u32_e64 s10, 0, v0
	s_delay_alu instid0(VALU_DEP_2) | instskip(NEXT) | instid1(VALU_DEP_1)
	v_cmp_eq_u32_e64 s9, 0, v31
	s_and_b32 s10, s10, s9
	s_delay_alu instid0(SALU_CYCLE_1)
	s_and_saveexec_b32 s9, s10
	s_cbranch_execz .LBB274_8
; %bb.7:                                ;   in Loop: Header=BB274_2 Depth=1
	s_waitcnt lgkmcnt(0)
	v_bcnt_u32_b32 v0, v0, v30
	ds_store_b32 v32, v0
.LBB274_8:                              ;   in Loop: Header=BB274_2 Depth=1
	s_or_b32 exec_lo, exec_lo, s9
	; wave barrier
	s_waitcnt lgkmcnt(0)
	s_barrier
	buffer_gl0_inv
	ds_load_2addr_b64 v[4:7], v13 offset0:5 offset1:6
	ds_load_2addr_b64 v[0:3], v14 offset0:2 offset1:3
	s_waitcnt lgkmcnt(1)
	v_add_nc_u32_e32 v33, v5, v4
	s_delay_alu instid0(VALU_DEP_1) | instskip(SKIP_1) | instid1(VALU_DEP_1)
	v_add3_u32 v33, v33, v6, v7
	s_waitcnt lgkmcnt(0)
	v_add3_u32 v33, v33, v0, v1
	s_delay_alu instid0(VALU_DEP_1) | instskip(NEXT) | instid1(VALU_DEP_1)
	v_add3_u32 v3, v33, v2, v3
	v_mov_b32_dpp v33, v3 row_shr:1 row_mask:0xf bank_mask:0xf
	s_delay_alu instid0(VALU_DEP_1) | instskip(NEXT) | instid1(VALU_DEP_1)
	v_cndmask_b32_e64 v33, v33, 0, s0
	v_add_nc_u32_e32 v3, v33, v3
	s_delay_alu instid0(VALU_DEP_1) | instskip(NEXT) | instid1(VALU_DEP_1)
	v_mov_b32_dpp v33, v3 row_shr:2 row_mask:0xf bank_mask:0xf
	v_cndmask_b32_e64 v33, 0, v33, s1
	s_delay_alu instid0(VALU_DEP_1) | instskip(NEXT) | instid1(VALU_DEP_1)
	v_add_nc_u32_e32 v3, v3, v33
	v_mov_b32_dpp v33, v3 row_shr:4 row_mask:0xf bank_mask:0xf
	s_delay_alu instid0(VALU_DEP_1) | instskip(NEXT) | instid1(VALU_DEP_1)
	v_cndmask_b32_e64 v33, 0, v33, s2
	v_add_nc_u32_e32 v3, v3, v33
	s_delay_alu instid0(VALU_DEP_1) | instskip(NEXT) | instid1(VALU_DEP_1)
	v_mov_b32_dpp v33, v3 row_shr:8 row_mask:0xf bank_mask:0xf
	v_cndmask_b32_e64 v33, 0, v33, s3
	s_delay_alu instid0(VALU_DEP_1) | instskip(SKIP_3) | instid1(VALU_DEP_1)
	v_add_nc_u32_e32 v3, v3, v33
	ds_swizzle_b32 v33, v3 offset:swizzle(BROADCAST,32,15)
	s_waitcnt lgkmcnt(0)
	v_cndmask_b32_e64 v33, v33, 0, s4
	v_add_nc_u32_e32 v3, v3, v33
	s_and_saveexec_b32 s9, s8
	s_cbranch_execz .LBB274_10
; %bb.9:                                ;   in Loop: Header=BB274_2 Depth=1
	ds_store_b32 v15, v3
.LBB274_10:                             ;   in Loop: Header=BB274_2 Depth=1
	s_or_b32 exec_lo, exec_lo, s9
	s_waitcnt lgkmcnt(0)
	s_barrier
	buffer_gl0_inv
	s_and_saveexec_b32 s9, s5
	s_cbranch_execz .LBB274_12
; %bb.11:                               ;   in Loop: Header=BB274_2 Depth=1
	ds_load_b32 v33, v21
	s_waitcnt lgkmcnt(0)
	v_mov_b32_dpp v34, v33 row_shr:1 row_mask:0xf bank_mask:0xf
	s_delay_alu instid0(VALU_DEP_1) | instskip(NEXT) | instid1(VALU_DEP_1)
	v_cndmask_b32_e64 v34, v34, 0, s0
	v_add_nc_u32_e32 v33, v34, v33
	s_delay_alu instid0(VALU_DEP_1) | instskip(NEXT) | instid1(VALU_DEP_1)
	v_mov_b32_dpp v34, v33 row_shr:2 row_mask:0xf bank_mask:0xf
	v_cndmask_b32_e64 v34, 0, v34, s1
	s_delay_alu instid0(VALU_DEP_1) | instskip(NEXT) | instid1(VALU_DEP_1)
	v_add_nc_u32_e32 v33, v33, v34
	v_mov_b32_dpp v34, v33 row_shr:4 row_mask:0xf bank_mask:0xf
	s_delay_alu instid0(VALU_DEP_1) | instskip(NEXT) | instid1(VALU_DEP_1)
	v_cndmask_b32_e64 v34, 0, v34, s2
	v_add_nc_u32_e32 v33, v33, v34
	s_delay_alu instid0(VALU_DEP_1) | instskip(NEXT) | instid1(VALU_DEP_1)
	v_mov_b32_dpp v34, v33 row_shr:8 row_mask:0xf bank_mask:0xf
	v_cndmask_b32_e64 v34, 0, v34, s3
	s_delay_alu instid0(VALU_DEP_1)
	v_add_nc_u32_e32 v33, v33, v34
	ds_store_b32 v21, v33
.LBB274_12:                             ;   in Loop: Header=BB274_2 Depth=1
	s_or_b32 exec_lo, exec_lo, s9
	v_mov_b32_e32 v33, 0
	s_waitcnt lgkmcnt(0)
	s_barrier
	buffer_gl0_inv
	s_and_saveexec_b32 s9, s6
	s_cbranch_execz .LBB274_1
; %bb.13:                               ;   in Loop: Header=BB274_2 Depth=1
	ds_load_b32 v33, v18
	s_branch .LBB274_1
.LBB274_14:
	s_add_u32 s0, s18, s11
	s_addc_u32 s1, s19, 0
	s_clause 0x2
	global_store_b8 v8, v2, s[0:1]
	global_store_b8 v8, v0, s[0:1] offset:320
	global_store_b8 v8, v1, s[0:1] offset:640
	s_nop 0
	s_sendmsg sendmsg(MSG_DEALLOC_VGPRS)
	s_endpgm
	.section	.rodata,"a",@progbits
	.p2align	6, 0x0
	.amdhsa_kernel _Z16sort_keys_kernelI22helper_blocked_stripedaLj320ELj3ELj10EEvPKT0_PS1_
		.amdhsa_group_segment_fixed_size 10288
		.amdhsa_private_segment_fixed_size 0
		.amdhsa_kernarg_size 272
		.amdhsa_user_sgpr_count 15
		.amdhsa_user_sgpr_dispatch_ptr 0
		.amdhsa_user_sgpr_queue_ptr 0
		.amdhsa_user_sgpr_kernarg_segment_ptr 1
		.amdhsa_user_sgpr_dispatch_id 0
		.amdhsa_user_sgpr_private_segment_size 0
		.amdhsa_wavefront_size32 1
		.amdhsa_uses_dynamic_stack 0
		.amdhsa_enable_private_segment 0
		.amdhsa_system_sgpr_workgroup_id_x 1
		.amdhsa_system_sgpr_workgroup_id_y 0
		.amdhsa_system_sgpr_workgroup_id_z 0
		.amdhsa_system_sgpr_workgroup_info 0
		.amdhsa_system_vgpr_workitem_id 2
		.amdhsa_next_free_vgpr 35
		.amdhsa_next_free_sgpr 20
		.amdhsa_reserve_vcc 1
		.amdhsa_float_round_mode_32 0
		.amdhsa_float_round_mode_16_64 0
		.amdhsa_float_denorm_mode_32 3
		.amdhsa_float_denorm_mode_16_64 3
		.amdhsa_dx10_clamp 1
		.amdhsa_ieee_mode 1
		.amdhsa_fp16_overflow 0
		.amdhsa_workgroup_processor_mode 1
		.amdhsa_memory_ordered 1
		.amdhsa_forward_progress 0
		.amdhsa_shared_vgpr_count 0
		.amdhsa_exception_fp_ieee_invalid_op 0
		.amdhsa_exception_fp_denorm_src 0
		.amdhsa_exception_fp_ieee_div_zero 0
		.amdhsa_exception_fp_ieee_overflow 0
		.amdhsa_exception_fp_ieee_underflow 0
		.amdhsa_exception_fp_ieee_inexact 0
		.amdhsa_exception_int_div_zero 0
	.end_amdhsa_kernel
	.section	.text._Z16sort_keys_kernelI22helper_blocked_stripedaLj320ELj3ELj10EEvPKT0_PS1_,"axG",@progbits,_Z16sort_keys_kernelI22helper_blocked_stripedaLj320ELj3ELj10EEvPKT0_PS1_,comdat
.Lfunc_end274:
	.size	_Z16sort_keys_kernelI22helper_blocked_stripedaLj320ELj3ELj10EEvPKT0_PS1_, .Lfunc_end274-_Z16sort_keys_kernelI22helper_blocked_stripedaLj320ELj3ELj10EEvPKT0_PS1_
                                        ; -- End function
	.section	.AMDGPU.csdata,"",@progbits
; Kernel info:
; codeLenInByte = 2372
; NumSgprs: 22
; NumVgprs: 35
; ScratchSize: 0
; MemoryBound: 0
; FloatMode: 240
; IeeeMode: 1
; LDSByteSize: 10288 bytes/workgroup (compile time only)
; SGPRBlocks: 2
; VGPRBlocks: 4
; NumSGPRsForWavesPerEU: 22
; NumVGPRsForWavesPerEU: 35
; Occupancy: 15
; WaveLimiterHint : 1
; COMPUTE_PGM_RSRC2:SCRATCH_EN: 0
; COMPUTE_PGM_RSRC2:USER_SGPR: 15
; COMPUTE_PGM_RSRC2:TRAP_HANDLER: 0
; COMPUTE_PGM_RSRC2:TGID_X_EN: 1
; COMPUTE_PGM_RSRC2:TGID_Y_EN: 0
; COMPUTE_PGM_RSRC2:TGID_Z_EN: 0
; COMPUTE_PGM_RSRC2:TIDIG_COMP_CNT: 2
	.section	.text._Z17sort_pairs_kernelI22helper_blocked_stripedaLj320ELj3ELj10EEvPKT0_PS1_,"axG",@progbits,_Z17sort_pairs_kernelI22helper_blocked_stripedaLj320ELj3ELj10EEvPKT0_PS1_,comdat
	.protected	_Z17sort_pairs_kernelI22helper_blocked_stripedaLj320ELj3ELj10EEvPKT0_PS1_ ; -- Begin function _Z17sort_pairs_kernelI22helper_blocked_stripedaLj320ELj3ELj10EEvPKT0_PS1_
	.globl	_Z17sort_pairs_kernelI22helper_blocked_stripedaLj320ELj3ELj10EEvPKT0_PS1_
	.p2align	8
	.type	_Z17sort_pairs_kernelI22helper_blocked_stripedaLj320ELj3ELj10EEvPKT0_PS1_,@function
_Z17sort_pairs_kernelI22helper_blocked_stripedaLj320ELj3ELj10EEvPKT0_PS1_: ; @_Z17sort_pairs_kernelI22helper_blocked_stripedaLj320ELj3ELj10EEvPKT0_PS1_
; %bb.0:
	s_clause 0x1
	s_load_b128 s[16:19], s[0:1], 0x0
	s_load_b32 s8, s[0:1], 0x1c
	v_and_b32_e32 v8, 0x3ff, v0
	s_mul_i32 s11, s15, 0x3c0
	v_mbcnt_lo_u32_b32 v4, -1, 0
	v_bfe_u32 v6, v0, 10, 10
	v_bfe_u32 v0, v0, 20, 10
	v_mul_u32_u24_e32 v2, 3, v8
	s_mov_b32 s12, 10
	v_add_nc_u32_e32 v15, -1, v4
	v_mul_u32_u24_e32 v5, 3, v4
	v_and_b32_e32 v14, 16, v4
	v_cmp_eq_u32_e32 vcc_lo, 0, v4
	v_and_b32_e32 v7, 15, v4
	v_cmp_gt_i32_e64 s7, 0, v15
	s_delay_alu instid0(VALU_DEP_4) | instskip(NEXT) | instid1(VALU_DEP_2)
	v_cmp_eq_u32_e64 s4, 0, v14
	v_cndmask_b32_e64 v15, v15, v4, s7
	s_waitcnt lgkmcnt(0)
	s_add_u32 s0, s16, s11
	s_addc_u32 s1, s17, 0
	s_clause 0x1
	global_load_u16 v1, v2, s[0:1]
	global_load_i8 v3, v2, s[0:1] offset:2
	s_mov_b32 s0, 0
	s_lshr_b32 s9, s8, 16
	s_mov_b32 s3, s0
	s_mov_b32 s2, s0
	v_mov_b32_e32 v12, s3
	s_mov_b32 s1, s0
	s_delay_alu instid0(SALU_CYCLE_1)
	v_dual_mov_b32 v11, s2 :: v_dual_mov_b32 v10, s1
	v_mov_b32_e32 v9, s0
	v_lshrrev_b32_e32 v16, 5, v8
	v_cmp_eq_u32_e64 s0, 0, v7
	v_cmp_lt_u32_e64 s1, 1, v7
	v_cmp_lt_u32_e64 s2, 3, v7
	;; [unrolled: 1-line block ×3, first 2 shown]
	v_and_b32_e32 v7, 0x1e0, v8
	v_mul_u32_u24_e32 v19, 0x60, v16
	v_mad_u32_u24 v6, v0, s9, v6
	s_and_b32 s8, s8, 0xffff
	v_lshlrev_b32_e32 v13, 5, v8
	v_min_u32_e32 v7, 0x120, v7
	v_or_b32_e32 v17, v4, v19
	v_lshlrev_b32_e32 v16, 2, v16
	v_cmp_gt_u32_e64 s5, 10, v8
	v_cmp_lt_u32_e64 s6, 31, v8
	v_or_b32_e32 v4, 31, v7
	v_cmp_eq_u32_e64 s7, 0, v8
	v_add_nc_u32_e32 v14, 40, v13
	v_lshlrev_b32_e32 v15, 2, v15
	v_add_nc_u32_e32 v19, v5, v19
	s_waitcnt vmcnt(1)
	v_lshrrev_b32_e32 v18, 8, v1
	v_add_nc_u16 v20, v1, 1
	s_waitcnt vmcnt(0)
	v_add_nc_u16 v21, v3, 1
	s_delay_alu instid0(VALU_DEP_3) | instskip(NEXT) | instid1(VALU_DEP_3)
	v_lshlrev_b16 v7, 8, v18
	v_and_b32_e32 v18, 0xff, v20
	v_and_b32_e32 v20, 0xff, v1
	v_mad_u64_u32 v[0:1], null, v6, s8, v[8:9]
	v_and_b32_e32 v1, 0xff, v3
	s_delay_alu instid0(VALU_DEP_4)
	v_or_b32_e32 v18, v7, v18
	v_and_b32_e32 v3, 0xff, v21
	v_or_b32_e32 v6, v20, v7
	v_cmp_eq_u32_e64 s8, v4, v8
	v_lshlrev_b32_e32 v1, 16, v1
	v_add_nc_u16 v7, v18, 0x100
	v_lshlrev_b32_e32 v3, 16, v3
	v_and_b32_e32 v6, 0xffff, v6
	v_add_nc_u32_e32 v18, -4, v16
	v_lshrrev_b32_e32 v20, 5, v0
	v_and_b32_e32 v21, 0xffff, v7
	s_delay_alu instid0(VALU_DEP_4) | instskip(NEXT) | instid1(VALU_DEP_2)
	v_or_b32_e32 v7, v6, v1
	v_or_b32_e32 v0, v21, v3
	v_add_nc_u32_e32 v21, v8, v2
	s_branch .LBB275_2
.LBB275_1:                              ;   in Loop: Header=BB275_2 Depth=1
	s_or_b32 exec_lo, exec_lo, s9
	s_waitcnt lgkmcnt(0)
	v_add_nc_u32_e32 v3, v36, v3
	s_add_i32 s12, s12, -1
	s_delay_alu instid0(SALU_CYCLE_1) | instskip(SKIP_3) | instid1(VALU_DEP_1)
	s_cmp_eq_u32 s12, 0
	ds_bpermute_b32 v3, v15, v3
	s_waitcnt lgkmcnt(0)
	v_cndmask_b32_e32 v3, v3, v36, vcc_lo
	v_cndmask_b32_e64 v3, v3, 0, s7
	s_delay_alu instid0(VALU_DEP_1) | instskip(NEXT) | instid1(VALU_DEP_1)
	v_add_nc_u32_e32 v4, v3, v4
	v_add_nc_u32_e32 v5, v4, v5
	s_delay_alu instid0(VALU_DEP_1) | instskip(NEXT) | instid1(VALU_DEP_1)
	v_add_nc_u32_e32 v6, v5, v6
	v_add_nc_u32_e32 v36, v6, v7
	;; [unrolled: 3-line block ×3, first 2 shown]
	s_delay_alu instid0(VALU_DEP_1)
	v_add_nc_u32_e32 v1, v0, v2
	ds_store_2addr_b64 v13, v[3:4], v[5:6] offset0:5 offset1:6
	ds_store_2addr_b64 v14, v[36:37], v[0:1] offset0:2 offset1:3
	s_waitcnt lgkmcnt(0)
	s_barrier
	buffer_gl0_inv
	ds_load_b32 v0, v29
	ds_load_b32 v1, v32
	;; [unrolled: 1-line block ×3, first 2 shown]
	s_waitcnt lgkmcnt(0)
	s_barrier
	buffer_gl0_inv
	v_add_nc_u32_e32 v0, v0, v28
	v_add3_u32 v1, v31, v30, v1
	v_add3_u32 v2, v34, v33, v2
	ds_store_b8 v0, v22
	ds_store_b8 v1, v23
	;; [unrolled: 1-line block ×3, first 2 shown]
	s_waitcnt lgkmcnt(0)
	s_barrier
	buffer_gl0_inv
	ds_load_u8 v5, v8
	ds_load_u8 v4, v8 offset:320
	ds_load_u8 v6, v8 offset:640
	s_waitcnt lgkmcnt(0)
	s_barrier
	buffer_gl0_inv
	ds_store_b8 v0, v25
	ds_store_b8 v1, v26
	;; [unrolled: 1-line block ×3, first 2 shown]
	s_waitcnt lgkmcnt(0)
	s_barrier
	buffer_gl0_inv
	ds_load_u8 v1, v8 offset:320
	ds_load_u8 v3, v8
	ds_load_u8 v2, v8 offset:640
	v_xor_b32_e32 v5, 0xffffff80, v5
	v_xor_b32_e32 v4, 0xffffff80, v4
	;; [unrolled: 1-line block ×3, first 2 shown]
	s_delay_alu instid0(VALU_DEP_3) | instskip(NEXT) | instid1(VALU_DEP_3)
	v_and_b32_e32 v22, 0xff, v5
	v_lshlrev_b16 v7, 8, v4
	s_delay_alu instid0(VALU_DEP_3) | instskip(SKIP_2) | instid1(VALU_DEP_3)
	v_and_b32_e32 v23, 0xff, v6
	s_waitcnt lgkmcnt(2)
	v_lshlrev_b16 v0, 8, v1
	v_or_b32_e32 v7, v22, v7
	s_waitcnt lgkmcnt(0)
	v_lshlrev_b32_e32 v22, 16, v2
	s_delay_alu instid0(VALU_DEP_3) | instskip(SKIP_2) | instid1(VALU_DEP_3)
	v_or_b32_e32 v0, v3, v0
	v_lshlrev_b32_e32 v23, 16, v23
	v_and_b32_e32 v7, 0xffff, v7
	v_and_b32_e32 v0, 0xffff, v0
	s_delay_alu instid0(VALU_DEP_2) | instskip(NEXT) | instid1(VALU_DEP_2)
	v_or_b32_e32 v7, v7, v23
	v_or_b32_e32 v0, v0, v22
	s_cbranch_scc1 .LBB275_14
.LBB275_2:                              ; =>This Inner Loop Header: Depth=1
	s_delay_alu instid0(VALU_DEP_2) | instskip(SKIP_2) | instid1(VALU_DEP_3)
	v_lshrrev_b32_e32 v1, 8, v7
	v_lshrrev_b32_e32 v2, 16, v7
	v_xor_b32_e32 v3, 0x80, v7
	v_xor_b32_e32 v1, 0x80, v1
	s_delay_alu instid0(VALU_DEP_3)
	v_xor_b32_e32 v2, 0x80, v2
	ds_store_b8 v19, v3
	ds_store_b8 v19, v1 offset:1
	ds_store_b8 v19, v2 offset:2
	; wave barrier
	ds_load_u8 v22, v17
	v_lshrrev_b32_e32 v1, 8, v0
	ds_load_u8 v23, v17 offset:32
	ds_load_u8 v24, v17 offset:64
	; wave barrier
	ds_store_b8 v19, v0
	ds_store_b8 v19, v1 offset:1
	ds_store_b8_d16_hi v19, v0 offset:2
	; wave barrier
	s_waitcnt lgkmcnt(5)
	v_and_b32_e32 v2, 1, v22
	v_lshlrev_b32_e32 v3, 30, v22
	v_lshlrev_b32_e32 v4, 29, v22
	;; [unrolled: 1-line block ×4, first 2 shown]
	v_add_co_u32 v2, s9, v2, -1
	s_delay_alu instid0(VALU_DEP_1)
	v_cndmask_b32_e64 v6, 0, 1, s9
	v_not_b32_e32 v27, v3
	v_cmp_gt_i32_e64 s10, 0, v3
	v_not_b32_e32 v3, v4
	v_lshlrev_b32_e32 v25, 26, v22
	v_cmp_ne_u32_e64 s9, 0, v6
	v_ashrrev_i32_e32 v27, 31, v27
	v_lshlrev_b32_e32 v26, 25, v22
	v_ashrrev_i32_e32 v3, 31, v3
	v_lshlrev_b32_e32 v6, 24, v22
	v_xor_b32_e32 v2, s9, v2
	v_cmp_gt_i32_e64 s9, 0, v4
	v_not_b32_e32 v4, v5
	v_xor_b32_e32 v27, s10, v27
	v_cmp_gt_i32_e64 s10, 0, v5
	v_and_b32_e32 v2, exec_lo, v2
	v_not_b32_e32 v5, v7
	v_ashrrev_i32_e32 v4, 31, v4
	v_xor_b32_e32 v3, s9, v3
	v_cmp_gt_i32_e64 s9, 0, v7
	v_and_b32_e32 v2, v2, v27
	v_not_b32_e32 v7, v25
	v_ashrrev_i32_e32 v5, 31, v5
	v_xor_b32_e32 v4, s10, v4
	v_cmp_gt_i32_e64 s10, 0, v25
	v_and_b32_e32 v2, v2, v3
	;; [unrolled: 5-line block ×4, first 2 shown]
	v_ashrrev_i32_e32 v4, 31, v4
	v_xor_b32_e32 v3, s9, v3
	ds_load_u8 v25, v17
	ds_load_u8 v26, v17 offset:32
	ds_load_u8 v27, v17 offset:64
	s_waitcnt lgkmcnt(0)
	v_and_b32_e32 v2, v2, v7
	v_xor_b32_e32 v0, s10, v4
	s_barrier
	buffer_gl0_inv
	ds_store_2addr_b64 v13, v[9:10], v[11:12] offset0:5 offset1:6
	ds_store_2addr_b64 v14, v[9:10], v[11:12] offset0:2 offset1:3
	v_and_b32_e32 v1, v2, v3
	s_waitcnt lgkmcnt(0)
	s_barrier
	buffer_gl0_inv
	v_and_b32_e32 v0, v1, v0
	v_and_b32_e32 v1, 0xff, v22
	; wave barrier
	s_delay_alu instid0(VALU_DEP_2) | instskip(NEXT) | instid1(VALU_DEP_2)
	v_mbcnt_lo_u32_b32 v28, v0, 0
	v_mad_u32_u24 v1, v1, 10, v20
	v_cmp_ne_u32_e64 s10, 0, v0
	s_delay_alu instid0(VALU_DEP_3) | instskip(NEXT) | instid1(VALU_DEP_3)
	v_cmp_eq_u32_e64 s9, 0, v28
	v_lshl_add_u32 v29, v1, 2, 40
	s_delay_alu instid0(VALU_DEP_2) | instskip(NEXT) | instid1(SALU_CYCLE_1)
	s_and_b32 s10, s10, s9
	s_and_saveexec_b32 s9, s10
	s_cbranch_execz .LBB275_4
; %bb.3:                                ;   in Loop: Header=BB275_2 Depth=1
	v_bcnt_u32_b32 v0, v0, 0
	ds_store_b32 v29, v0
.LBB275_4:                              ;   in Loop: Header=BB275_2 Depth=1
	s_or_b32 exec_lo, exec_lo, s9
	v_and_b32_e32 v0, 1, v23
	v_lshlrev_b32_e32 v2, 30, v23
	v_lshlrev_b32_e32 v4, 29, v23
	;; [unrolled: 1-line block ×4, first 2 shown]
	v_add_co_u32 v0, s9, v0, -1
	s_delay_alu instid0(VALU_DEP_1)
	v_cndmask_b32_e64 v3, 0, 1, s9
	v_not_b32_e32 v7, v2
	v_cmp_gt_i32_e64 s10, 0, v2
	v_not_b32_e32 v2, v4
	v_and_b32_e32 v1, 0xff, v23
	v_cmp_ne_u32_e64 s9, 0, v3
	v_ashrrev_i32_e32 v7, 31, v7
	v_lshlrev_b32_e32 v3, 26, v23
	v_ashrrev_i32_e32 v2, 31, v2
	v_mul_u32_u24_e32 v1, 10, v1
	v_xor_b32_e32 v0, s9, v0
	v_cmp_gt_i32_e64 s9, 0, v4
	v_not_b32_e32 v4, v5
	v_xor_b32_e32 v7, s10, v7
	v_cmp_gt_i32_e64 s10, 0, v5
	v_and_b32_e32 v0, exec_lo, v0
	v_not_b32_e32 v5, v6
	v_ashrrev_i32_e32 v4, 31, v4
	v_xor_b32_e32 v2, s9, v2
	v_cmp_gt_i32_e64 s9, 0, v6
	v_and_b32_e32 v0, v0, v7
	v_lshlrev_b32_e32 v7, 25, v23
	v_ashrrev_i32_e32 v5, 31, v5
	v_xor_b32_e32 v4, s10, v4
	v_not_b32_e32 v6, v3
	v_and_b32_e32 v0, v0, v2
	v_lshlrev_b32_e32 v2, 24, v23
	v_not_b32_e32 v30, v7
	v_xor_b32_e32 v5, s9, v5
	v_cmp_gt_i32_e64 s9, 0, v3
	v_and_b32_e32 v0, v0, v4
	v_ashrrev_i32_e32 v3, 31, v6
	v_cmp_gt_i32_e64 s10, 0, v7
	v_ashrrev_i32_e32 v4, 31, v30
	v_add_lshl_u32 v1, v20, v1, 2
	v_and_b32_e32 v0, v0, v5
	v_not_b32_e32 v5, v2
	v_xor_b32_e32 v3, s9, v3
	v_xor_b32_e32 v4, s10, v4
	v_cmp_gt_i32_e64 s9, 0, v2
	s_delay_alu instid0(VALU_DEP_4) | instskip(NEXT) | instid1(VALU_DEP_4)
	v_ashrrev_i32_e32 v2, 31, v5
	v_and_b32_e32 v0, v0, v3
	; wave barrier
	ds_load_b32 v30, v1 offset:40
	v_add_nc_u32_e32 v32, 40, v1
	v_xor_b32_e32 v2, s9, v2
	v_and_b32_e32 v0, v0, v4
	; wave barrier
	s_delay_alu instid0(VALU_DEP_1) | instskip(NEXT) | instid1(VALU_DEP_1)
	v_and_b32_e32 v0, v0, v2
	v_mbcnt_lo_u32_b32 v31, v0, 0
	v_cmp_ne_u32_e64 s10, 0, v0
	s_delay_alu instid0(VALU_DEP_2) | instskip(NEXT) | instid1(VALU_DEP_1)
	v_cmp_eq_u32_e64 s9, 0, v31
	s_and_b32 s10, s10, s9
	s_delay_alu instid0(SALU_CYCLE_1)
	s_and_saveexec_b32 s9, s10
	s_cbranch_execz .LBB275_6
; %bb.5:                                ;   in Loop: Header=BB275_2 Depth=1
	s_waitcnt lgkmcnt(0)
	v_bcnt_u32_b32 v0, v0, v30
	ds_store_b32 v32, v0
.LBB275_6:                              ;   in Loop: Header=BB275_2 Depth=1
	s_or_b32 exec_lo, exec_lo, s9
	v_and_b32_e32 v0, 1, v24
	v_lshlrev_b32_e32 v2, 30, v24
	v_lshlrev_b32_e32 v4, 29, v24
	v_lshlrev_b32_e32 v5, 28, v24
	v_lshlrev_b32_e32 v6, 27, v24
	v_add_co_u32 v0, s9, v0, -1
	s_delay_alu instid0(VALU_DEP_1)
	v_cndmask_b32_e64 v3, 0, 1, s9
	v_not_b32_e32 v7, v2
	v_cmp_gt_i32_e64 s10, 0, v2
	v_not_b32_e32 v2, v4
	v_and_b32_e32 v1, 0xff, v24
	v_cmp_ne_u32_e64 s9, 0, v3
	v_ashrrev_i32_e32 v7, 31, v7
	v_lshlrev_b32_e32 v3, 26, v24
	v_ashrrev_i32_e32 v2, 31, v2
	v_mul_u32_u24_e32 v1, 10, v1
	v_xor_b32_e32 v0, s9, v0
	v_cmp_gt_i32_e64 s9, 0, v4
	v_not_b32_e32 v4, v5
	v_xor_b32_e32 v7, s10, v7
	v_cmp_gt_i32_e64 s10, 0, v5
	v_and_b32_e32 v0, exec_lo, v0
	v_not_b32_e32 v5, v6
	v_ashrrev_i32_e32 v4, 31, v4
	v_xor_b32_e32 v2, s9, v2
	v_cmp_gt_i32_e64 s9, 0, v6
	v_and_b32_e32 v0, v0, v7
	v_lshlrev_b32_e32 v7, 25, v24
	v_ashrrev_i32_e32 v5, 31, v5
	v_xor_b32_e32 v4, s10, v4
	v_not_b32_e32 v6, v3
	v_and_b32_e32 v0, v0, v2
	v_lshlrev_b32_e32 v2, 24, v24
	v_not_b32_e32 v33, v7
	v_xor_b32_e32 v5, s9, v5
	v_cmp_gt_i32_e64 s9, 0, v3
	v_and_b32_e32 v0, v0, v4
	v_ashrrev_i32_e32 v3, 31, v6
	v_cmp_gt_i32_e64 s10, 0, v7
	v_ashrrev_i32_e32 v4, 31, v33
	v_add_lshl_u32 v1, v20, v1, 2
	v_and_b32_e32 v0, v0, v5
	v_not_b32_e32 v5, v2
	v_xor_b32_e32 v3, s9, v3
	v_xor_b32_e32 v4, s10, v4
	v_cmp_gt_i32_e64 s9, 0, v2
	s_delay_alu instid0(VALU_DEP_4) | instskip(NEXT) | instid1(VALU_DEP_4)
	v_ashrrev_i32_e32 v2, 31, v5
	v_and_b32_e32 v0, v0, v3
	; wave barrier
	ds_load_b32 v33, v1 offset:40
	v_add_nc_u32_e32 v35, 40, v1
	v_xor_b32_e32 v2, s9, v2
	v_and_b32_e32 v0, v0, v4
	; wave barrier
	s_delay_alu instid0(VALU_DEP_1) | instskip(NEXT) | instid1(VALU_DEP_1)
	v_and_b32_e32 v0, v0, v2
	v_mbcnt_lo_u32_b32 v34, v0, 0
	v_cmp_ne_u32_e64 s10, 0, v0
	s_delay_alu instid0(VALU_DEP_2) | instskip(NEXT) | instid1(VALU_DEP_1)
	v_cmp_eq_u32_e64 s9, 0, v34
	s_and_b32 s10, s10, s9
	s_delay_alu instid0(SALU_CYCLE_1)
	s_and_saveexec_b32 s9, s10
	s_cbranch_execz .LBB275_8
; %bb.7:                                ;   in Loop: Header=BB275_2 Depth=1
	s_waitcnt lgkmcnt(0)
	v_bcnt_u32_b32 v0, v0, v33
	ds_store_b32 v35, v0
.LBB275_8:                              ;   in Loop: Header=BB275_2 Depth=1
	s_or_b32 exec_lo, exec_lo, s9
	; wave barrier
	s_waitcnt lgkmcnt(0)
	s_barrier
	buffer_gl0_inv
	ds_load_2addr_b64 v[4:7], v13 offset0:5 offset1:6
	ds_load_2addr_b64 v[0:3], v14 offset0:2 offset1:3
	s_waitcnt lgkmcnt(1)
	v_add_nc_u32_e32 v36, v5, v4
	s_delay_alu instid0(VALU_DEP_1) | instskip(SKIP_1) | instid1(VALU_DEP_1)
	v_add3_u32 v36, v36, v6, v7
	s_waitcnt lgkmcnt(0)
	v_add3_u32 v36, v36, v0, v1
	s_delay_alu instid0(VALU_DEP_1) | instskip(NEXT) | instid1(VALU_DEP_1)
	v_add3_u32 v3, v36, v2, v3
	v_mov_b32_dpp v36, v3 row_shr:1 row_mask:0xf bank_mask:0xf
	s_delay_alu instid0(VALU_DEP_1) | instskip(NEXT) | instid1(VALU_DEP_1)
	v_cndmask_b32_e64 v36, v36, 0, s0
	v_add_nc_u32_e32 v3, v36, v3
	s_delay_alu instid0(VALU_DEP_1) | instskip(NEXT) | instid1(VALU_DEP_1)
	v_mov_b32_dpp v36, v3 row_shr:2 row_mask:0xf bank_mask:0xf
	v_cndmask_b32_e64 v36, 0, v36, s1
	s_delay_alu instid0(VALU_DEP_1) | instskip(NEXT) | instid1(VALU_DEP_1)
	v_add_nc_u32_e32 v3, v3, v36
	v_mov_b32_dpp v36, v3 row_shr:4 row_mask:0xf bank_mask:0xf
	s_delay_alu instid0(VALU_DEP_1) | instskip(NEXT) | instid1(VALU_DEP_1)
	v_cndmask_b32_e64 v36, 0, v36, s2
	v_add_nc_u32_e32 v3, v3, v36
	s_delay_alu instid0(VALU_DEP_1) | instskip(NEXT) | instid1(VALU_DEP_1)
	v_mov_b32_dpp v36, v3 row_shr:8 row_mask:0xf bank_mask:0xf
	v_cndmask_b32_e64 v36, 0, v36, s3
	s_delay_alu instid0(VALU_DEP_1) | instskip(SKIP_3) | instid1(VALU_DEP_1)
	v_add_nc_u32_e32 v3, v3, v36
	ds_swizzle_b32 v36, v3 offset:swizzle(BROADCAST,32,15)
	s_waitcnt lgkmcnt(0)
	v_cndmask_b32_e64 v36, v36, 0, s4
	v_add_nc_u32_e32 v3, v3, v36
	s_and_saveexec_b32 s9, s8
	s_cbranch_execz .LBB275_10
; %bb.9:                                ;   in Loop: Header=BB275_2 Depth=1
	ds_store_b32 v16, v3
.LBB275_10:                             ;   in Loop: Header=BB275_2 Depth=1
	s_or_b32 exec_lo, exec_lo, s9
	s_waitcnt lgkmcnt(0)
	s_barrier
	buffer_gl0_inv
	s_and_saveexec_b32 s9, s5
	s_cbranch_execz .LBB275_12
; %bb.11:                               ;   in Loop: Header=BB275_2 Depth=1
	ds_load_b32 v36, v21
	s_waitcnt lgkmcnt(0)
	v_mov_b32_dpp v37, v36 row_shr:1 row_mask:0xf bank_mask:0xf
	s_delay_alu instid0(VALU_DEP_1) | instskip(NEXT) | instid1(VALU_DEP_1)
	v_cndmask_b32_e64 v37, v37, 0, s0
	v_add_nc_u32_e32 v36, v37, v36
	s_delay_alu instid0(VALU_DEP_1) | instskip(NEXT) | instid1(VALU_DEP_1)
	v_mov_b32_dpp v37, v36 row_shr:2 row_mask:0xf bank_mask:0xf
	v_cndmask_b32_e64 v37, 0, v37, s1
	s_delay_alu instid0(VALU_DEP_1) | instskip(NEXT) | instid1(VALU_DEP_1)
	v_add_nc_u32_e32 v36, v36, v37
	v_mov_b32_dpp v37, v36 row_shr:4 row_mask:0xf bank_mask:0xf
	s_delay_alu instid0(VALU_DEP_1) | instskip(NEXT) | instid1(VALU_DEP_1)
	v_cndmask_b32_e64 v37, 0, v37, s2
	v_add_nc_u32_e32 v36, v36, v37
	s_delay_alu instid0(VALU_DEP_1) | instskip(NEXT) | instid1(VALU_DEP_1)
	v_mov_b32_dpp v37, v36 row_shr:8 row_mask:0xf bank_mask:0xf
	v_cndmask_b32_e64 v37, 0, v37, s3
	s_delay_alu instid0(VALU_DEP_1)
	v_add_nc_u32_e32 v36, v36, v37
	ds_store_b32 v21, v36
.LBB275_12:                             ;   in Loop: Header=BB275_2 Depth=1
	s_or_b32 exec_lo, exec_lo, s9
	v_mov_b32_e32 v36, 0
	s_waitcnt lgkmcnt(0)
	s_barrier
	buffer_gl0_inv
	s_and_saveexec_b32 s9, s6
	s_cbranch_execz .LBB275_1
; %bb.13:                               ;   in Loop: Header=BB275_2 Depth=1
	ds_load_b32 v36, v18
	s_branch .LBB275_1
.LBB275_14:
	v_add_nc_u16 v0, v5, v3
	v_add_nc_u16 v1, v4, v1
	;; [unrolled: 1-line block ×3, first 2 shown]
	s_add_u32 s0, s18, s11
	s_addc_u32 s1, s19, 0
	s_clause 0x2
	global_store_b8 v8, v0, s[0:1]
	global_store_b8 v8, v1, s[0:1] offset:320
	global_store_b8 v8, v2, s[0:1] offset:640
	s_nop 0
	s_sendmsg sendmsg(MSG_DEALLOC_VGPRS)
	s_endpgm
	.section	.rodata,"a",@progbits
	.p2align	6, 0x0
	.amdhsa_kernel _Z17sort_pairs_kernelI22helper_blocked_stripedaLj320ELj3ELj10EEvPKT0_PS1_
		.amdhsa_group_segment_fixed_size 10288
		.amdhsa_private_segment_fixed_size 0
		.amdhsa_kernarg_size 272
		.amdhsa_user_sgpr_count 15
		.amdhsa_user_sgpr_dispatch_ptr 0
		.amdhsa_user_sgpr_queue_ptr 0
		.amdhsa_user_sgpr_kernarg_segment_ptr 1
		.amdhsa_user_sgpr_dispatch_id 0
		.amdhsa_user_sgpr_private_segment_size 0
		.amdhsa_wavefront_size32 1
		.amdhsa_uses_dynamic_stack 0
		.amdhsa_enable_private_segment 0
		.amdhsa_system_sgpr_workgroup_id_x 1
		.amdhsa_system_sgpr_workgroup_id_y 0
		.amdhsa_system_sgpr_workgroup_id_z 0
		.amdhsa_system_sgpr_workgroup_info 0
		.amdhsa_system_vgpr_workitem_id 2
		.amdhsa_next_free_vgpr 38
		.amdhsa_next_free_sgpr 20
		.amdhsa_reserve_vcc 1
		.amdhsa_float_round_mode_32 0
		.amdhsa_float_round_mode_16_64 0
		.amdhsa_float_denorm_mode_32 3
		.amdhsa_float_denorm_mode_16_64 3
		.amdhsa_dx10_clamp 1
		.amdhsa_ieee_mode 1
		.amdhsa_fp16_overflow 0
		.amdhsa_workgroup_processor_mode 1
		.amdhsa_memory_ordered 1
		.amdhsa_forward_progress 0
		.amdhsa_shared_vgpr_count 0
		.amdhsa_exception_fp_ieee_invalid_op 0
		.amdhsa_exception_fp_denorm_src 0
		.amdhsa_exception_fp_ieee_div_zero 0
		.amdhsa_exception_fp_ieee_overflow 0
		.amdhsa_exception_fp_ieee_underflow 0
		.amdhsa_exception_fp_ieee_inexact 0
		.amdhsa_exception_int_div_zero 0
	.end_amdhsa_kernel
	.section	.text._Z17sort_pairs_kernelI22helper_blocked_stripedaLj320ELj3ELj10EEvPKT0_PS1_,"axG",@progbits,_Z17sort_pairs_kernelI22helper_blocked_stripedaLj320ELj3ELj10EEvPKT0_PS1_,comdat
.Lfunc_end275:
	.size	_Z17sort_pairs_kernelI22helper_blocked_stripedaLj320ELj3ELj10EEvPKT0_PS1_, .Lfunc_end275-_Z17sort_pairs_kernelI22helper_blocked_stripedaLj320ELj3ELj10EEvPKT0_PS1_
                                        ; -- End function
	.section	.AMDGPU.csdata,"",@progbits
; Kernel info:
; codeLenInByte = 2628
; NumSgprs: 22
; NumVgprs: 38
; ScratchSize: 0
; MemoryBound: 0
; FloatMode: 240
; IeeeMode: 1
; LDSByteSize: 10288 bytes/workgroup (compile time only)
; SGPRBlocks: 2
; VGPRBlocks: 4
; NumSGPRsForWavesPerEU: 22
; NumVGPRsForWavesPerEU: 38
; Occupancy: 15
; WaveLimiterHint : 1
; COMPUTE_PGM_RSRC2:SCRATCH_EN: 0
; COMPUTE_PGM_RSRC2:USER_SGPR: 15
; COMPUTE_PGM_RSRC2:TRAP_HANDLER: 0
; COMPUTE_PGM_RSRC2:TGID_X_EN: 1
; COMPUTE_PGM_RSRC2:TGID_Y_EN: 0
; COMPUTE_PGM_RSRC2:TGID_Z_EN: 0
; COMPUTE_PGM_RSRC2:TIDIG_COMP_CNT: 2
	.section	.text._Z16sort_keys_kernelI22helper_blocked_stripedaLj320ELj4ELj10EEvPKT0_PS1_,"axG",@progbits,_Z16sort_keys_kernelI22helper_blocked_stripedaLj320ELj4ELj10EEvPKT0_PS1_,comdat
	.protected	_Z16sort_keys_kernelI22helper_blocked_stripedaLj320ELj4ELj10EEvPKT0_PS1_ ; -- Begin function _Z16sort_keys_kernelI22helper_blocked_stripedaLj320ELj4ELj10EEvPKT0_PS1_
	.globl	_Z16sort_keys_kernelI22helper_blocked_stripedaLj320ELj4ELj10EEvPKT0_PS1_
	.p2align	8
	.type	_Z16sort_keys_kernelI22helper_blocked_stripedaLj320ELj4ELj10EEvPKT0_PS1_,@function
_Z16sort_keys_kernelI22helper_blocked_stripedaLj320ELj4ELj10EEvPKT0_PS1_: ; @_Z16sort_keys_kernelI22helper_blocked_stripedaLj320ELj4ELj10EEvPKT0_PS1_
; %bb.0:
	s_clause 0x1
	s_load_b128 s[16:19], s[0:1], 0x0
	s_load_b32 s3, s[0:1], 0x1c
	s_mulk_i32 s15, 0x500
	v_mbcnt_lo_u32_b32 v4, -1, 0
	v_bfe_u32 v3, v0, 10, 10
	s_delay_alu instid0(VALU_DEP_2) | instskip(SKIP_1) | instid1(VALU_DEP_2)
	v_add_nc_u32_e32 v5, -1, v4
	v_cmp_eq_u32_e64 s11, 0, v4
	v_cmp_gt_i32_e64 s8, 0, v5
	s_waitcnt lgkmcnt(0)
	s_add_u32 s0, s16, s15
	s_mov_b32 s16, 0
	s_addc_u32 s1, s17, 0
	s_mov_b32 s17, s16
	v_and_b32_e32 v8, 0x3ff, v0
	v_bfe_u32 v0, v0, 20, 10
	s_lshr_b32 s2, s3, 16
	s_mov_b32 s20, s16
	s_mov_b32 s21, s16
	v_lshlrev_b32_e32 v1, 2, v8
	v_dual_mov_b32 v11, s20 :: v_dual_and_b32 v2, 3, v4
	v_mad_u32_u24 v0, v0, s2, v3
	s_and_b32 s3, s3, 0xffff
	global_load_b32 v1, v1, s[0:1]
	v_cmp_eq_u32_e32 vcc_lo, 3, v2
	v_cmp_eq_u32_e64 s0, 2, v2
	v_cmp_eq_u32_e64 s1, 1, v2
	;; [unrolled: 1-line block ×3, first 2 shown]
	v_mad_u64_u32 v[2:3], null, v0, s3, v[8:9]
	v_mov_b32_e32 v9, s16
	v_and_b32_e32 v3, 0x1e0, v8
	v_and_b32_e32 v0, 15, v4
	v_dual_mov_b32 v12, s21 :: v_dual_and_b32 v13, 28, v4
	v_lshlrev_b32_e32 v15, 5, v8
	v_lshrrev_b32_e32 v19, 5, v2
	v_min_u32_e32 v2, 0x120, v3
	v_cmp_eq_u32_e64 s3, 0, v0
	v_cmp_lt_u32_e64 s4, 1, v0
	v_and_b32_e32 v3, 16, v4
	v_cmp_lt_u32_e64 s5, 3, v0
	v_cmp_lt_u32_e64 s6, 7, v0
	v_or_b32_e32 v0, 31, v2
	v_lshrrev_b32_e32 v2, 3, v8
	v_cmp_eq_u32_e64 s7, 0, v3
	v_cndmask_b32_e64 v3, v5, v4, s8
	v_or_b32_e32 v14, 32, v13
	v_cmp_eq_u32_e64 s8, v0, v8
	v_and_b32_e32 v20, 60, v2
	v_mul_u32_u24_e32 v0, 3, v8
	v_or_b32_e32 v16, 64, v13
	v_or_b32_e32 v17, 0x60, v13
	v_add_nc_u32_e32 v18, 40, v15
	v_cmp_gt_u32_e64 s9, 10, v8
	v_cmp_lt_u32_e64 s10, 31, v8
	v_lshlrev_b32_e32 v21, 2, v3
	v_cmp_eq_u32_e64 s12, 0, v8
	v_add_nc_u32_e32 v22, -4, v20
	v_dual_mov_b32 v10, s17 :: v_dual_add_nc_u32 v23, v8, v0
	s_mov_b32 s16, 10
	s_branch .LBB276_2
.LBB276_1:                              ;   in Loop: Header=BB276_2 Depth=1
	s_or_b32 exec_lo, exec_lo, s13
	s_waitcnt lgkmcnt(0)
	v_add_nc_u32_e32 v3, v39, v3
	s_add_i32 s16, s16, -1
	s_delay_alu instid0(SALU_CYCLE_1) | instskip(SKIP_3) | instid1(VALU_DEP_1)
	s_cmp_eq_u32 s16, 0
	ds_bpermute_b32 v3, v21, v3
	s_waitcnt lgkmcnt(0)
	v_cndmask_b32_e64 v3, v3, v39, s11
	v_cndmask_b32_e64 v3, v3, 0, s12
	s_delay_alu instid0(VALU_DEP_1) | instskip(NEXT) | instid1(VALU_DEP_1)
	v_add_nc_u32_e32 v4, v3, v4
	v_add_nc_u32_e32 v5, v4, v5
	s_delay_alu instid0(VALU_DEP_1) | instskip(NEXT) | instid1(VALU_DEP_1)
	v_add_nc_u32_e32 v6, v5, v6
	v_add_nc_u32_e32 v39, v6, v7
	;; [unrolled: 3-line block ×3, first 2 shown]
	s_delay_alu instid0(VALU_DEP_1)
	v_add_nc_u32_e32 v1, v0, v2
	ds_store_2addr_b64 v15, v[3:4], v[5:6] offset0:5 offset1:6
	ds_store_2addr_b64 v18, v[39:40], v[0:1] offset0:2 offset1:3
	s_waitcnt lgkmcnt(0)
	s_barrier
	buffer_gl0_inv
	ds_load_b32 v0, v26
	ds_load_b32 v1, v30
	;; [unrolled: 1-line block ×4, first 2 shown]
	s_waitcnt lgkmcnt(0)
	s_barrier
	buffer_gl0_inv
	v_add_nc_u32_e32 v0, v0, v25
	v_add3_u32 v1, v29, v28, v1
	v_add3_u32 v2, v33, v32, v2
	;; [unrolled: 1-line block ×3, first 2 shown]
	ds_store_b8 v0, v24
	ds_store_b8 v1, v27
	;; [unrolled: 1-line block ×4, first 2 shown]
	s_waitcnt lgkmcnt(0)
	s_barrier
	buffer_gl0_inv
	ds_load_u8 v0, v8 offset:320
	ds_load_u8 v1, v8
	ds_load_u8 v2, v8 offset:960
	ds_load_u8 v4, v8 offset:640
	s_waitcnt lgkmcnt(3)
	v_xor_b32_e32 v0, 0xffffff80, v0
	s_waitcnt lgkmcnt(2)
	v_xor_b32_e32 v3, 0xffffff80, v1
	;; [unrolled: 2-line block ×4, first 2 shown]
	v_lshlrev_b16 v1, 8, v0
	v_and_b32_e32 v5, 0xff, v3
	v_lshlrev_b16 v6, 8, v2
	s_delay_alu instid0(VALU_DEP_4) | instskip(NEXT) | instid1(VALU_DEP_3)
	v_and_b32_e32 v7, 0xff, v4
	v_or_b32_e32 v1, v5, v1
	s_delay_alu instid0(VALU_DEP_2) | instskip(NEXT) | instid1(VALU_DEP_2)
	v_or_b32_e32 v5, v7, v6
	v_and_b32_e32 v1, 0xffff, v1
	s_delay_alu instid0(VALU_DEP_2) | instskip(NEXT) | instid1(VALU_DEP_1)
	v_lshlrev_b32_e32 v5, 16, v5
	v_or_b32_e32 v1, v1, v5
	s_cbranch_scc1 .LBB276_16
.LBB276_2:                              ; =>This Inner Loop Header: Depth=1
	s_waitcnt vmcnt(0)
	s_delay_alu instid0(VALU_DEP_1) | instskip(SKIP_3) | instid1(VALU_DEP_4)
	v_lshrrev_b32_e32 v0, 8, v1
	v_xor_b32_e32 v2, 0x80, v1
	v_lshrrev_b32_e32 v3, 16, v1
	v_lshrrev_b32_e32 v1, 24, v1
	v_xor_b32_e32 v0, 0x80, v0
	s_delay_alu instid0(VALU_DEP_4) | instskip(NEXT) | instid1(VALU_DEP_4)
	v_and_b32_e32 v2, 0xff, v2
	v_xor_b32_e32 v3, 0x80, v3
	s_delay_alu instid0(VALU_DEP_4)
	v_xor_b32_e32 v1, 0x80, v1
	s_barrier
	v_and_b32_e32 v0, 0xff, v0
	ds_bpermute_b32 v4, v13, v2
	v_and_b32_e32 v3, 0xff, v3
	v_and_b32_e32 v1, 0xffff, v1
	s_waitcnt lgkmcnt(0)
	buffer_gl0_inv
	ds_bpermute_b32 v5, v13, v0
	ds_store_2addr_b64 v15, v[9:10], v[11:12] offset0:5 offset1:6
	ds_store_2addr_b64 v18, v[9:10], v[11:12] offset0:2 offset1:3
	ds_bpermute_b32 v6, v13, v3
	ds_bpermute_b32 v7, v13, v1
	s_waitcnt lgkmcnt(0)
	s_barrier
	buffer_gl0_inv
	; wave barrier
	v_perm_b32 v5, v5, v4, 0x3020104
	s_delay_alu instid0(VALU_DEP_1) | instskip(SKIP_2) | instid1(VALU_DEP_1)
	v_cndmask_b32_e64 v4, v4, v5, s1
	ds_bpermute_b32 v5, v14, v2
	v_perm_b32 v6, v6, v4, 0x3020104
	v_cndmask_b32_e64 v4, v4, v6, s0
	s_delay_alu instid0(VALU_DEP_1) | instskip(SKIP_4) | instid1(VALU_DEP_2)
	v_perm_b32 v6, v7, v4, 0x3020104
	ds_bpermute_b32 v7, v14, v0
	v_cndmask_b32_e32 v4, v4, v6, vcc_lo
	s_waitcnt lgkmcnt(1)
	v_lshlrev_b16 v5, 8, v5
	v_and_b32_e32 v6, 0xff, v4
	s_delay_alu instid0(VALU_DEP_1) | instskip(NEXT) | instid1(VALU_DEP_1)
	v_or_b32_e32 v5, v6, v5
	v_and_b32_e32 v5, 0xffff, v5
	s_delay_alu instid0(VALU_DEP_1) | instskip(NEXT) | instid1(VALU_DEP_1)
	v_and_or_b32 v5, 0xffff0000, v4, v5
	v_cndmask_b32_e64 v4, v4, v5, s2
	s_waitcnt lgkmcnt(0)
	v_lshlrev_b16 v5, 8, v7
	ds_bpermute_b32 v7, v14, v3
	v_and_b32_e32 v6, 0xff, v4
	s_delay_alu instid0(VALU_DEP_1) | instskip(NEXT) | instid1(VALU_DEP_1)
	v_or_b32_e32 v5, v6, v5
	v_and_b32_e32 v5, 0xffff, v5
	s_delay_alu instid0(VALU_DEP_1) | instskip(NEXT) | instid1(VALU_DEP_1)
	v_and_or_b32 v5, 0xffff0000, v4, v5
	v_cndmask_b32_e64 v4, v4, v5, s1
	s_waitcnt lgkmcnt(0)
	v_lshlrev_b16 v5, 8, v7
	ds_bpermute_b32 v7, v14, v1
	v_and_b32_e32 v6, 0xff, v4
	s_delay_alu instid0(VALU_DEP_1) | instskip(NEXT) | instid1(VALU_DEP_1)
	v_or_b32_e32 v5, v6, v5
	v_and_b32_e32 v5, 0xffff, v5
	s_delay_alu instid0(VALU_DEP_1) | instskip(NEXT) | instid1(VALU_DEP_1)
	v_and_or_b32 v5, 0xffff0000, v4, v5
	v_cndmask_b32_e64 v4, v4, v5, s0
	s_waitcnt lgkmcnt(0)
	v_lshlrev_b16 v5, 8, v7
	s_delay_alu instid0(VALU_DEP_2) | instskip(NEXT) | instid1(VALU_DEP_1)
	v_and_b32_e32 v6, 0xff, v4
	v_or_b32_e32 v5, v6, v5
	ds_bpermute_b32 v6, v16, v2
	ds_bpermute_b32 v2, v17, v2
	v_and_b32_e32 v5, 0xffff, v5
	s_delay_alu instid0(VALU_DEP_1) | instskip(NEXT) | instid1(VALU_DEP_1)
	v_and_or_b32 v5, 0xffff0000, v4, v5
	v_cndmask_b32_e32 v4, v4, v5, vcc_lo
	s_delay_alu instid0(VALU_DEP_1)
	v_lshrrev_b32_e32 v5, 16, v4
	s_waitcnt lgkmcnt(1)
	v_and_b32_e32 v6, 0xff, v6
	s_waitcnt lgkmcnt(0)
	v_lshlrev_b16 v2, 8, v2
	v_and_b32_e32 v5, 0xffffff00, v5
	s_delay_alu instid0(VALU_DEP_1) | instskip(SKIP_3) | instid1(VALU_DEP_1)
	v_or_b32_e32 v5, v6, v5
	ds_bpermute_b32 v6, v16, v0
	ds_bpermute_b32 v0, v17, v0
	v_lshlrev_b32_e32 v5, 16, v5
	v_and_or_b32 v5, 0xffff, v4, v5
	s_delay_alu instid0(VALU_DEP_1) | instskip(NEXT) | instid1(VALU_DEP_1)
	v_cndmask_b32_e64 v4, v4, v5, s2
	v_lshrrev_b32_e32 v5, 16, v4
	s_waitcnt lgkmcnt(1)
	v_and_b32_e32 v6, 0xff, v6
	s_waitcnt lgkmcnt(0)
	v_lshlrev_b16 v0, 8, v0
	v_and_b32_e32 v5, 0xffffff00, v5
	s_delay_alu instid0(VALU_DEP_1) | instskip(SKIP_3) | instid1(VALU_DEP_1)
	v_or_b32_e32 v5, v6, v5
	ds_bpermute_b32 v6, v16, v3
	ds_bpermute_b32 v3, v17, v3
	v_lshlrev_b32_e32 v5, 16, v5
	v_and_or_b32 v5, 0xffff, v4, v5
	s_delay_alu instid0(VALU_DEP_1) | instskip(NEXT) | instid1(VALU_DEP_1)
	v_cndmask_b32_e64 v4, v4, v5, s1
	;; [unrolled: 14-line block ×3, first 2 shown]
	v_lshrrev_b32_e32 v5, 16, v4
	s_waitcnt lgkmcnt(1)
	v_and_b32_e32 v6, 0xff, v6
	s_waitcnt lgkmcnt(0)
	v_lshlrev_b16 v1, 8, v1
	v_and_b32_e32 v5, 0xffffff00, v5
	s_delay_alu instid0(VALU_DEP_1) | instskip(NEXT) | instid1(VALU_DEP_1)
	v_or_b32_e32 v5, v6, v5
	v_lshlrev_b32_e32 v5, 16, v5
	s_delay_alu instid0(VALU_DEP_1) | instskip(NEXT) | instid1(VALU_DEP_1)
	v_and_or_b32 v5, 0xffff, v4, v5
	v_cndmask_b32_e32 v4, v4, v5, vcc_lo
	s_delay_alu instid0(VALU_DEP_1) | instskip(NEXT) | instid1(VALU_DEP_1)
	v_lshrrev_b32_e32 v5, 16, v4
	v_and_b32_e32 v5, 0xff, v5
	s_delay_alu instid0(VALU_DEP_1) | instskip(NEXT) | instid1(VALU_DEP_1)
	v_or_b32_e32 v2, v5, v2
	v_lshlrev_b32_e32 v2, 16, v2
	s_delay_alu instid0(VALU_DEP_1) | instskip(NEXT) | instid1(VALU_DEP_1)
	v_and_or_b32 v2, 0xffff, v4, v2
	v_cndmask_b32_e64 v2, v4, v2, s2
	s_delay_alu instid0(VALU_DEP_1) | instskip(NEXT) | instid1(VALU_DEP_1)
	v_lshrrev_b32_e32 v4, 16, v2
	v_and_b32_e32 v4, 0xff, v4
	s_delay_alu instid0(VALU_DEP_1) | instskip(NEXT) | instid1(VALU_DEP_1)
	v_or_b32_e32 v0, v4, v0
	v_lshlrev_b32_e32 v0, 16, v0
	s_delay_alu instid0(VALU_DEP_1) | instskip(NEXT) | instid1(VALU_DEP_1)
	v_and_or_b32 v0, 0xffff, v2, v0
	v_cndmask_b32_e64 v0, v2, v0, s1
	;; [unrolled: 9-line block ×3, first 2 shown]
	s_delay_alu instid0(VALU_DEP_1) | instskip(NEXT) | instid1(VALU_DEP_1)
	v_lshrrev_b32_e32 v2, 16, v0
	v_and_b32_e32 v2, 0xff, v2
	s_delay_alu instid0(VALU_DEP_1) | instskip(NEXT) | instid1(VALU_DEP_1)
	v_or_b32_e32 v1, v2, v1
	v_lshlrev_b32_e32 v1, 16, v1
	s_delay_alu instid0(VALU_DEP_1) | instskip(NEXT) | instid1(VALU_DEP_1)
	v_and_or_b32 v1, 0xffff, v0, v1
	v_cndmask_b32_e32 v24, v0, v1, vcc_lo
	s_delay_alu instid0(VALU_DEP_1)
	v_lshlrev_b32_e32 v3, 28, v24
	v_and_b32_e32 v0, 1, v24
	v_lshlrev_b32_e32 v1, 30, v24
	v_lshlrev_b32_e32 v2, 29, v24
	;; [unrolled: 1-line block ×4, first 2 shown]
	v_add_co_u32 v0, s13, v0, -1
	s_delay_alu instid0(VALU_DEP_1)
	v_cndmask_b32_e64 v4, 0, 1, s13
	v_not_b32_e32 v25, v1
	v_cmp_gt_i32_e64 s14, 0, v1
	v_not_b32_e32 v1, v2
	v_lshlrev_b32_e32 v7, 25, v24
	v_cmp_ne_u32_e64 s13, 0, v4
	v_ashrrev_i32_e32 v25, 31, v25
	v_lshlrev_b32_e32 v4, 24, v24
	v_ashrrev_i32_e32 v1, 31, v1
	s_delay_alu instid0(VALU_DEP_4)
	v_xor_b32_e32 v0, s13, v0
	v_cmp_gt_i32_e64 s13, 0, v2
	v_not_b32_e32 v2, v3
	v_xor_b32_e32 v25, s14, v25
	v_cmp_gt_i32_e64 s14, 0, v3
	v_and_b32_e32 v0, exec_lo, v0
	v_not_b32_e32 v3, v5
	v_ashrrev_i32_e32 v2, 31, v2
	v_xor_b32_e32 v1, s13, v1
	v_cmp_gt_i32_e64 s13, 0, v5
	v_and_b32_e32 v0, v0, v25
	v_not_b32_e32 v5, v6
	v_ashrrev_i32_e32 v3, 31, v3
	v_xor_b32_e32 v2, s14, v2
	v_cmp_gt_i32_e64 s14, 0, v6
	v_and_b32_e32 v0, v0, v1
	;; [unrolled: 5-line block ×4, first 2 shown]
	v_ashrrev_i32_e32 v2, 31, v2
	v_xor_b32_e32 v1, s13, v1
	s_delay_alu instid0(VALU_DEP_3) | instskip(NEXT) | instid1(VALU_DEP_3)
	v_and_b32_e32 v0, v0, v5
	v_xor_b32_e32 v2, s14, v2
	s_delay_alu instid0(VALU_DEP_2) | instskip(SKIP_1) | instid1(VALU_DEP_2)
	v_and_b32_e32 v0, v0, v1
	v_and_b32_e32 v1, 0xff, v24
	;; [unrolled: 1-line block ×3, first 2 shown]
	s_delay_alu instid0(VALU_DEP_2) | instskip(NEXT) | instid1(VALU_DEP_2)
	v_mad_u32_u24 v1, v1, 10, v19
	v_mbcnt_lo_u32_b32 v25, v0, 0
	v_cmp_ne_u32_e64 s14, 0, v0
	s_delay_alu instid0(VALU_DEP_3) | instskip(NEXT) | instid1(VALU_DEP_3)
	v_lshl_add_u32 v26, v1, 2, 40
	v_cmp_eq_u32_e64 s13, 0, v25
	s_delay_alu instid0(VALU_DEP_1) | instskip(NEXT) | instid1(SALU_CYCLE_1)
	s_and_b32 s14, s13, s14
	s_and_saveexec_b32 s13, s14
	s_cbranch_execz .LBB276_4
; %bb.3:                                ;   in Loop: Header=BB276_2 Depth=1
	v_bcnt_u32_b32 v0, v0, 0
	ds_store_b32 v26, v0
.LBB276_4:                              ;   in Loop: Header=BB276_2 Depth=1
	s_or_b32 exec_lo, exec_lo, s13
	v_bfe_u32 v0, v24, 8, 1
	v_lshrrev_b32_e32 v27, 8, v24
	; wave barrier
	s_delay_alu instid0(VALU_DEP_2) | instskip(NEXT) | instid1(VALU_DEP_1)
	v_add_co_u32 v0, s13, v0, -1
	v_cndmask_b32_e64 v1, 0, 1, s13
	s_delay_alu instid0(VALU_DEP_3)
	v_lshlrev_b32_e32 v2, 30, v27
	v_lshlrev_b32_e32 v3, 29, v27
	;; [unrolled: 1-line block ×4, first 2 shown]
	v_cmp_ne_u32_e64 s13, 0, v1
	v_not_b32_e32 v1, v2
	v_cmp_gt_i32_e64 s14, 0, v2
	v_not_b32_e32 v2, v3
	v_lshlrev_b32_e32 v6, 26, v27
	v_xor_b32_e32 v0, s13, v0
	v_ashrrev_i32_e32 v1, 31, v1
	v_cmp_gt_i32_e64 s13, 0, v3
	v_not_b32_e32 v3, v4
	v_ashrrev_i32_e32 v2, 31, v2
	v_and_b32_e32 v0, exec_lo, v0
	v_xor_b32_e32 v1, s14, v1
	v_cmp_gt_i32_e64 s14, 0, v4
	v_not_b32_e32 v4, v5
	v_ashrrev_i32_e32 v3, 31, v3
	v_xor_b32_e32 v2, s13, v2
	v_and_b32_e32 v0, v0, v1
	v_cmp_gt_i32_e64 s13, 0, v5
	v_not_b32_e32 v1, v6
	v_ashrrev_i32_e32 v4, 31, v4
	v_xor_b32_e32 v3, s14, v3
	v_and_b32_e32 v0, v0, v2
	v_lshlrev_b32_e32 v2, 25, v27
	v_cmp_gt_i32_e64 s14, 0, v6
	v_ashrrev_i32_e32 v1, 31, v1
	v_xor_b32_e32 v4, s13, v4
	v_and_b32_e32 v0, v0, v3
	v_not_b32_e32 v5, v2
	v_lshlrev_b32_e32 v6, 24, v27
	v_bfe_u32 v3, v24, 8, 8
	v_xor_b32_e32 v1, s14, v1
	v_and_b32_e32 v0, v0, v4
	v_cmp_gt_i32_e64 s13, 0, v2
	v_ashrrev_i32_e32 v2, 31, v5
	v_not_b32_e32 v4, v6
	v_mul_u32_u24_e32 v3, 10, v3
	v_and_b32_e32 v0, v0, v1
	s_delay_alu instid0(VALU_DEP_4) | instskip(SKIP_3) | instid1(VALU_DEP_4)
	v_xor_b32_e32 v1, s13, v2
	v_cmp_gt_i32_e64 s13, 0, v6
	v_ashrrev_i32_e32 v2, 31, v4
	v_add_lshl_u32 v3, v3, v19, 2
	v_and_b32_e32 v0, v0, v1
	s_delay_alu instid0(VALU_DEP_3) | instskip(SKIP_3) | instid1(VALU_DEP_1)
	v_xor_b32_e32 v1, s13, v2
	ds_load_b32 v28, v3 offset:40
	v_add_nc_u32_e32 v30, 40, v3
	; wave barrier
	v_and_b32_e32 v0, v0, v1
	v_mbcnt_lo_u32_b32 v29, v0, 0
	v_cmp_ne_u32_e64 s14, 0, v0
	s_delay_alu instid0(VALU_DEP_2) | instskip(NEXT) | instid1(VALU_DEP_1)
	v_cmp_eq_u32_e64 s13, 0, v29
	s_and_b32 s14, s14, s13
	s_delay_alu instid0(SALU_CYCLE_1)
	s_and_saveexec_b32 s13, s14
	s_cbranch_execz .LBB276_6
; %bb.5:                                ;   in Loop: Header=BB276_2 Depth=1
	s_waitcnt lgkmcnt(0)
	v_bcnt_u32_b32 v0, v0, v28
	ds_store_b32 v30, v0
.LBB276_6:                              ;   in Loop: Header=BB276_2 Depth=1
	s_or_b32 exec_lo, exec_lo, s13
	v_bfe_u32 v0, v24, 16, 1
	v_lshrrev_b32_e32 v31, 16, v24
	; wave barrier
	s_delay_alu instid0(VALU_DEP_2) | instskip(NEXT) | instid1(VALU_DEP_1)
	v_add_co_u32 v0, s13, v0, -1
	v_cndmask_b32_e64 v1, 0, 1, s13
	s_delay_alu instid0(VALU_DEP_3)
	v_lshlrev_b32_e32 v2, 30, v31
	v_lshlrev_b32_e32 v3, 29, v31
	;; [unrolled: 1-line block ×4, first 2 shown]
	v_cmp_ne_u32_e64 s13, 0, v1
	v_not_b32_e32 v1, v2
	v_cmp_gt_i32_e64 s14, 0, v2
	v_not_b32_e32 v2, v3
	v_lshlrev_b32_e32 v6, 26, v31
	v_xor_b32_e32 v0, s13, v0
	v_ashrrev_i32_e32 v1, 31, v1
	v_cmp_gt_i32_e64 s13, 0, v3
	v_not_b32_e32 v3, v4
	v_ashrrev_i32_e32 v2, 31, v2
	v_and_b32_e32 v0, exec_lo, v0
	v_xor_b32_e32 v1, s14, v1
	v_cmp_gt_i32_e64 s14, 0, v4
	v_not_b32_e32 v4, v5
	v_ashrrev_i32_e32 v3, 31, v3
	v_xor_b32_e32 v2, s13, v2
	v_and_b32_e32 v0, v0, v1
	v_cmp_gt_i32_e64 s13, 0, v5
	v_not_b32_e32 v1, v6
	v_ashrrev_i32_e32 v4, 31, v4
	v_xor_b32_e32 v3, s14, v3
	v_and_b32_e32 v0, v0, v2
	v_lshlrev_b32_e32 v2, 25, v31
	v_cmp_gt_i32_e64 s14, 0, v6
	v_ashrrev_i32_e32 v1, 31, v1
	v_xor_b32_e32 v4, s13, v4
	v_and_b32_e32 v0, v0, v3
	v_not_b32_e32 v5, v2
	v_lshlrev_b32_e32 v6, 24, v31
	v_bfe_u32 v3, v24, 16, 8
	v_xor_b32_e32 v1, s14, v1
	v_and_b32_e32 v0, v0, v4
	v_cmp_gt_i32_e64 s13, 0, v2
	v_ashrrev_i32_e32 v2, 31, v5
	v_not_b32_e32 v4, v6
	v_mul_u32_u24_e32 v3, 10, v3
	v_and_b32_e32 v0, v0, v1
	s_delay_alu instid0(VALU_DEP_4) | instskip(SKIP_3) | instid1(VALU_DEP_4)
	v_xor_b32_e32 v1, s13, v2
	v_cmp_gt_i32_e64 s13, 0, v6
	v_ashrrev_i32_e32 v2, 31, v4
	v_add_lshl_u32 v3, v3, v19, 2
	v_and_b32_e32 v0, v0, v1
	s_delay_alu instid0(VALU_DEP_3) | instskip(SKIP_3) | instid1(VALU_DEP_1)
	v_xor_b32_e32 v1, s13, v2
	ds_load_b32 v32, v3 offset:40
	v_add_nc_u32_e32 v34, 40, v3
	; wave barrier
	v_and_b32_e32 v0, v0, v1
	v_mbcnt_lo_u32_b32 v33, v0, 0
	v_cmp_ne_u32_e64 s14, 0, v0
	s_delay_alu instid0(VALU_DEP_2) | instskip(NEXT) | instid1(VALU_DEP_1)
	v_cmp_eq_u32_e64 s13, 0, v33
	s_and_b32 s14, s14, s13
	s_delay_alu instid0(SALU_CYCLE_1)
	s_and_saveexec_b32 s13, s14
	s_cbranch_execz .LBB276_8
; %bb.7:                                ;   in Loop: Header=BB276_2 Depth=1
	s_waitcnt lgkmcnt(0)
	v_bcnt_u32_b32 v0, v0, v32
	ds_store_b32 v34, v0
.LBB276_8:                              ;   in Loop: Header=BB276_2 Depth=1
	s_or_b32 exec_lo, exec_lo, s13
	v_bfe_u32 v0, v24, 24, 1
	v_lshrrev_b32_e32 v35, 24, v24
	; wave barrier
	s_delay_alu instid0(VALU_DEP_2) | instskip(NEXT) | instid1(VALU_DEP_1)
	v_add_co_u32 v0, s13, v0, -1
	v_cndmask_b32_e64 v1, 0, 1, s13
	s_delay_alu instid0(VALU_DEP_3)
	v_lshlrev_b32_e32 v2, 30, v35
	v_lshlrev_b32_e32 v3, 29, v35
	;; [unrolled: 1-line block ×4, first 2 shown]
	v_cmp_ne_u32_e64 s13, 0, v1
	v_not_b32_e32 v1, v2
	v_cmp_gt_i32_e64 s14, 0, v2
	v_not_b32_e32 v2, v3
	v_lshlrev_b32_e32 v6, 26, v35
	v_xor_b32_e32 v0, s13, v0
	v_ashrrev_i32_e32 v1, 31, v1
	v_cmp_gt_i32_e64 s13, 0, v3
	v_not_b32_e32 v3, v4
	v_ashrrev_i32_e32 v2, 31, v2
	v_and_b32_e32 v0, exec_lo, v0
	v_xor_b32_e32 v1, s14, v1
	v_cmp_gt_i32_e64 s14, 0, v4
	v_not_b32_e32 v4, v5
	v_ashrrev_i32_e32 v3, 31, v3
	v_xor_b32_e32 v2, s13, v2
	v_and_b32_e32 v0, v0, v1
	v_lshlrev_b32_e32 v1, 25, v35
	v_cmp_gt_i32_e64 s13, 0, v5
	v_ashrrev_i32_e32 v4, 31, v4
	v_xor_b32_e32 v3, s14, v3
	v_and_b32_e32 v0, v0, v2
	v_not_b32_e32 v5, v6
	v_not_b32_e32 v7, v1
	v_xor_b32_e32 v4, s13, v4
	v_cmp_gt_i32_e64 s13, 0, v6
	v_and_b32_e32 v0, v0, v3
	v_ashrrev_i32_e32 v3, 31, v5
	v_and_b32_e32 v2, 0xff000000, v24
	v_cmp_gt_i32_e64 s14, 0, v1
	v_ashrrev_i32_e32 v1, 31, v7
	v_and_b32_e32 v0, v0, v4
	v_not_b32_e32 v4, v24
	v_xor_b32_e32 v3, s13, v3
	v_mul_u32_u24_e32 v5, 10, v35
	v_xor_b32_e32 v1, s14, v1
	v_cmp_gt_i32_e64 s13, 0, v2
	v_ashrrev_i32_e32 v2, 31, v4
	v_and_b32_e32 v0, v0, v3
	v_add_lshl_u32 v3, v5, v19, 2
	s_delay_alu instid0(VALU_DEP_3) | instskip(NEXT) | instid1(VALU_DEP_3)
	v_xor_b32_e32 v2, s13, v2
	v_and_b32_e32 v0, v0, v1
	ds_load_b32 v36, v3 offset:40
	v_add_nc_u32_e32 v38, 40, v3
	; wave barrier
	v_and_b32_e32 v0, v0, v2
	s_delay_alu instid0(VALU_DEP_1) | instskip(SKIP_1) | instid1(VALU_DEP_2)
	v_mbcnt_lo_u32_b32 v37, v0, 0
	v_cmp_ne_u32_e64 s14, 0, v0
	v_cmp_eq_u32_e64 s13, 0, v37
	s_delay_alu instid0(VALU_DEP_1) | instskip(NEXT) | instid1(SALU_CYCLE_1)
	s_and_b32 s14, s14, s13
	s_and_saveexec_b32 s13, s14
	s_cbranch_execz .LBB276_10
; %bb.9:                                ;   in Loop: Header=BB276_2 Depth=1
	s_waitcnt lgkmcnt(0)
	v_bcnt_u32_b32 v0, v0, v36
	ds_store_b32 v38, v0
.LBB276_10:                             ;   in Loop: Header=BB276_2 Depth=1
	s_or_b32 exec_lo, exec_lo, s13
	; wave barrier
	s_waitcnt lgkmcnt(0)
	s_barrier
	buffer_gl0_inv
	ds_load_2addr_b64 v[4:7], v15 offset0:5 offset1:6
	ds_load_2addr_b64 v[0:3], v18 offset0:2 offset1:3
	s_waitcnt lgkmcnt(1)
	v_add_nc_u32_e32 v39, v5, v4
	s_delay_alu instid0(VALU_DEP_1) | instskip(SKIP_1) | instid1(VALU_DEP_1)
	v_add3_u32 v39, v39, v6, v7
	s_waitcnt lgkmcnt(0)
	v_add3_u32 v39, v39, v0, v1
	s_delay_alu instid0(VALU_DEP_1) | instskip(NEXT) | instid1(VALU_DEP_1)
	v_add3_u32 v3, v39, v2, v3
	v_mov_b32_dpp v39, v3 row_shr:1 row_mask:0xf bank_mask:0xf
	s_delay_alu instid0(VALU_DEP_1) | instskip(NEXT) | instid1(VALU_DEP_1)
	v_cndmask_b32_e64 v39, v39, 0, s3
	v_add_nc_u32_e32 v3, v39, v3
	s_delay_alu instid0(VALU_DEP_1) | instskip(NEXT) | instid1(VALU_DEP_1)
	v_mov_b32_dpp v39, v3 row_shr:2 row_mask:0xf bank_mask:0xf
	v_cndmask_b32_e64 v39, 0, v39, s4
	s_delay_alu instid0(VALU_DEP_1) | instskip(NEXT) | instid1(VALU_DEP_1)
	v_add_nc_u32_e32 v3, v3, v39
	v_mov_b32_dpp v39, v3 row_shr:4 row_mask:0xf bank_mask:0xf
	s_delay_alu instid0(VALU_DEP_1) | instskip(NEXT) | instid1(VALU_DEP_1)
	v_cndmask_b32_e64 v39, 0, v39, s5
	v_add_nc_u32_e32 v3, v3, v39
	s_delay_alu instid0(VALU_DEP_1) | instskip(NEXT) | instid1(VALU_DEP_1)
	v_mov_b32_dpp v39, v3 row_shr:8 row_mask:0xf bank_mask:0xf
	v_cndmask_b32_e64 v39, 0, v39, s6
	s_delay_alu instid0(VALU_DEP_1) | instskip(SKIP_3) | instid1(VALU_DEP_1)
	v_add_nc_u32_e32 v3, v3, v39
	ds_swizzle_b32 v39, v3 offset:swizzle(BROADCAST,32,15)
	s_waitcnt lgkmcnt(0)
	v_cndmask_b32_e64 v39, v39, 0, s7
	v_add_nc_u32_e32 v3, v3, v39
	s_and_saveexec_b32 s13, s8
	s_cbranch_execz .LBB276_12
; %bb.11:                               ;   in Loop: Header=BB276_2 Depth=1
	ds_store_b32 v20, v3
.LBB276_12:                             ;   in Loop: Header=BB276_2 Depth=1
	s_or_b32 exec_lo, exec_lo, s13
	s_waitcnt lgkmcnt(0)
	s_barrier
	buffer_gl0_inv
	s_and_saveexec_b32 s13, s9
	s_cbranch_execz .LBB276_14
; %bb.13:                               ;   in Loop: Header=BB276_2 Depth=1
	ds_load_b32 v39, v23
	s_waitcnt lgkmcnt(0)
	v_mov_b32_dpp v40, v39 row_shr:1 row_mask:0xf bank_mask:0xf
	s_delay_alu instid0(VALU_DEP_1) | instskip(NEXT) | instid1(VALU_DEP_1)
	v_cndmask_b32_e64 v40, v40, 0, s3
	v_add_nc_u32_e32 v39, v40, v39
	s_delay_alu instid0(VALU_DEP_1) | instskip(NEXT) | instid1(VALU_DEP_1)
	v_mov_b32_dpp v40, v39 row_shr:2 row_mask:0xf bank_mask:0xf
	v_cndmask_b32_e64 v40, 0, v40, s4
	s_delay_alu instid0(VALU_DEP_1) | instskip(NEXT) | instid1(VALU_DEP_1)
	v_add_nc_u32_e32 v39, v39, v40
	v_mov_b32_dpp v40, v39 row_shr:4 row_mask:0xf bank_mask:0xf
	s_delay_alu instid0(VALU_DEP_1) | instskip(NEXT) | instid1(VALU_DEP_1)
	v_cndmask_b32_e64 v40, 0, v40, s5
	v_add_nc_u32_e32 v39, v39, v40
	s_delay_alu instid0(VALU_DEP_1) | instskip(NEXT) | instid1(VALU_DEP_1)
	v_mov_b32_dpp v40, v39 row_shr:8 row_mask:0xf bank_mask:0xf
	v_cndmask_b32_e64 v40, 0, v40, s6
	s_delay_alu instid0(VALU_DEP_1)
	v_add_nc_u32_e32 v39, v39, v40
	ds_store_b32 v23, v39
.LBB276_14:                             ;   in Loop: Header=BB276_2 Depth=1
	s_or_b32 exec_lo, exec_lo, s13
	v_mov_b32_e32 v39, 0
	s_waitcnt lgkmcnt(0)
	s_barrier
	buffer_gl0_inv
	s_and_saveexec_b32 s13, s10
	s_cbranch_execz .LBB276_1
; %bb.15:                               ;   in Loop: Header=BB276_2 Depth=1
	ds_load_b32 v39, v22
	s_branch .LBB276_1
.LBB276_16:
	s_add_u32 s0, s18, s15
	s_addc_u32 s1, s19, 0
	s_clause 0x3
	global_store_b8 v8, v3, s[0:1]
	global_store_b8 v8, v0, s[0:1] offset:320
	global_store_b8 v8, v4, s[0:1] offset:640
	;; [unrolled: 1-line block ×3, first 2 shown]
	s_nop 0
	s_sendmsg sendmsg(MSG_DEALLOC_VGPRS)
	s_endpgm
	.section	.rodata,"a",@progbits
	.p2align	6, 0x0
	.amdhsa_kernel _Z16sort_keys_kernelI22helper_blocked_stripedaLj320ELj4ELj10EEvPKT0_PS1_
		.amdhsa_group_segment_fixed_size 10288
		.amdhsa_private_segment_fixed_size 0
		.amdhsa_kernarg_size 272
		.amdhsa_user_sgpr_count 15
		.amdhsa_user_sgpr_dispatch_ptr 0
		.amdhsa_user_sgpr_queue_ptr 0
		.amdhsa_user_sgpr_kernarg_segment_ptr 1
		.amdhsa_user_sgpr_dispatch_id 0
		.amdhsa_user_sgpr_private_segment_size 0
		.amdhsa_wavefront_size32 1
		.amdhsa_uses_dynamic_stack 0
		.amdhsa_enable_private_segment 0
		.amdhsa_system_sgpr_workgroup_id_x 1
		.amdhsa_system_sgpr_workgroup_id_y 0
		.amdhsa_system_sgpr_workgroup_id_z 0
		.amdhsa_system_sgpr_workgroup_info 0
		.amdhsa_system_vgpr_workitem_id 2
		.amdhsa_next_free_vgpr 41
		.amdhsa_next_free_sgpr 22
		.amdhsa_reserve_vcc 1
		.amdhsa_float_round_mode_32 0
		.amdhsa_float_round_mode_16_64 0
		.amdhsa_float_denorm_mode_32 3
		.amdhsa_float_denorm_mode_16_64 3
		.amdhsa_dx10_clamp 1
		.amdhsa_ieee_mode 1
		.amdhsa_fp16_overflow 0
		.amdhsa_workgroup_processor_mode 1
		.amdhsa_memory_ordered 1
		.amdhsa_forward_progress 0
		.amdhsa_shared_vgpr_count 0
		.amdhsa_exception_fp_ieee_invalid_op 0
		.amdhsa_exception_fp_denorm_src 0
		.amdhsa_exception_fp_ieee_div_zero 0
		.amdhsa_exception_fp_ieee_overflow 0
		.amdhsa_exception_fp_ieee_underflow 0
		.amdhsa_exception_fp_ieee_inexact 0
		.amdhsa_exception_int_div_zero 0
	.end_amdhsa_kernel
	.section	.text._Z16sort_keys_kernelI22helper_blocked_stripedaLj320ELj4ELj10EEvPKT0_PS1_,"axG",@progbits,_Z16sort_keys_kernelI22helper_blocked_stripedaLj320ELj4ELj10EEvPKT0_PS1_,comdat
.Lfunc_end276:
	.size	_Z16sort_keys_kernelI22helper_blocked_stripedaLj320ELj4ELj10EEvPKT0_PS1_, .Lfunc_end276-_Z16sort_keys_kernelI22helper_blocked_stripedaLj320ELj4ELj10EEvPKT0_PS1_
                                        ; -- End function
	.section	.AMDGPU.csdata,"",@progbits
; Kernel info:
; codeLenInByte = 3708
; NumSgprs: 24
; NumVgprs: 41
; ScratchSize: 0
; MemoryBound: 0
; FloatMode: 240
; IeeeMode: 1
; LDSByteSize: 10288 bytes/workgroup (compile time only)
; SGPRBlocks: 2
; VGPRBlocks: 5
; NumSGPRsForWavesPerEU: 24
; NumVGPRsForWavesPerEU: 41
; Occupancy: 15
; WaveLimiterHint : 1
; COMPUTE_PGM_RSRC2:SCRATCH_EN: 0
; COMPUTE_PGM_RSRC2:USER_SGPR: 15
; COMPUTE_PGM_RSRC2:TRAP_HANDLER: 0
; COMPUTE_PGM_RSRC2:TGID_X_EN: 1
; COMPUTE_PGM_RSRC2:TGID_Y_EN: 0
; COMPUTE_PGM_RSRC2:TGID_Z_EN: 0
; COMPUTE_PGM_RSRC2:TIDIG_COMP_CNT: 2
	.section	.text._Z17sort_pairs_kernelI22helper_blocked_stripedaLj320ELj4ELj10EEvPKT0_PS1_,"axG",@progbits,_Z17sort_pairs_kernelI22helper_blocked_stripedaLj320ELj4ELj10EEvPKT0_PS1_,comdat
	.protected	_Z17sort_pairs_kernelI22helper_blocked_stripedaLj320ELj4ELj10EEvPKT0_PS1_ ; -- Begin function _Z17sort_pairs_kernelI22helper_blocked_stripedaLj320ELj4ELj10EEvPKT0_PS1_
	.globl	_Z17sort_pairs_kernelI22helper_blocked_stripedaLj320ELj4ELj10EEvPKT0_PS1_
	.p2align	8
	.type	_Z17sort_pairs_kernelI22helper_blocked_stripedaLj320ELj4ELj10EEvPKT0_PS1_,@function
_Z17sort_pairs_kernelI22helper_blocked_stripedaLj320ELj4ELj10EEvPKT0_PS1_: ; @_Z17sort_pairs_kernelI22helper_blocked_stripedaLj320ELj4ELj10EEvPKT0_PS1_
; %bb.0:
	s_clause 0x1
	s_load_b128 s[16:19], s[0:1], 0x0
	s_load_b32 s12, s[0:1], 0x1c
	v_and_b32_e32 v8, 0x3ff, v0
	s_mulk_i32 s15, 0x500
	v_mbcnt_lo_u32_b32 v2, -1, 0
	v_bfe_u32 v4, v0, 10, 10
	v_bfe_u32 v0, v0, 20, 10
	v_lshlrev_b32_e32 v1, 2, v8
	s_delay_alu instid0(VALU_DEP_4)
	v_add_nc_u32_e32 v7, -1, v2
	v_and_b32_e32 v5, 15, v2
	v_and_b32_e32 v3, 3, v2
	v_and_b32_e32 v13, 28, v2
	v_and_b32_e32 v6, 16, v2
	v_cmp_gt_i32_e64 s11, 0, v7
	v_cmp_eq_u32_e32 vcc_lo, 0, v2
	v_cmp_eq_u32_e64 s4, 0, v5
	v_cmp_lt_u32_e64 s5, 1, v5
	v_cmp_lt_u32_e64 s6, 3, v5
	v_cmp_lt_u32_e64 s7, 7, v5
	s_waitcnt lgkmcnt(0)
	s_add_u32 s0, s16, s15
	s_addc_u32 s1, s17, 0
	v_cndmask_b32_e64 v5, v7, v2, s11
	global_load_b32 v1, v1, s[0:1]
	v_cmp_eq_u32_e64 s8, 0, v6
	s_mov_b32 s0, 0
	s_lshr_b32 s13, s12, 16
	s_mov_b32 s1, s0
	s_mov_b32 s2, s0
	v_mov_b32_e32 v10, s1
	s_mov_b32 s3, s0
	s_delay_alu instid0(SALU_CYCLE_1)
	v_dual_mov_b32 v9, s0 :: v_dual_mov_b32 v12, s3
	v_mov_b32_e32 v11, s2
	v_cmp_eq_u32_e64 s0, 3, v3
	v_cmp_eq_u32_e64 s1, 2, v3
	v_cmp_eq_u32_e64 s2, 1, v3
	v_cmp_eq_u32_e64 s3, 0, v3
	v_and_b32_e32 v3, 0x1e0, v8
	v_mad_u32_u24 v0, v0, s13, v4
	v_lshrrev_b32_e32 v19, 3, v8
	s_and_b32 s12, s12, 0xffff
	v_lshlrev_b32_e32 v17, 5, v8
	v_mul_u32_u24_e32 v23, 3, v8
	v_or_b32_e32 v14, 32, v13
	v_and_b32_e32 v19, 60, v19
	v_or_b32_e32 v15, 64, v13
	v_or_b32_e32 v16, 0x60, v13
	v_cmp_gt_u32_e64 s9, 10, v8
	v_cmp_lt_u32_e64 s10, 31, v8
	v_cmp_eq_u32_e64 s11, 0, v8
	v_add_nc_u32_e32 v21, -4, v19
	v_add_nc_u32_e32 v23, v8, v23
	s_mov_b32 s16, 10
	s_waitcnt vmcnt(0)
	v_lshrrev_b32_e32 v2, 16, v1
	v_lshrrev_b32_e32 v6, 8, v1
	;; [unrolled: 1-line block ×3, first 2 shown]
	v_add_nc_u16 v18, v1, 1
	s_delay_alu instid0(VALU_DEP_4) | instskip(NEXT) | instid1(VALU_DEP_4)
	v_add_nc_u16 v2, v2, 1
	v_lshlrev_b16 v6, 8, v6
	s_delay_alu instid0(VALU_DEP_4) | instskip(NEXT) | instid1(VALU_DEP_4)
	v_lshlrev_b16 v7, 8, v7
	v_and_b32_e32 v20, 0xff, v18
	v_add_nc_u32_e32 v18, 40, v17
	v_and_b32_e32 v2, 0xff, v2
	s_delay_alu instid0(VALU_DEP_3) | instskip(SKIP_1) | instid1(VALU_DEP_3)
	v_or_b32_e32 v6, v6, v20
	v_lshlrev_b32_e32 v20, 2, v5
	v_or_b32_e32 v2, v7, v2
	v_min_u32_e32 v7, 0x120, v3
	s_delay_alu instid0(VALU_DEP_4) | instskip(NEXT) | instid1(VALU_DEP_3)
	v_add_nc_u16 v4, v6, 0x100
	v_add_nc_u16 v6, v2, 0x100
	v_mad_u64_u32 v[2:3], null, v0, s12, v[8:9]
	s_delay_alu instid0(VALU_DEP_4) | instskip(NEXT) | instid1(VALU_DEP_4)
	v_or_b32_e32 v0, 31, v7
	v_and_b32_e32 v3, 0xffff, v4
	s_delay_alu instid0(VALU_DEP_4) | instskip(NEXT) | instid1(VALU_DEP_3)
	v_lshlrev_b32_e32 v4, 16, v6
	v_cmp_eq_u32_e64 s12, v0, v8
	v_lshrrev_b32_e32 v22, 5, v2
	s_delay_alu instid0(VALU_DEP_3)
	v_or_b32_e32 v0, v3, v4
	s_branch .LBB277_2
.LBB277_1:                              ;   in Loop: Header=BB277_2 Depth=1
	s_or_b32 exec_lo, exec_lo, s13
	v_perm_b32 v35, v35, v30, 0x3020104
	s_waitcnt lgkmcnt(0)
	v_add_nc_u32_e32 v3, v55, v3
	v_and_b32_e32 v25, 0xff, v25
	s_add_i32 s16, s16, -1
	s_delay_alu instid0(SALU_CYCLE_1) | instskip(SKIP_3) | instid1(VALU_DEP_1)
	s_cmp_eq_u32 s16, 0
	v_cndmask_b32_e64 v30, v30, v35, s2
	ds_bpermute_b32 v3, v20, v3
	v_perm_b32 v34, v34, v30, 0x3020104
	v_cndmask_b32_e64 v30, v30, v34, s1
	s_delay_alu instid0(VALU_DEP_1) | instskip(NEXT) | instid1(VALU_DEP_1)
	v_perm_b32 v33, v33, v30, 0x3020104
	v_cndmask_b32_e64 v30, v30, v33, s0
	s_waitcnt lgkmcnt(0)
	v_cndmask_b32_e32 v3, v3, v55, vcc_lo
	s_delay_alu instid0(VALU_DEP_2) | instskip(NEXT) | instid1(VALU_DEP_2)
	v_perm_b32 v31, v30, v31, 0x7060004
	v_cndmask_b32_e64 v3, v3, 0, s11
	s_delay_alu instid0(VALU_DEP_2) | instskip(NEXT) | instid1(VALU_DEP_2)
	v_cndmask_b32_e64 v30, v30, v31, s3
	v_add_nc_u32_e32 v4, v3, v4
	s_delay_alu instid0(VALU_DEP_2) | instskip(NEXT) | instid1(VALU_DEP_2)
	v_perm_b32 v31, v30, v32, 0x7060004
	v_add_nc_u32_e32 v5, v4, v5
	s_delay_alu instid0(VALU_DEP_2) | instskip(NEXT) | instid1(VALU_DEP_2)
	v_cndmask_b32_e64 v30, v30, v31, s2
	v_add_nc_u32_e32 v6, v5, v6
	s_delay_alu instid0(VALU_DEP_2) | instskip(NEXT) | instid1(VALU_DEP_1)
	v_perm_b32 v28, v30, v28, 0x7060004
	v_cndmask_b32_e64 v28, v30, v28, s1
	v_lshlrev_b16 v30, 8, v37
	s_delay_alu instid0(VALU_DEP_2) | instskip(NEXT) | instid1(VALU_DEP_1)
	v_perm_b32 v27, v28, v27, 0x7060004
	v_cndmask_b32_e64 v27, v28, v27, s0
	s_delay_alu instid0(VALU_DEP_1) | instskip(NEXT) | instid1(VALU_DEP_1)
	v_lshrrev_b32_e32 v28, 16, v27
	v_and_b32_e32 v28, 0xffffff00, v28
	s_delay_alu instid0(VALU_DEP_1) | instskip(SKIP_1) | instid1(VALU_DEP_2)
	v_or_b32_e32 v25, v25, v28
	v_and_b32_e32 v28, 0xff, v43
	v_lshlrev_b32_e32 v25, 16, v25
	s_delay_alu instid0(VALU_DEP_1) | instskip(NEXT) | instid1(VALU_DEP_1)
	v_and_or_b32 v25, 0xffff, v27, v25
	v_cndmask_b32_e64 v25, v27, v25, s3
	s_delay_alu instid0(VALU_DEP_1) | instskip(NEXT) | instid1(VALU_DEP_1)
	v_lshrrev_b32_e32 v27, 16, v25
	v_and_b32_e32 v27, 0xffffff00, v27
	s_delay_alu instid0(VALU_DEP_1) | instskip(SKIP_1) | instid1(VALU_DEP_2)
	v_or_b32_e32 v27, v28, v27
	v_and_b32_e32 v28, 0xff, v42
	v_lshlrev_b32_e32 v27, 16, v27
	s_delay_alu instid0(VALU_DEP_1) | instskip(NEXT) | instid1(VALU_DEP_1)
	v_and_or_b32 v27, 0xffff, v25, v27
	;; [unrolled: 10-line block ×3, first 2 shown]
	v_cndmask_b32_e64 v25, v25, v27, s1
	s_delay_alu instid0(VALU_DEP_1) | instskip(NEXT) | instid1(VALU_DEP_1)
	v_lshrrev_b32_e32 v27, 16, v25
	v_and_b32_e32 v27, 0xffffff00, v27
	s_delay_alu instid0(VALU_DEP_1) | instskip(SKIP_1) | instid1(VALU_DEP_2)
	v_or_b32_e32 v27, v28, v27
	v_lshlrev_b16 v28, 8, v40
	v_lshlrev_b32_e32 v27, 16, v27
	s_delay_alu instid0(VALU_DEP_1) | instskip(NEXT) | instid1(VALU_DEP_1)
	v_and_or_b32 v27, 0xffff, v25, v27
	v_cndmask_b32_e64 v25, v25, v27, s0
	s_delay_alu instid0(VALU_DEP_1) | instskip(NEXT) | instid1(VALU_DEP_1)
	v_lshrrev_b32_e32 v27, 16, v25
	v_and_b32_e32 v27, 0xff, v27
	s_delay_alu instid0(VALU_DEP_1) | instskip(SKIP_1) | instid1(VALU_DEP_2)
	v_or_b32_e32 v27, v27, v28
	v_lshlrev_b16 v28, 8, v39
	v_lshlrev_b32_e32 v27, 16, v27
	s_delay_alu instid0(VALU_DEP_1) | instskip(NEXT) | instid1(VALU_DEP_1)
	v_and_or_b32 v27, 0xffff, v25, v27
	v_cndmask_b32_e64 v25, v25, v27, s3
	s_delay_alu instid0(VALU_DEP_1) | instskip(NEXT) | instid1(VALU_DEP_1)
	v_lshrrev_b32_e32 v27, 16, v25
	v_and_b32_e32 v27, 0xff, v27
	s_delay_alu instid0(VALU_DEP_1) | instskip(NEXT) | instid1(VALU_DEP_1)
	v_or_b32_e32 v27, v27, v28
	v_lshlrev_b32_e32 v27, 16, v27
	s_delay_alu instid0(VALU_DEP_1) | instskip(NEXT) | instid1(VALU_DEP_1)
	v_and_or_b32 v27, 0xffff, v25, v27
	v_cndmask_b32_e64 v25, v25, v27, s2
	v_add_nc_u32_e32 v27, v6, v7
	s_delay_alu instid0(VALU_DEP_2) | instskip(NEXT) | instid1(VALU_DEP_2)
	v_lshrrev_b32_e32 v7, 16, v25
	v_add_nc_u32_e32 v28, v27, v0
	s_delay_alu instid0(VALU_DEP_2) | instskip(NEXT) | instid1(VALU_DEP_2)
	v_and_b32_e32 v7, 0xff, v7
	v_add_nc_u32_e32 v0, v28, v1
	s_delay_alu instid0(VALU_DEP_2) | instskip(NEXT) | instid1(VALU_DEP_2)
	v_or_b32_e32 v7, v7, v30
	v_add_nc_u32_e32 v1, v0, v2
	ds_store_2addr_b64 v17, v[3:4], v[5:6] offset0:5 offset1:6
	ds_store_2addr_b64 v18, v[27:28], v[0:1] offset0:2 offset1:3
	v_lshlrev_b32_e32 v2, 16, v7
	s_waitcnt lgkmcnt(0)
	s_barrier
	buffer_gl0_inv
	v_lshlrev_b16 v6, 8, v26
	v_and_or_b32 v0, 0xffff, v25, v2
	ds_load_b32 v1, v36
	ds_load_b32 v2, v46
	;; [unrolled: 1-line block ×4, first 2 shown]
	s_waitcnt lgkmcnt(0)
	s_barrier
	v_cndmask_b32_e64 v0, v25, v0, s1
	buffer_gl0_inv
	v_lshrrev_b32_e32 v5, 16, v0
	s_delay_alu instid0(VALU_DEP_1) | instskip(SKIP_1) | instid1(VALU_DEP_2)
	v_and_b32_e32 v5, 0xff, v5
	v_add_nc_u32_e32 v1, v1, v29
	v_or_b32_e32 v5, v5, v6
	v_add3_u32 v2, v45, v44, v2
	v_add3_u32 v4, v53, v52, v4
	;; [unrolled: 1-line block ×3, first 2 shown]
	ds_store_b8 v1, v24
	ds_store_b8 v2, v38
	ds_store_b8 v3, v47
	v_lshlrev_b32_e32 v5, 16, v5
	ds_store_b8 v4, v51
	s_waitcnt lgkmcnt(0)
	s_barrier
	buffer_gl0_inv
	v_and_or_b32 v5, 0xffff, v0, v5
	ds_load_u8 v7, v8
	ds_load_u8 v6, v8 offset:320
	ds_load_u8 v25, v8 offset:640
	;; [unrolled: 1-line block ×3, first 2 shown]
	s_waitcnt lgkmcnt(0)
	s_barrier
	buffer_gl0_inv
	v_cndmask_b32_e64 v0, v0, v5, s0
	s_delay_alu instid0(VALU_DEP_1)
	v_lshrrev_b32_e32 v5, 8, v0
	v_lshrrev_b32_e32 v24, 24, v0
	ds_store_b8 v1, v0
	ds_store_b8 v2, v5
	ds_store_b8_d16_hi v3, v0
	ds_store_b8 v4, v24
	s_waitcnt lgkmcnt(0)
	s_barrier
	buffer_gl0_inv
	ds_load_u8 v2, v8 offset:320
	ds_load_u8 v3, v8 offset:960
	ds_load_u8 v5, v8
	ds_load_u8 v4, v8 offset:640
	v_xor_b32_e32 v6, 0xffffff80, v6
	v_xor_b32_e32 v24, 0xffffff80, v7
	v_xor_b32_e32 v7, 0xffffff80, v26
	v_xor_b32_e32 v25, 0xffffff80, v25
	s_delay_alu instid0(VALU_DEP_4) | instskip(NEXT) | instid1(VALU_DEP_4)
	v_lshlrev_b16 v0, 8, v6
	v_and_b32_e32 v1, 0xff, v24
	s_delay_alu instid0(VALU_DEP_4) | instskip(NEXT) | instid1(VALU_DEP_4)
	v_lshlrev_b16 v26, 8, v7
	v_and_b32_e32 v27, 0xff, v25
	s_delay_alu instid0(VALU_DEP_3) | instskip(NEXT) | instid1(VALU_DEP_2)
	v_or_b32_e32 v0, v1, v0
	v_or_b32_e32 v1, v27, v26
	s_waitcnt lgkmcnt(3)
	v_lshlrev_b16 v28, 8, v2
	s_waitcnt lgkmcnt(2)
	v_lshlrev_b16 v29, 8, v3
	v_and_b32_e32 v0, 0xffff, v0
	v_lshlrev_b32_e32 v1, 16, v1
	s_waitcnt lgkmcnt(1)
	v_or_b32_e32 v26, v5, v28
	s_waitcnt lgkmcnt(0)
	v_or_b32_e32 v27, v4, v29
	v_or_b32_e32 v1, v0, v1
	s_delay_alu instid0(VALU_DEP_3) | instskip(NEXT) | instid1(VALU_DEP_3)
	v_and_b32_e32 v26, 0xffff, v26
	v_lshlrev_b32_e32 v27, 16, v27
	s_delay_alu instid0(VALU_DEP_1)
	v_or_b32_e32 v0, v26, v27
	s_cbranch_scc1 .LBB277_16
.LBB277_2:                              ; =>This Inner Loop Header: Depth=1
	v_lshrrev_b32_e32 v2, 8, v1
	v_xor_b32_e32 v3, 0x80, v1
	v_lshrrev_b32_e32 v4, 16, v1
	v_lshrrev_b32_e32 v1, 24, v1
	s_delay_alu instid0(VALU_DEP_4) | instskip(NEXT) | instid1(VALU_DEP_4)
	v_xor_b32_e32 v2, 0x80, v2
	v_and_b32_e32 v3, 0xff, v3
	s_delay_alu instid0(VALU_DEP_4) | instskip(NEXT) | instid1(VALU_DEP_4)
	v_xor_b32_e32 v4, 0x80, v4
	v_xor_b32_e32 v1, 0x80, v1
	s_barrier
	v_and_b32_e32 v2, 0xff, v2
	ds_bpermute_b32 v5, v13, v3
	v_and_b32_e32 v4, 0xff, v4
	v_and_b32_e32 v1, 0xffff, v1
	s_waitcnt lgkmcnt(0)
	buffer_gl0_inv
	ds_bpermute_b32 v6, v13, v2
	ds_store_2addr_b64 v17, v[9:10], v[11:12] offset0:5 offset1:6
	ds_store_2addr_b64 v18, v[9:10], v[11:12] offset0:2 offset1:3
	ds_bpermute_b32 v7, v13, v4
	ds_bpermute_b32 v24, v13, v1
	s_waitcnt lgkmcnt(0)
	s_barrier
	buffer_gl0_inv
	; wave barrier
	v_perm_b32 v6, v6, v5, 0x3020104
	s_delay_alu instid0(VALU_DEP_1) | instskip(SKIP_2) | instid1(VALU_DEP_1)
	v_cndmask_b32_e64 v5, v5, v6, s2
	ds_bpermute_b32 v6, v14, v3
	v_perm_b32 v7, v7, v5, 0x3020104
	v_cndmask_b32_e64 v5, v5, v7, s1
	s_delay_alu instid0(VALU_DEP_1) | instskip(SKIP_4) | instid1(VALU_DEP_2)
	v_perm_b32 v7, v24, v5, 0x3020104
	ds_bpermute_b32 v24, v14, v2
	v_cndmask_b32_e64 v5, v5, v7, s0
	s_waitcnt lgkmcnt(1)
	v_lshlrev_b16 v6, 8, v6
	v_and_b32_e32 v7, 0xff, v5
	s_delay_alu instid0(VALU_DEP_1) | instskip(NEXT) | instid1(VALU_DEP_1)
	v_or_b32_e32 v6, v7, v6
	v_and_b32_e32 v6, 0xffff, v6
	s_delay_alu instid0(VALU_DEP_1) | instskip(NEXT) | instid1(VALU_DEP_1)
	v_and_or_b32 v6, 0xffff0000, v5, v6
	v_cndmask_b32_e64 v5, v5, v6, s3
	s_waitcnt lgkmcnt(0)
	v_lshlrev_b16 v6, 8, v24
	ds_bpermute_b32 v24, v14, v4
	v_and_b32_e32 v7, 0xff, v5
	s_delay_alu instid0(VALU_DEP_1) | instskip(NEXT) | instid1(VALU_DEP_1)
	v_or_b32_e32 v6, v7, v6
	v_and_b32_e32 v6, 0xffff, v6
	s_delay_alu instid0(VALU_DEP_1) | instskip(NEXT) | instid1(VALU_DEP_1)
	v_and_or_b32 v6, 0xffff0000, v5, v6
	v_cndmask_b32_e64 v5, v5, v6, s2
	s_waitcnt lgkmcnt(0)
	v_lshlrev_b16 v6, 8, v24
	ds_bpermute_b32 v24, v14, v1
	v_and_b32_e32 v7, 0xff, v5
	s_delay_alu instid0(VALU_DEP_1) | instskip(NEXT) | instid1(VALU_DEP_1)
	v_or_b32_e32 v6, v7, v6
	v_and_b32_e32 v6, 0xffff, v6
	s_delay_alu instid0(VALU_DEP_1) | instskip(NEXT) | instid1(VALU_DEP_1)
	v_and_or_b32 v6, 0xffff0000, v5, v6
	v_cndmask_b32_e64 v5, v5, v6, s1
	s_waitcnt lgkmcnt(0)
	v_lshlrev_b16 v6, 8, v24
	s_delay_alu instid0(VALU_DEP_2) | instskip(NEXT) | instid1(VALU_DEP_1)
	v_and_b32_e32 v7, 0xff, v5
	v_or_b32_e32 v6, v7, v6
	ds_bpermute_b32 v7, v15, v3
	ds_bpermute_b32 v3, v16, v3
	v_and_b32_e32 v6, 0xffff, v6
	s_delay_alu instid0(VALU_DEP_1) | instskip(NEXT) | instid1(VALU_DEP_1)
	v_and_or_b32 v6, 0xffff0000, v5, v6
	v_cndmask_b32_e64 v5, v5, v6, s0
	s_delay_alu instid0(VALU_DEP_1)
	v_lshrrev_b32_e32 v6, 16, v5
	s_waitcnt lgkmcnt(1)
	v_and_b32_e32 v7, 0xff, v7
	s_waitcnt lgkmcnt(0)
	v_lshlrev_b16 v3, 8, v3
	v_and_b32_e32 v6, 0xffffff00, v6
	s_delay_alu instid0(VALU_DEP_1) | instskip(SKIP_3) | instid1(VALU_DEP_1)
	v_or_b32_e32 v6, v7, v6
	ds_bpermute_b32 v7, v15, v2
	ds_bpermute_b32 v2, v16, v2
	v_lshlrev_b32_e32 v6, 16, v6
	v_and_or_b32 v6, 0xffff, v5, v6
	s_delay_alu instid0(VALU_DEP_1) | instskip(NEXT) | instid1(VALU_DEP_1)
	v_cndmask_b32_e64 v5, v5, v6, s3
	v_lshrrev_b32_e32 v6, 16, v5
	s_waitcnt lgkmcnt(1)
	v_and_b32_e32 v7, 0xff, v7
	s_waitcnt lgkmcnt(0)
	v_lshlrev_b16 v2, 8, v2
	v_and_b32_e32 v6, 0xffffff00, v6
	s_delay_alu instid0(VALU_DEP_1) | instskip(SKIP_3) | instid1(VALU_DEP_1)
	v_or_b32_e32 v6, v7, v6
	ds_bpermute_b32 v7, v15, v4
	ds_bpermute_b32 v4, v16, v4
	v_lshlrev_b32_e32 v6, 16, v6
	v_and_or_b32 v6, 0xffff, v5, v6
	s_delay_alu instid0(VALU_DEP_1) | instskip(NEXT) | instid1(VALU_DEP_1)
	v_cndmask_b32_e64 v5, v5, v6, s2
	v_lshrrev_b32_e32 v6, 16, v5
	s_waitcnt lgkmcnt(1)
	v_and_b32_e32 v7, 0xff, v7
	s_waitcnt lgkmcnt(0)
	v_lshlrev_b16 v4, 8, v4
	v_and_b32_e32 v6, 0xffffff00, v6
	s_delay_alu instid0(VALU_DEP_1) | instskip(SKIP_3) | instid1(VALU_DEP_1)
	v_or_b32_e32 v6, v7, v6
	ds_bpermute_b32 v7, v15, v1
	ds_bpermute_b32 v1, v16, v1
	v_lshlrev_b32_e32 v6, 16, v6
	v_and_or_b32 v6, 0xffff, v5, v6
	s_delay_alu instid0(VALU_DEP_1) | instskip(NEXT) | instid1(VALU_DEP_1)
	v_cndmask_b32_e64 v5, v5, v6, s1
	v_lshrrev_b32_e32 v6, 16, v5
	s_waitcnt lgkmcnt(1)
	v_and_b32_e32 v7, 0xff, v7
	s_waitcnt lgkmcnt(0)
	v_lshlrev_b16 v1, 8, v1
	v_and_b32_e32 v6, 0xffffff00, v6
	s_delay_alu instid0(VALU_DEP_1) | instskip(NEXT) | instid1(VALU_DEP_1)
	v_or_b32_e32 v6, v7, v6
	v_lshlrev_b32_e32 v6, 16, v6
	s_delay_alu instid0(VALU_DEP_1) | instskip(NEXT) | instid1(VALU_DEP_1)
	v_and_or_b32 v6, 0xffff, v5, v6
	v_cndmask_b32_e64 v5, v5, v6, s0
	s_delay_alu instid0(VALU_DEP_1) | instskip(NEXT) | instid1(VALU_DEP_1)
	v_lshrrev_b32_e32 v6, 16, v5
	v_and_b32_e32 v6, 0xff, v6
	s_delay_alu instid0(VALU_DEP_1) | instskip(NEXT) | instid1(VALU_DEP_1)
	v_or_b32_e32 v3, v6, v3
	v_lshlrev_b32_e32 v3, 16, v3
	s_delay_alu instid0(VALU_DEP_1) | instskip(NEXT) | instid1(VALU_DEP_1)
	v_and_or_b32 v3, 0xffff, v5, v3
	v_cndmask_b32_e64 v3, v5, v3, s3
	s_delay_alu instid0(VALU_DEP_1) | instskip(NEXT) | instid1(VALU_DEP_1)
	v_lshrrev_b32_e32 v5, 16, v3
	v_and_b32_e32 v5, 0xff, v5
	s_delay_alu instid0(VALU_DEP_1) | instskip(SKIP_1) | instid1(VALU_DEP_2)
	v_or_b32_e32 v2, v5, v2
	v_bfe_u32 v5, v0, 16, 8
	v_lshlrev_b32_e32 v2, 16, v2
	ds_bpermute_b32 v34, v13, v5
	ds_bpermute_b32 v28, v14, v5
	ds_bpermute_b32 v42, v15, v5
	v_and_or_b32 v2, 0xffff, v3, v2
	s_delay_alu instid0(VALU_DEP_1) | instskip(NEXT) | instid1(VALU_DEP_1)
	v_cndmask_b32_e64 v2, v3, v2, s2
	v_lshrrev_b32_e32 v3, 16, v2
	s_delay_alu instid0(VALU_DEP_1) | instskip(NEXT) | instid1(VALU_DEP_1)
	v_and_b32_e32 v3, 0xff, v3
	v_or_b32_e32 v3, v3, v4
	v_bfe_u32 v4, v0, 8, 8
	s_delay_alu instid0(VALU_DEP_2)
	v_lshlrev_b32_e32 v3, 16, v3
	ds_bpermute_b32 v35, v13, v4
	ds_bpermute_b32 v32, v14, v4
	;; [unrolled: 1-line block ×4, first 2 shown]
	v_and_or_b32 v3, 0xffff, v2, v3
	s_delay_alu instid0(VALU_DEP_1) | instskip(NEXT) | instid1(VALU_DEP_1)
	v_cndmask_b32_e64 v2, v2, v3, s1
	v_lshrrev_b32_e32 v3, 16, v2
	s_delay_alu instid0(VALU_DEP_1) | instskip(NEXT) | instid1(VALU_DEP_1)
	v_and_b32_e32 v3, 0xff, v3
	v_or_b32_e32 v1, v3, v1
	v_and_b32_e32 v3, 0xff, v0
	v_lshrrev_b32_e32 v0, 24, v0
	s_delay_alu instid0(VALU_DEP_3)
	v_lshlrev_b32_e32 v1, 16, v1
	ds_bpermute_b32 v30, v13, v3
	ds_bpermute_b32 v31, v14, v3
	;; [unrolled: 1-line block ×4, first 2 shown]
	v_and_or_b32 v1, 0xffff, v2, v1
	ds_bpermute_b32 v33, v13, v0
	ds_bpermute_b32 v27, v14, v0
	;; [unrolled: 1-line block ×3, first 2 shown]
	v_cndmask_b32_e64 v24, v2, v1, s0
	s_delay_alu instid0(VALU_DEP_1)
	v_and_b32_e32 v1, 1, v24
	v_lshlrev_b32_e32 v2, 30, v24
	v_lshlrev_b32_e32 v6, 29, v24
	;; [unrolled: 1-line block ×4, first 2 shown]
	v_add_co_u32 v1, s13, v1, -1
	s_delay_alu instid0(VALU_DEP_1)
	v_cndmask_b32_e64 v26, 0, 1, s13
	v_not_b32_e32 v38, v2
	v_cmp_gt_i32_e64 s14, 0, v2
	v_not_b32_e32 v2, v6
	v_lshlrev_b32_e32 v36, 26, v24
	v_cmp_ne_u32_e64 s13, 0, v26
	v_ashrrev_i32_e32 v38, 31, v38
	v_lshlrev_b32_e32 v37, 25, v24
	v_ashrrev_i32_e32 v2, 31, v2
	v_lshlrev_b32_e32 v26, 24, v24
	v_xor_b32_e32 v1, s13, v1
	v_cmp_gt_i32_e64 s13, 0, v6
	v_not_b32_e32 v6, v7
	v_xor_b32_e32 v38, s14, v38
	v_cmp_gt_i32_e64 s14, 0, v7
	v_and_b32_e32 v1, exec_lo, v1
	v_not_b32_e32 v7, v29
	v_ashrrev_i32_e32 v6, 31, v6
	v_xor_b32_e32 v2, s13, v2
	v_cmp_gt_i32_e64 s13, 0, v29
	v_and_b32_e32 v1, v1, v38
	v_not_b32_e32 v29, v36
	v_ashrrev_i32_e32 v7, 31, v7
	v_xor_b32_e32 v6, s14, v6
	v_cmp_gt_i32_e64 s14, 0, v36
	v_and_b32_e32 v1, v1, v2
	;; [unrolled: 5-line block ×4, first 2 shown]
	v_ashrrev_i32_e32 v6, 31, v6
	v_xor_b32_e32 v2, s13, v2
	ds_bpermute_b32 v37, v16, v5
	ds_bpermute_b32 v26, v16, v0
	v_and_b32_e32 v1, v1, v29
	v_xor_b32_e32 v3, s14, v6
	s_delay_alu instid0(VALU_DEP_2) | instskip(NEXT) | instid1(VALU_DEP_1)
	v_and_b32_e32 v1, v1, v2
	v_and_b32_e32 v0, v1, v3
	;; [unrolled: 1-line block ×3, first 2 shown]
	s_delay_alu instid0(VALU_DEP_2) | instskip(NEXT) | instid1(VALU_DEP_2)
	v_mbcnt_lo_u32_b32 v29, v0, 0
	v_mad_u32_u24 v1, v1, 10, v22
	v_cmp_ne_u32_e64 s14, 0, v0
	s_delay_alu instid0(VALU_DEP_3) | instskip(NEXT) | instid1(VALU_DEP_3)
	v_cmp_eq_u32_e64 s13, 0, v29
	v_lshl_add_u32 v36, v1, 2, 40
	s_delay_alu instid0(VALU_DEP_2) | instskip(NEXT) | instid1(SALU_CYCLE_1)
	s_and_b32 s14, s14, s13
	s_and_saveexec_b32 s13, s14
	s_cbranch_execz .LBB277_4
; %bb.3:                                ;   in Loop: Header=BB277_2 Depth=1
	v_bcnt_u32_b32 v0, v0, 0
	ds_store_b32 v36, v0
.LBB277_4:                              ;   in Loop: Header=BB277_2 Depth=1
	s_or_b32 exec_lo, exec_lo, s13
	v_bfe_u32 v0, v24, 8, 1
	v_lshrrev_b32_e32 v38, 8, v24
	; wave barrier
	s_delay_alu instid0(VALU_DEP_2) | instskip(NEXT) | instid1(VALU_DEP_1)
	v_add_co_u32 v0, s13, v0, -1
	v_cndmask_b32_e64 v1, 0, 1, s13
	s_delay_alu instid0(VALU_DEP_3)
	v_lshlrev_b32_e32 v2, 30, v38
	v_lshlrev_b32_e32 v3, 29, v38
	;; [unrolled: 1-line block ×4, first 2 shown]
	v_cmp_ne_u32_e64 s13, 0, v1
	v_not_b32_e32 v1, v2
	v_cmp_gt_i32_e64 s14, 0, v2
	v_not_b32_e32 v2, v3
	v_lshlrev_b32_e32 v6, 26, v38
	v_xor_b32_e32 v0, s13, v0
	v_ashrrev_i32_e32 v1, 31, v1
	v_cmp_gt_i32_e64 s13, 0, v3
	v_not_b32_e32 v3, v4
	v_ashrrev_i32_e32 v2, 31, v2
	v_and_b32_e32 v0, exec_lo, v0
	v_xor_b32_e32 v1, s14, v1
	v_cmp_gt_i32_e64 s14, 0, v4
	v_not_b32_e32 v4, v5
	v_ashrrev_i32_e32 v3, 31, v3
	v_xor_b32_e32 v2, s13, v2
	v_and_b32_e32 v0, v0, v1
	v_cmp_gt_i32_e64 s13, 0, v5
	v_not_b32_e32 v1, v6
	v_ashrrev_i32_e32 v4, 31, v4
	v_xor_b32_e32 v3, s14, v3
	v_and_b32_e32 v0, v0, v2
	v_lshlrev_b32_e32 v2, 25, v38
	v_cmp_gt_i32_e64 s14, 0, v6
	v_ashrrev_i32_e32 v1, 31, v1
	v_xor_b32_e32 v4, s13, v4
	v_and_b32_e32 v0, v0, v3
	v_not_b32_e32 v5, v2
	v_lshlrev_b32_e32 v6, 24, v38
	v_bfe_u32 v3, v24, 8, 8
	v_xor_b32_e32 v1, s14, v1
	v_and_b32_e32 v0, v0, v4
	v_cmp_gt_i32_e64 s13, 0, v2
	v_ashrrev_i32_e32 v2, 31, v5
	v_not_b32_e32 v4, v6
	v_mul_u32_u24_e32 v3, 10, v3
	v_and_b32_e32 v0, v0, v1
	s_delay_alu instid0(VALU_DEP_4) | instskip(SKIP_3) | instid1(VALU_DEP_4)
	v_xor_b32_e32 v1, s13, v2
	v_cmp_gt_i32_e64 s13, 0, v6
	v_ashrrev_i32_e32 v2, 31, v4
	v_add_lshl_u32 v3, v22, v3, 2
	v_and_b32_e32 v0, v0, v1
	s_delay_alu instid0(VALU_DEP_3) | instskip(SKIP_3) | instid1(VALU_DEP_1)
	v_xor_b32_e32 v1, s13, v2
	ds_load_b32 v44, v3 offset:40
	v_add_nc_u32_e32 v46, 40, v3
	; wave barrier
	v_and_b32_e32 v0, v0, v1
	v_mbcnt_lo_u32_b32 v45, v0, 0
	v_cmp_ne_u32_e64 s14, 0, v0
	s_delay_alu instid0(VALU_DEP_2) | instskip(NEXT) | instid1(VALU_DEP_1)
	v_cmp_eq_u32_e64 s13, 0, v45
	s_and_b32 s14, s14, s13
	s_delay_alu instid0(SALU_CYCLE_1)
	s_and_saveexec_b32 s13, s14
	s_cbranch_execz .LBB277_6
; %bb.5:                                ;   in Loop: Header=BB277_2 Depth=1
	s_waitcnt lgkmcnt(0)
	v_bcnt_u32_b32 v0, v0, v44
	ds_store_b32 v46, v0
.LBB277_6:                              ;   in Loop: Header=BB277_2 Depth=1
	s_or_b32 exec_lo, exec_lo, s13
	v_bfe_u32 v0, v24, 16, 1
	v_lshrrev_b32_e32 v47, 16, v24
	; wave barrier
	s_delay_alu instid0(VALU_DEP_2) | instskip(NEXT) | instid1(VALU_DEP_1)
	v_add_co_u32 v0, s13, v0, -1
	v_cndmask_b32_e64 v1, 0, 1, s13
	s_delay_alu instid0(VALU_DEP_3)
	v_lshlrev_b32_e32 v2, 30, v47
	v_lshlrev_b32_e32 v3, 29, v47
	;; [unrolled: 1-line block ×4, first 2 shown]
	v_cmp_ne_u32_e64 s13, 0, v1
	v_not_b32_e32 v1, v2
	v_cmp_gt_i32_e64 s14, 0, v2
	v_not_b32_e32 v2, v3
	v_lshlrev_b32_e32 v6, 26, v47
	v_xor_b32_e32 v0, s13, v0
	v_ashrrev_i32_e32 v1, 31, v1
	v_cmp_gt_i32_e64 s13, 0, v3
	v_not_b32_e32 v3, v4
	v_ashrrev_i32_e32 v2, 31, v2
	v_and_b32_e32 v0, exec_lo, v0
	v_xor_b32_e32 v1, s14, v1
	v_cmp_gt_i32_e64 s14, 0, v4
	v_not_b32_e32 v4, v5
	v_ashrrev_i32_e32 v3, 31, v3
	v_xor_b32_e32 v2, s13, v2
	v_and_b32_e32 v0, v0, v1
	v_cmp_gt_i32_e64 s13, 0, v5
	v_not_b32_e32 v1, v6
	v_ashrrev_i32_e32 v4, 31, v4
	v_xor_b32_e32 v3, s14, v3
	v_and_b32_e32 v0, v0, v2
	v_lshlrev_b32_e32 v2, 25, v47
	v_cmp_gt_i32_e64 s14, 0, v6
	v_ashrrev_i32_e32 v1, 31, v1
	v_xor_b32_e32 v4, s13, v4
	v_and_b32_e32 v0, v0, v3
	v_not_b32_e32 v5, v2
	v_lshlrev_b32_e32 v6, 24, v47
	v_bfe_u32 v3, v24, 16, 8
	v_xor_b32_e32 v1, s14, v1
	v_and_b32_e32 v0, v0, v4
	v_cmp_gt_i32_e64 s13, 0, v2
	v_ashrrev_i32_e32 v2, 31, v5
	v_not_b32_e32 v4, v6
	v_mul_u32_u24_e32 v3, 10, v3
	v_and_b32_e32 v0, v0, v1
	s_delay_alu instid0(VALU_DEP_4) | instskip(SKIP_3) | instid1(VALU_DEP_4)
	v_xor_b32_e32 v1, s13, v2
	v_cmp_gt_i32_e64 s13, 0, v6
	v_ashrrev_i32_e32 v2, 31, v4
	v_add_lshl_u32 v3, v22, v3, 2
	v_and_b32_e32 v0, v0, v1
	s_delay_alu instid0(VALU_DEP_3) | instskip(SKIP_3) | instid1(VALU_DEP_1)
	v_xor_b32_e32 v1, s13, v2
	ds_load_b32 v48, v3 offset:40
	v_add_nc_u32_e32 v50, 40, v3
	; wave barrier
	v_and_b32_e32 v0, v0, v1
	v_mbcnt_lo_u32_b32 v49, v0, 0
	v_cmp_ne_u32_e64 s14, 0, v0
	s_delay_alu instid0(VALU_DEP_2) | instskip(NEXT) | instid1(VALU_DEP_1)
	v_cmp_eq_u32_e64 s13, 0, v49
	s_and_b32 s14, s14, s13
	s_delay_alu instid0(SALU_CYCLE_1)
	s_and_saveexec_b32 s13, s14
	s_cbranch_execz .LBB277_8
; %bb.7:                                ;   in Loop: Header=BB277_2 Depth=1
	s_waitcnt lgkmcnt(0)
	v_bcnt_u32_b32 v0, v0, v48
	ds_store_b32 v50, v0
.LBB277_8:                              ;   in Loop: Header=BB277_2 Depth=1
	s_or_b32 exec_lo, exec_lo, s13
	v_bfe_u32 v0, v24, 24, 1
	v_lshrrev_b32_e32 v51, 24, v24
	; wave barrier
	s_delay_alu instid0(VALU_DEP_2) | instskip(NEXT) | instid1(VALU_DEP_1)
	v_add_co_u32 v0, s13, v0, -1
	v_cndmask_b32_e64 v1, 0, 1, s13
	s_delay_alu instid0(VALU_DEP_3)
	v_lshlrev_b32_e32 v2, 30, v51
	v_lshlrev_b32_e32 v3, 29, v51
	;; [unrolled: 1-line block ×4, first 2 shown]
	v_cmp_ne_u32_e64 s13, 0, v1
	v_not_b32_e32 v1, v2
	v_cmp_gt_i32_e64 s14, 0, v2
	v_not_b32_e32 v2, v3
	v_lshlrev_b32_e32 v6, 26, v51
	v_xor_b32_e32 v0, s13, v0
	v_ashrrev_i32_e32 v1, 31, v1
	v_cmp_gt_i32_e64 s13, 0, v3
	v_not_b32_e32 v3, v4
	v_ashrrev_i32_e32 v2, 31, v2
	v_and_b32_e32 v0, exec_lo, v0
	v_xor_b32_e32 v1, s14, v1
	v_cmp_gt_i32_e64 s14, 0, v4
	v_not_b32_e32 v4, v5
	v_ashrrev_i32_e32 v3, 31, v3
	v_xor_b32_e32 v2, s13, v2
	v_and_b32_e32 v0, v0, v1
	v_lshlrev_b32_e32 v1, 25, v51
	v_cmp_gt_i32_e64 s13, 0, v5
	v_ashrrev_i32_e32 v4, 31, v4
	v_xor_b32_e32 v3, s14, v3
	v_and_b32_e32 v0, v0, v2
	v_not_b32_e32 v5, v6
	v_not_b32_e32 v7, v1
	v_xor_b32_e32 v4, s13, v4
	v_cmp_gt_i32_e64 s13, 0, v6
	v_and_b32_e32 v0, v0, v3
	v_ashrrev_i32_e32 v3, 31, v5
	v_and_b32_e32 v2, 0xff000000, v24
	v_cmp_gt_i32_e64 s14, 0, v1
	v_ashrrev_i32_e32 v1, 31, v7
	v_and_b32_e32 v0, v0, v4
	v_not_b32_e32 v4, v24
	v_xor_b32_e32 v3, s13, v3
	v_mul_u32_u24_e32 v5, 10, v51
	v_xor_b32_e32 v1, s14, v1
	v_cmp_gt_i32_e64 s13, 0, v2
	v_ashrrev_i32_e32 v2, 31, v4
	v_and_b32_e32 v0, v0, v3
	v_add_lshl_u32 v3, v22, v5, 2
	s_delay_alu instid0(VALU_DEP_3) | instskip(NEXT) | instid1(VALU_DEP_3)
	v_xor_b32_e32 v2, s13, v2
	v_and_b32_e32 v0, v0, v1
	ds_load_b32 v52, v3 offset:40
	v_add_nc_u32_e32 v54, 40, v3
	; wave barrier
	v_and_b32_e32 v0, v0, v2
	s_delay_alu instid0(VALU_DEP_1) | instskip(SKIP_1) | instid1(VALU_DEP_2)
	v_mbcnt_lo_u32_b32 v53, v0, 0
	v_cmp_ne_u32_e64 s14, 0, v0
	v_cmp_eq_u32_e64 s13, 0, v53
	s_delay_alu instid0(VALU_DEP_1) | instskip(NEXT) | instid1(SALU_CYCLE_1)
	s_and_b32 s14, s14, s13
	s_and_saveexec_b32 s13, s14
	s_cbranch_execz .LBB277_10
; %bb.9:                                ;   in Loop: Header=BB277_2 Depth=1
	s_waitcnt lgkmcnt(0)
	v_bcnt_u32_b32 v0, v0, v52
	ds_store_b32 v54, v0
.LBB277_10:                             ;   in Loop: Header=BB277_2 Depth=1
	s_or_b32 exec_lo, exec_lo, s13
	; wave barrier
	s_waitcnt lgkmcnt(0)
	s_barrier
	buffer_gl0_inv
	ds_load_2addr_b64 v[4:7], v17 offset0:5 offset1:6
	ds_load_2addr_b64 v[0:3], v18 offset0:2 offset1:3
	s_waitcnt lgkmcnt(1)
	v_add_nc_u32_e32 v55, v5, v4
	s_delay_alu instid0(VALU_DEP_1) | instskip(SKIP_1) | instid1(VALU_DEP_1)
	v_add3_u32 v55, v55, v6, v7
	s_waitcnt lgkmcnt(0)
	v_add3_u32 v55, v55, v0, v1
	s_delay_alu instid0(VALU_DEP_1) | instskip(NEXT) | instid1(VALU_DEP_1)
	v_add3_u32 v3, v55, v2, v3
	v_mov_b32_dpp v55, v3 row_shr:1 row_mask:0xf bank_mask:0xf
	s_delay_alu instid0(VALU_DEP_1) | instskip(NEXT) | instid1(VALU_DEP_1)
	v_cndmask_b32_e64 v55, v55, 0, s4
	v_add_nc_u32_e32 v3, v55, v3
	s_delay_alu instid0(VALU_DEP_1) | instskip(NEXT) | instid1(VALU_DEP_1)
	v_mov_b32_dpp v55, v3 row_shr:2 row_mask:0xf bank_mask:0xf
	v_cndmask_b32_e64 v55, 0, v55, s5
	s_delay_alu instid0(VALU_DEP_1) | instskip(NEXT) | instid1(VALU_DEP_1)
	v_add_nc_u32_e32 v3, v3, v55
	v_mov_b32_dpp v55, v3 row_shr:4 row_mask:0xf bank_mask:0xf
	s_delay_alu instid0(VALU_DEP_1) | instskip(NEXT) | instid1(VALU_DEP_1)
	v_cndmask_b32_e64 v55, 0, v55, s6
	v_add_nc_u32_e32 v3, v3, v55
	s_delay_alu instid0(VALU_DEP_1) | instskip(NEXT) | instid1(VALU_DEP_1)
	v_mov_b32_dpp v55, v3 row_shr:8 row_mask:0xf bank_mask:0xf
	v_cndmask_b32_e64 v55, 0, v55, s7
	s_delay_alu instid0(VALU_DEP_1) | instskip(SKIP_3) | instid1(VALU_DEP_1)
	v_add_nc_u32_e32 v3, v3, v55
	ds_swizzle_b32 v55, v3 offset:swizzle(BROADCAST,32,15)
	s_waitcnt lgkmcnt(0)
	v_cndmask_b32_e64 v55, v55, 0, s8
	v_add_nc_u32_e32 v3, v3, v55
	s_and_saveexec_b32 s13, s12
	s_cbranch_execz .LBB277_12
; %bb.11:                               ;   in Loop: Header=BB277_2 Depth=1
	ds_store_b32 v19, v3
.LBB277_12:                             ;   in Loop: Header=BB277_2 Depth=1
	s_or_b32 exec_lo, exec_lo, s13
	s_waitcnt lgkmcnt(0)
	s_barrier
	buffer_gl0_inv
	s_and_saveexec_b32 s13, s9
	s_cbranch_execz .LBB277_14
; %bb.13:                               ;   in Loop: Header=BB277_2 Depth=1
	ds_load_b32 v55, v23
	s_waitcnt lgkmcnt(0)
	v_mov_b32_dpp v56, v55 row_shr:1 row_mask:0xf bank_mask:0xf
	s_delay_alu instid0(VALU_DEP_1) | instskip(NEXT) | instid1(VALU_DEP_1)
	v_cndmask_b32_e64 v56, v56, 0, s4
	v_add_nc_u32_e32 v55, v56, v55
	s_delay_alu instid0(VALU_DEP_1) | instskip(NEXT) | instid1(VALU_DEP_1)
	v_mov_b32_dpp v56, v55 row_shr:2 row_mask:0xf bank_mask:0xf
	v_cndmask_b32_e64 v56, 0, v56, s5
	s_delay_alu instid0(VALU_DEP_1) | instskip(NEXT) | instid1(VALU_DEP_1)
	v_add_nc_u32_e32 v55, v55, v56
	v_mov_b32_dpp v56, v55 row_shr:4 row_mask:0xf bank_mask:0xf
	s_delay_alu instid0(VALU_DEP_1) | instskip(NEXT) | instid1(VALU_DEP_1)
	v_cndmask_b32_e64 v56, 0, v56, s6
	v_add_nc_u32_e32 v55, v55, v56
	s_delay_alu instid0(VALU_DEP_1) | instskip(NEXT) | instid1(VALU_DEP_1)
	v_mov_b32_dpp v56, v55 row_shr:8 row_mask:0xf bank_mask:0xf
	v_cndmask_b32_e64 v56, 0, v56, s7
	s_delay_alu instid0(VALU_DEP_1)
	v_add_nc_u32_e32 v55, v55, v56
	ds_store_b32 v23, v55
.LBB277_14:                             ;   in Loop: Header=BB277_2 Depth=1
	s_or_b32 exec_lo, exec_lo, s13
	v_mov_b32_e32 v55, 0
	s_waitcnt lgkmcnt(0)
	s_barrier
	buffer_gl0_inv
	s_and_saveexec_b32 s13, s10
	s_cbranch_execz .LBB277_1
; %bb.15:                               ;   in Loop: Header=BB277_2 Depth=1
	ds_load_b32 v55, v21
	s_branch .LBB277_1
.LBB277_16:
	v_add_nc_u16 v0, v24, v5
	v_add_nc_u16 v1, v6, v2
	;; [unrolled: 1-line block ×3, first 2 shown]
	s_add_u32 s0, s18, s15
	v_add_nc_u16 v3, v7, v3
	s_addc_u32 s1, s19, 0
	s_clause 0x3
	global_store_b8 v8, v0, s[0:1]
	global_store_b8 v8, v1, s[0:1] offset:320
	global_store_b8 v8, v2, s[0:1] offset:640
	;; [unrolled: 1-line block ×3, first 2 shown]
	s_nop 0
	s_sendmsg sendmsg(MSG_DEALLOC_VGPRS)
	s_endpgm
	.section	.rodata,"a",@progbits
	.p2align	6, 0x0
	.amdhsa_kernel _Z17sort_pairs_kernelI22helper_blocked_stripedaLj320ELj4ELj10EEvPKT0_PS1_
		.amdhsa_group_segment_fixed_size 10288
		.amdhsa_private_segment_fixed_size 0
		.amdhsa_kernarg_size 272
		.amdhsa_user_sgpr_count 15
		.amdhsa_user_sgpr_dispatch_ptr 0
		.amdhsa_user_sgpr_queue_ptr 0
		.amdhsa_user_sgpr_kernarg_segment_ptr 1
		.amdhsa_user_sgpr_dispatch_id 0
		.amdhsa_user_sgpr_private_segment_size 0
		.amdhsa_wavefront_size32 1
		.amdhsa_uses_dynamic_stack 0
		.amdhsa_enable_private_segment 0
		.amdhsa_system_sgpr_workgroup_id_x 1
		.amdhsa_system_sgpr_workgroup_id_y 0
		.amdhsa_system_sgpr_workgroup_id_z 0
		.amdhsa_system_sgpr_workgroup_info 0
		.amdhsa_system_vgpr_workitem_id 2
		.amdhsa_next_free_vgpr 57
		.amdhsa_next_free_sgpr 20
		.amdhsa_reserve_vcc 1
		.amdhsa_float_round_mode_32 0
		.amdhsa_float_round_mode_16_64 0
		.amdhsa_float_denorm_mode_32 3
		.amdhsa_float_denorm_mode_16_64 3
		.amdhsa_dx10_clamp 1
		.amdhsa_ieee_mode 1
		.amdhsa_fp16_overflow 0
		.amdhsa_workgroup_processor_mode 1
		.amdhsa_memory_ordered 1
		.amdhsa_forward_progress 0
		.amdhsa_shared_vgpr_count 0
		.amdhsa_exception_fp_ieee_invalid_op 0
		.amdhsa_exception_fp_denorm_src 0
		.amdhsa_exception_fp_ieee_div_zero 0
		.amdhsa_exception_fp_ieee_overflow 0
		.amdhsa_exception_fp_ieee_underflow 0
		.amdhsa_exception_fp_ieee_inexact 0
		.amdhsa_exception_int_div_zero 0
	.end_amdhsa_kernel
	.section	.text._Z17sort_pairs_kernelI22helper_blocked_stripedaLj320ELj4ELj10EEvPKT0_PS1_,"axG",@progbits,_Z17sort_pairs_kernelI22helper_blocked_stripedaLj320ELj4ELj10EEvPKT0_PS1_,comdat
.Lfunc_end277:
	.size	_Z17sort_pairs_kernelI22helper_blocked_stripedaLj320ELj4ELj10EEvPKT0_PS1_, .Lfunc_end277-_Z17sort_pairs_kernelI22helper_blocked_stripedaLj320ELj4ELj10EEvPKT0_PS1_
                                        ; -- End function
	.section	.AMDGPU.csdata,"",@progbits
; Kernel info:
; codeLenInByte = 4812
; NumSgprs: 22
; NumVgprs: 57
; ScratchSize: 0
; MemoryBound: 0
; FloatMode: 240
; IeeeMode: 1
; LDSByteSize: 10288 bytes/workgroup (compile time only)
; SGPRBlocks: 2
; VGPRBlocks: 7
; NumSGPRsForWavesPerEU: 22
; NumVGPRsForWavesPerEU: 57
; Occupancy: 15
; WaveLimiterHint : 1
; COMPUTE_PGM_RSRC2:SCRATCH_EN: 0
; COMPUTE_PGM_RSRC2:USER_SGPR: 15
; COMPUTE_PGM_RSRC2:TRAP_HANDLER: 0
; COMPUTE_PGM_RSRC2:TGID_X_EN: 1
; COMPUTE_PGM_RSRC2:TGID_Y_EN: 0
; COMPUTE_PGM_RSRC2:TGID_Z_EN: 0
; COMPUTE_PGM_RSRC2:TIDIG_COMP_CNT: 2
	.section	.text._Z16sort_keys_kernelI22helper_blocked_stripedaLj320ELj8ELj10EEvPKT0_PS1_,"axG",@progbits,_Z16sort_keys_kernelI22helper_blocked_stripedaLj320ELj8ELj10EEvPKT0_PS1_,comdat
	.protected	_Z16sort_keys_kernelI22helper_blocked_stripedaLj320ELj8ELj10EEvPKT0_PS1_ ; -- Begin function _Z16sort_keys_kernelI22helper_blocked_stripedaLj320ELj8ELj10EEvPKT0_PS1_
	.globl	_Z16sort_keys_kernelI22helper_blocked_stripedaLj320ELj8ELj10EEvPKT0_PS1_
	.p2align	8
	.type	_Z16sort_keys_kernelI22helper_blocked_stripedaLj320ELj8ELj10EEvPKT0_PS1_,@function
_Z16sort_keys_kernelI22helper_blocked_stripedaLj320ELj8ELj10EEvPKT0_PS1_: ; @_Z16sort_keys_kernelI22helper_blocked_stripedaLj320ELj8ELj10EEvPKT0_PS1_
; %bb.0:
	s_clause 0x1
	s_load_b128 s[16:19], s[0:1], 0x0
	s_load_b32 s2, s[0:1], 0x1c
	s_mov_b32 s12, 0
	s_mul_i32 s11, s15, 0xa00
	s_mov_b32 s13, s12
	v_and_b32_e32 v8, 0x3ff, v0
	v_bfe_u32 v3, v0, 10, 10
	v_bfe_u32 v0, v0, 20, 10
	v_mbcnt_lo_u32_b32 v6, -1, 0
	s_mov_b32 s14, s12
	v_lshlrev_b32_e32 v5, 3, v8
	s_mov_b32 s15, s12
	v_and_b32_e32 v7, 0x1e0, v8
	v_dual_mov_b32 v11, s14 :: v_dual_mov_b32 v12, s15
	v_cmp_eq_u32_e64 s7, 0, v6
	s_delay_alu instid0(VALU_DEP_3) | instskip(SKIP_3) | instid1(VALU_DEP_1)
	v_or_b32_e32 v9, v6, v7
	s_waitcnt lgkmcnt(0)
	s_add_u32 s0, s16, s11
	s_addc_u32 s1, s17, 0
	v_lshlrev_b32_e32 v14, 3, v9
	global_load_b64 v[1:2], v5, s[0:1]
	s_lshr_b32 s0, s2, 16
	s_delay_alu instid0(SALU_CYCLE_1)
	v_mad_u32_u24 v0, v0, s0, v3
	s_and_b32 s0, s2, 0xffff
	s_delay_alu instid0(VALU_DEP_1) | instid1(SALU_CYCLE_1)
	v_mad_u64_u32 v[3:4], null, v0, s0, v[8:9]
	v_dual_mov_b32 v9, s12 :: v_dual_and_b32 v0, 15, v6
	v_mov_b32_e32 v10, s13
	v_and_or_b32 v15, 0xf00, v5, v6
	v_add_nc_u32_e32 v5, -1, v6
	v_and_b32_e32 v4, 16, v6
	v_lshrrev_b32_e32 v17, 5, v3
	v_min_u32_e32 v3, 0x120, v7
	v_cmp_eq_u32_e32 vcc_lo, 0, v0
	v_cmp_lt_u32_e64 s0, 1, v0
	v_cmp_lt_u32_e64 s1, 3, v0
	;; [unrolled: 1-line block ×3, first 2 shown]
	v_or_b32_e32 v0, 31, v3
	v_lshrrev_b32_e32 v3, 3, v8
	v_cmp_gt_i32_e64 s4, 0, v5
	v_lshlrev_b32_e32 v13, 5, v8
	v_cmp_eq_u32_e64 s3, 0, v4
	v_cmp_gt_u32_e64 s5, 10, v8
	v_and_b32_e32 v18, 60, v3
	v_cndmask_b32_e64 v4, v5, v6, s4
	v_cmp_eq_u32_e64 s4, v0, v8
	v_mul_u32_u24_e32 v0, 3, v8
	v_add_nc_u32_e32 v16, 40, v13
	v_cmp_lt_u32_e64 s6, 31, v8
	v_lshlrev_b32_e32 v19, 2, v4
	v_cmp_eq_u32_e64 s8, 0, v8
	v_add_nc_u32_e32 v20, -4, v18
	v_add_nc_u32_e32 v21, v8, v0
	s_mov_b32 s12, 10
	s_branch .LBB278_2
.LBB278_1:                              ;   in Loop: Header=BB278_2 Depth=1
	s_or_b32 exec_lo, exec_lo, s9
	s_waitcnt lgkmcnt(0)
	v_add_nc_u32_e32 v3, v53, v3
	s_add_i32 s12, s12, -1
	s_delay_alu instid0(SALU_CYCLE_1) | instskip(SKIP_3) | instid1(VALU_DEP_1)
	s_cmp_eq_u32 s12, 0
	ds_bpermute_b32 v3, v19, v3
	s_waitcnt lgkmcnt(0)
	v_cndmask_b32_e64 v3, v3, v53, s7
	v_cndmask_b32_e64 v3, v3, 0, s8
	s_delay_alu instid0(VALU_DEP_1) | instskip(NEXT) | instid1(VALU_DEP_1)
	v_add_nc_u32_e32 v4, v3, v4
	v_add_nc_u32_e32 v5, v4, v5
	s_delay_alu instid0(VALU_DEP_1) | instskip(NEXT) | instid1(VALU_DEP_1)
	v_add_nc_u32_e32 v6, v5, v6
	v_add_nc_u32_e32 v53, v6, v7
	;; [unrolled: 3-line block ×3, first 2 shown]
	s_delay_alu instid0(VALU_DEP_1)
	v_add_nc_u32_e32 v1, v0, v2
	ds_store_2addr_b64 v13, v[3:4], v[5:6] offset0:5 offset1:6
	ds_store_2addr_b64 v16, v[53:54], v[0:1] offset0:2 offset1:3
	s_waitcnt lgkmcnt(0)
	s_barrier
	buffer_gl0_inv
	ds_load_b32 v0, v31
	ds_load_b32 v1, v34
	;; [unrolled: 1-line block ×8, first 2 shown]
	s_waitcnt lgkmcnt(0)
	s_barrier
	buffer_gl0_inv
	v_add_nc_u32_e32 v0, v0, v30
	v_add3_u32 v1, v33, v32, v1
	v_add3_u32 v2, v36, v35, v2
	v_add3_u32 v3, v39, v38, v3
	v_add3_u32 v4, v42, v41, v4
	v_add3_u32 v5, v45, v44, v5
	v_add3_u32 v6, v48, v47, v6
	v_add3_u32 v7, v51, v50, v7
	ds_store_b8 v0, v22
	ds_store_b8 v1, v23
	;; [unrolled: 1-line block ×8, first 2 shown]
	s_waitcnt lgkmcnt(0)
	s_barrier
	buffer_gl0_inv
	ds_load_u8 v0, v8
	ds_load_u8 v1, v8 offset:320
	ds_load_u8 v2, v8 offset:640
	;; [unrolled: 1-line block ×7, first 2 shown]
	s_waitcnt lgkmcnt(7)
	v_xor_b32_e32 v0, 0xffffff80, v0
	s_waitcnt lgkmcnt(6)
	v_xor_b32_e32 v3, 0xffffff80, v1
	;; [unrolled: 2-line block ×8, first 2 shown]
	v_lshlrev_b16 v1, 8, v3
	v_and_b32_e32 v2, 0xff, v0
	v_lshlrev_b16 v24, 8, v5
	v_and_b32_e32 v25, 0xff, v4
	;; [unrolled: 2-line block ×4, first 2 shown]
	v_or_b32_e32 v1, v2, v1
	v_or_b32_e32 v2, v25, v24
	;; [unrolled: 1-line block ×3, first 2 shown]
	s_delay_alu instid0(VALU_DEP_4) | instskip(NEXT) | instid1(VALU_DEP_4)
	v_or_b32_e32 v25, v29, v28
	v_and_b32_e32 v1, 0xffff, v1
	s_delay_alu instid0(VALU_DEP_4) | instskip(NEXT) | instid1(VALU_DEP_4)
	v_lshlrev_b32_e32 v2, 16, v2
	v_and_b32_e32 v24, 0xffff, v24
	s_delay_alu instid0(VALU_DEP_4) | instskip(NEXT) | instid1(VALU_DEP_3)
	v_lshlrev_b32_e32 v25, 16, v25
	v_or_b32_e32 v1, v1, v2
	s_delay_alu instid0(VALU_DEP_2)
	v_or_b32_e32 v2, v24, v25
	s_cbranch_scc1 .LBB278_24
.LBB278_2:                              ; =>This Inner Loop Header: Depth=1
	s_waitcnt vmcnt(0)
	s_delay_alu instid0(VALU_DEP_1)
	v_lshrrev_b32_e32 v0, 16, v2
	v_lshrrev_b32_e32 v3, 16, v1
	v_xor_b32_e32 v4, 0x80, v2
	v_and_b32_e32 v5, 0xffffff00, v1
	v_xor_b32_e32 v1, 0x80, v1
	v_xor_b32_e32 v6, 0x80, v0
	;; [unrolled: 1-line block ×3, first 2 shown]
	v_and_b32_e32 v2, 0xffffff00, v2
	v_and_b32_e32 v4, 0xff, v4
	;; [unrolled: 1-line block ×7, first 2 shown]
	v_or_b32_e32 v2, v4, v2
	v_or_b32_e32 v0, v6, v0
	;; [unrolled: 1-line block ×3, first 2 shown]
	s_delay_alu instid0(VALU_DEP_4) | instskip(NEXT) | instid1(VALU_DEP_4)
	v_or_b32_e32 v3, v7, v3
	v_add_nc_u16 v2, v2, 0x8000
	s_delay_alu instid0(VALU_DEP_4) | instskip(NEXT) | instid1(VALU_DEP_4)
	v_add_nc_u16 v0, v0, 0x8000
	v_add_nc_u16 v1, v1, 0x8000
	s_delay_alu instid0(VALU_DEP_4) | instskip(NEXT) | instid1(VALU_DEP_4)
	v_add_nc_u16 v3, v3, 0x8000
	v_and_b32_e32 v2, 0xffff, v2
	s_delay_alu instid0(VALU_DEP_4) | instskip(NEXT) | instid1(VALU_DEP_4)
	v_lshlrev_b32_e32 v0, 16, v0
	v_and_b32_e32 v4, 0xffff, v1
	s_delay_alu instid0(VALU_DEP_4) | instskip(NEXT) | instid1(VALU_DEP_3)
	v_lshlrev_b32_e32 v3, 16, v3
	v_or_b32_e32 v1, v2, v0
	s_delay_alu instid0(VALU_DEP_2)
	v_or_b32_e32 v0, v4, v3
	ds_store_b64 v14, v[0:1]
	; wave barrier
	ds_load_u8 v22, v15
	ds_load_u8 v23, v15 offset:32
	ds_load_u8 v24, v15 offset:64
	;; [unrolled: 1-line block ×7, first 2 shown]
	; wave barrier
	; wave barrier
	s_waitcnt lgkmcnt(0)
	s_barrier
	buffer_gl0_inv
	ds_store_2addr_b64 v13, v[9:10], v[11:12] offset0:5 offset1:6
	ds_store_2addr_b64 v16, v[9:10], v[11:12] offset0:2 offset1:3
	s_waitcnt lgkmcnt(0)
	s_barrier
	buffer_gl0_inv
	v_and_b32_e32 v0, 1, v22
	v_lshlrev_b32_e32 v1, 30, v22
	v_lshlrev_b32_e32 v2, 29, v22
	;; [unrolled: 1-line block ×4, first 2 shown]
	v_add_co_u32 v0, s9, v0, -1
	s_delay_alu instid0(VALU_DEP_1)
	v_cndmask_b32_e64 v4, 0, 1, s9
	v_not_b32_e32 v30, v1
	v_cmp_gt_i32_e64 s10, 0, v1
	v_not_b32_e32 v1, v2
	v_lshlrev_b32_e32 v6, 26, v22
	v_cmp_ne_u32_e64 s9, 0, v4
	v_ashrrev_i32_e32 v30, 31, v30
	v_lshlrev_b32_e32 v7, 25, v22
	v_ashrrev_i32_e32 v1, 31, v1
	v_lshlrev_b32_e32 v4, 24, v22
	v_xor_b32_e32 v0, s9, v0
	v_cmp_gt_i32_e64 s9, 0, v2
	v_not_b32_e32 v2, v3
	v_xor_b32_e32 v30, s10, v30
	v_cmp_gt_i32_e64 s10, 0, v3
	v_and_b32_e32 v0, exec_lo, v0
	v_not_b32_e32 v3, v5
	v_ashrrev_i32_e32 v2, 31, v2
	v_xor_b32_e32 v1, s9, v1
	v_cmp_gt_i32_e64 s9, 0, v5
	v_and_b32_e32 v0, v0, v30
	v_not_b32_e32 v5, v6
	v_ashrrev_i32_e32 v3, 31, v3
	v_xor_b32_e32 v2, s10, v2
	v_cmp_gt_i32_e64 s10, 0, v6
	v_and_b32_e32 v0, v0, v1
	;; [unrolled: 5-line block ×4, first 2 shown]
	v_ashrrev_i32_e32 v2, 31, v2
	v_xor_b32_e32 v1, s9, v1
	; wave barrier
	s_delay_alu instid0(VALU_DEP_3) | instskip(NEXT) | instid1(VALU_DEP_3)
	v_and_b32_e32 v0, v0, v5
	v_xor_b32_e32 v2, s10, v2
	s_delay_alu instid0(VALU_DEP_2) | instskip(SKIP_1) | instid1(VALU_DEP_2)
	v_and_b32_e32 v0, v0, v1
	v_and_b32_e32 v1, 0xff, v22
	;; [unrolled: 1-line block ×3, first 2 shown]
	s_delay_alu instid0(VALU_DEP_2) | instskip(NEXT) | instid1(VALU_DEP_2)
	v_mad_u32_u24 v1, v1, 10, v17
	v_mbcnt_lo_u32_b32 v30, v0, 0
	v_cmp_ne_u32_e64 s10, 0, v0
	s_delay_alu instid0(VALU_DEP_3) | instskip(NEXT) | instid1(VALU_DEP_3)
	v_lshl_add_u32 v31, v1, 2, 40
	v_cmp_eq_u32_e64 s9, 0, v30
	s_delay_alu instid0(VALU_DEP_1) | instskip(NEXT) | instid1(SALU_CYCLE_1)
	s_and_b32 s10, s10, s9
	s_and_saveexec_b32 s9, s10
	s_cbranch_execz .LBB278_4
; %bb.3:                                ;   in Loop: Header=BB278_2 Depth=1
	v_bcnt_u32_b32 v0, v0, 0
	ds_store_b32 v31, v0
.LBB278_4:                              ;   in Loop: Header=BB278_2 Depth=1
	s_or_b32 exec_lo, exec_lo, s9
	v_and_b32_e32 v0, 1, v23
	v_lshlrev_b32_e32 v2, 30, v23
	v_lshlrev_b32_e32 v4, 29, v23
	;; [unrolled: 1-line block ×4, first 2 shown]
	v_add_co_u32 v0, s9, v0, -1
	s_delay_alu instid0(VALU_DEP_1)
	v_cndmask_b32_e64 v3, 0, 1, s9
	v_not_b32_e32 v7, v2
	v_cmp_gt_i32_e64 s10, 0, v2
	v_not_b32_e32 v2, v4
	v_and_b32_e32 v1, 0xff, v23
	v_cmp_ne_u32_e64 s9, 0, v3
	v_ashrrev_i32_e32 v7, 31, v7
	v_lshlrev_b32_e32 v3, 26, v23
	v_ashrrev_i32_e32 v2, 31, v2
	v_mul_u32_u24_e32 v1, 10, v1
	v_xor_b32_e32 v0, s9, v0
	v_cmp_gt_i32_e64 s9, 0, v4
	v_not_b32_e32 v4, v5
	v_xor_b32_e32 v7, s10, v7
	v_cmp_gt_i32_e64 s10, 0, v5
	v_and_b32_e32 v0, exec_lo, v0
	v_not_b32_e32 v5, v6
	v_ashrrev_i32_e32 v4, 31, v4
	v_xor_b32_e32 v2, s9, v2
	v_cmp_gt_i32_e64 s9, 0, v6
	v_and_b32_e32 v0, v0, v7
	v_lshlrev_b32_e32 v7, 25, v23
	v_ashrrev_i32_e32 v5, 31, v5
	v_xor_b32_e32 v4, s10, v4
	v_not_b32_e32 v6, v3
	v_and_b32_e32 v0, v0, v2
	v_lshlrev_b32_e32 v2, 24, v23
	v_not_b32_e32 v32, v7
	v_xor_b32_e32 v5, s9, v5
	v_cmp_gt_i32_e64 s9, 0, v3
	v_and_b32_e32 v0, v0, v4
	v_ashrrev_i32_e32 v3, 31, v6
	v_cmp_gt_i32_e64 s10, 0, v7
	v_ashrrev_i32_e32 v4, 31, v32
	v_add_lshl_u32 v1, v17, v1, 2
	v_and_b32_e32 v0, v0, v5
	v_not_b32_e32 v5, v2
	v_xor_b32_e32 v3, s9, v3
	v_xor_b32_e32 v4, s10, v4
	v_cmp_gt_i32_e64 s9, 0, v2
	s_delay_alu instid0(VALU_DEP_4) | instskip(NEXT) | instid1(VALU_DEP_4)
	v_ashrrev_i32_e32 v2, 31, v5
	v_and_b32_e32 v0, v0, v3
	; wave barrier
	ds_load_b32 v32, v1 offset:40
	v_add_nc_u32_e32 v34, 40, v1
	v_xor_b32_e32 v2, s9, v2
	v_and_b32_e32 v0, v0, v4
	; wave barrier
	s_delay_alu instid0(VALU_DEP_1) | instskip(NEXT) | instid1(VALU_DEP_1)
	v_and_b32_e32 v0, v0, v2
	v_mbcnt_lo_u32_b32 v33, v0, 0
	v_cmp_ne_u32_e64 s10, 0, v0
	s_delay_alu instid0(VALU_DEP_2) | instskip(NEXT) | instid1(VALU_DEP_1)
	v_cmp_eq_u32_e64 s9, 0, v33
	s_and_b32 s10, s10, s9
	s_delay_alu instid0(SALU_CYCLE_1)
	s_and_saveexec_b32 s9, s10
	s_cbranch_execz .LBB278_6
; %bb.5:                                ;   in Loop: Header=BB278_2 Depth=1
	s_waitcnt lgkmcnt(0)
	v_bcnt_u32_b32 v0, v0, v32
	ds_store_b32 v34, v0
.LBB278_6:                              ;   in Loop: Header=BB278_2 Depth=1
	s_or_b32 exec_lo, exec_lo, s9
	v_and_b32_e32 v0, 1, v24
	v_lshlrev_b32_e32 v2, 30, v24
	v_lshlrev_b32_e32 v4, 29, v24
	;; [unrolled: 1-line block ×4, first 2 shown]
	v_add_co_u32 v0, s9, v0, -1
	s_delay_alu instid0(VALU_DEP_1)
	v_cndmask_b32_e64 v3, 0, 1, s9
	v_not_b32_e32 v7, v2
	v_cmp_gt_i32_e64 s10, 0, v2
	v_not_b32_e32 v2, v4
	v_and_b32_e32 v1, 0xff, v24
	v_cmp_ne_u32_e64 s9, 0, v3
	v_ashrrev_i32_e32 v7, 31, v7
	v_lshlrev_b32_e32 v3, 26, v24
	v_ashrrev_i32_e32 v2, 31, v2
	v_mul_u32_u24_e32 v1, 10, v1
	v_xor_b32_e32 v0, s9, v0
	v_cmp_gt_i32_e64 s9, 0, v4
	v_not_b32_e32 v4, v5
	v_xor_b32_e32 v7, s10, v7
	v_cmp_gt_i32_e64 s10, 0, v5
	v_and_b32_e32 v0, exec_lo, v0
	v_not_b32_e32 v5, v6
	v_ashrrev_i32_e32 v4, 31, v4
	v_xor_b32_e32 v2, s9, v2
	v_cmp_gt_i32_e64 s9, 0, v6
	v_and_b32_e32 v0, v0, v7
	v_lshlrev_b32_e32 v7, 25, v24
	v_ashrrev_i32_e32 v5, 31, v5
	v_xor_b32_e32 v4, s10, v4
	v_not_b32_e32 v6, v3
	v_and_b32_e32 v0, v0, v2
	v_lshlrev_b32_e32 v2, 24, v24
	v_not_b32_e32 v35, v7
	v_xor_b32_e32 v5, s9, v5
	v_cmp_gt_i32_e64 s9, 0, v3
	v_and_b32_e32 v0, v0, v4
	v_ashrrev_i32_e32 v3, 31, v6
	v_cmp_gt_i32_e64 s10, 0, v7
	v_ashrrev_i32_e32 v4, 31, v35
	v_add_lshl_u32 v1, v17, v1, 2
	v_and_b32_e32 v0, v0, v5
	v_not_b32_e32 v5, v2
	v_xor_b32_e32 v3, s9, v3
	v_xor_b32_e32 v4, s10, v4
	v_cmp_gt_i32_e64 s9, 0, v2
	s_delay_alu instid0(VALU_DEP_4) | instskip(NEXT) | instid1(VALU_DEP_4)
	v_ashrrev_i32_e32 v2, 31, v5
	v_and_b32_e32 v0, v0, v3
	; wave barrier
	ds_load_b32 v35, v1 offset:40
	v_add_nc_u32_e32 v37, 40, v1
	v_xor_b32_e32 v2, s9, v2
	v_and_b32_e32 v0, v0, v4
	; wave barrier
	s_delay_alu instid0(VALU_DEP_1) | instskip(NEXT) | instid1(VALU_DEP_1)
	v_and_b32_e32 v0, v0, v2
	v_mbcnt_lo_u32_b32 v36, v0, 0
	v_cmp_ne_u32_e64 s10, 0, v0
	s_delay_alu instid0(VALU_DEP_2) | instskip(NEXT) | instid1(VALU_DEP_1)
	v_cmp_eq_u32_e64 s9, 0, v36
	s_and_b32 s10, s10, s9
	s_delay_alu instid0(SALU_CYCLE_1)
	s_and_saveexec_b32 s9, s10
	s_cbranch_execz .LBB278_8
; %bb.7:                                ;   in Loop: Header=BB278_2 Depth=1
	s_waitcnt lgkmcnt(0)
	v_bcnt_u32_b32 v0, v0, v35
	ds_store_b32 v37, v0
.LBB278_8:                              ;   in Loop: Header=BB278_2 Depth=1
	s_or_b32 exec_lo, exec_lo, s9
	v_and_b32_e32 v0, 1, v25
	v_lshlrev_b32_e32 v2, 30, v25
	v_lshlrev_b32_e32 v4, 29, v25
	;; [unrolled: 1-line block ×4, first 2 shown]
	v_add_co_u32 v0, s9, v0, -1
	s_delay_alu instid0(VALU_DEP_1)
	v_cndmask_b32_e64 v3, 0, 1, s9
	v_not_b32_e32 v7, v2
	v_cmp_gt_i32_e64 s10, 0, v2
	v_not_b32_e32 v2, v4
	v_and_b32_e32 v1, 0xff, v25
	v_cmp_ne_u32_e64 s9, 0, v3
	v_ashrrev_i32_e32 v7, 31, v7
	v_lshlrev_b32_e32 v3, 26, v25
	v_ashrrev_i32_e32 v2, 31, v2
	v_mul_u32_u24_e32 v1, 10, v1
	v_xor_b32_e32 v0, s9, v0
	v_cmp_gt_i32_e64 s9, 0, v4
	v_not_b32_e32 v4, v5
	v_xor_b32_e32 v7, s10, v7
	v_cmp_gt_i32_e64 s10, 0, v5
	v_and_b32_e32 v0, exec_lo, v0
	v_not_b32_e32 v5, v6
	v_ashrrev_i32_e32 v4, 31, v4
	v_xor_b32_e32 v2, s9, v2
	v_cmp_gt_i32_e64 s9, 0, v6
	v_and_b32_e32 v0, v0, v7
	v_lshlrev_b32_e32 v7, 25, v25
	v_ashrrev_i32_e32 v5, 31, v5
	v_xor_b32_e32 v4, s10, v4
	v_not_b32_e32 v6, v3
	v_and_b32_e32 v0, v0, v2
	v_lshlrev_b32_e32 v2, 24, v25
	v_not_b32_e32 v38, v7
	v_xor_b32_e32 v5, s9, v5
	v_cmp_gt_i32_e64 s9, 0, v3
	v_and_b32_e32 v0, v0, v4
	v_ashrrev_i32_e32 v3, 31, v6
	v_cmp_gt_i32_e64 s10, 0, v7
	v_ashrrev_i32_e32 v4, 31, v38
	v_add_lshl_u32 v1, v17, v1, 2
	v_and_b32_e32 v0, v0, v5
	v_not_b32_e32 v5, v2
	v_xor_b32_e32 v3, s9, v3
	v_xor_b32_e32 v4, s10, v4
	v_cmp_gt_i32_e64 s9, 0, v2
	s_delay_alu instid0(VALU_DEP_4) | instskip(NEXT) | instid1(VALU_DEP_4)
	v_ashrrev_i32_e32 v2, 31, v5
	v_and_b32_e32 v0, v0, v3
	; wave barrier
	ds_load_b32 v38, v1 offset:40
	v_add_nc_u32_e32 v40, 40, v1
	v_xor_b32_e32 v2, s9, v2
	v_and_b32_e32 v0, v0, v4
	; wave barrier
	s_delay_alu instid0(VALU_DEP_1) | instskip(NEXT) | instid1(VALU_DEP_1)
	v_and_b32_e32 v0, v0, v2
	v_mbcnt_lo_u32_b32 v39, v0, 0
	v_cmp_ne_u32_e64 s10, 0, v0
	s_delay_alu instid0(VALU_DEP_2) | instskip(NEXT) | instid1(VALU_DEP_1)
	v_cmp_eq_u32_e64 s9, 0, v39
	s_and_b32 s10, s10, s9
	s_delay_alu instid0(SALU_CYCLE_1)
	s_and_saveexec_b32 s9, s10
	s_cbranch_execz .LBB278_10
; %bb.9:                                ;   in Loop: Header=BB278_2 Depth=1
	s_waitcnt lgkmcnt(0)
	v_bcnt_u32_b32 v0, v0, v38
	ds_store_b32 v40, v0
.LBB278_10:                             ;   in Loop: Header=BB278_2 Depth=1
	s_or_b32 exec_lo, exec_lo, s9
	v_and_b32_e32 v0, 1, v26
	v_lshlrev_b32_e32 v2, 30, v26
	v_lshlrev_b32_e32 v4, 29, v26
	v_lshlrev_b32_e32 v5, 28, v26
	v_lshlrev_b32_e32 v6, 27, v26
	v_add_co_u32 v0, s9, v0, -1
	s_delay_alu instid0(VALU_DEP_1)
	v_cndmask_b32_e64 v3, 0, 1, s9
	v_not_b32_e32 v7, v2
	v_cmp_gt_i32_e64 s10, 0, v2
	v_not_b32_e32 v2, v4
	v_and_b32_e32 v1, 0xff, v26
	v_cmp_ne_u32_e64 s9, 0, v3
	v_ashrrev_i32_e32 v7, 31, v7
	v_lshlrev_b32_e32 v3, 26, v26
	v_ashrrev_i32_e32 v2, 31, v2
	v_mul_u32_u24_e32 v1, 10, v1
	v_xor_b32_e32 v0, s9, v0
	v_cmp_gt_i32_e64 s9, 0, v4
	v_not_b32_e32 v4, v5
	v_xor_b32_e32 v7, s10, v7
	v_cmp_gt_i32_e64 s10, 0, v5
	v_and_b32_e32 v0, exec_lo, v0
	v_not_b32_e32 v5, v6
	v_ashrrev_i32_e32 v4, 31, v4
	v_xor_b32_e32 v2, s9, v2
	v_cmp_gt_i32_e64 s9, 0, v6
	v_and_b32_e32 v0, v0, v7
	v_lshlrev_b32_e32 v7, 25, v26
	v_ashrrev_i32_e32 v5, 31, v5
	v_xor_b32_e32 v4, s10, v4
	v_not_b32_e32 v6, v3
	v_and_b32_e32 v0, v0, v2
	v_lshlrev_b32_e32 v2, 24, v26
	v_not_b32_e32 v41, v7
	v_xor_b32_e32 v5, s9, v5
	v_cmp_gt_i32_e64 s9, 0, v3
	v_and_b32_e32 v0, v0, v4
	v_ashrrev_i32_e32 v3, 31, v6
	v_cmp_gt_i32_e64 s10, 0, v7
	v_ashrrev_i32_e32 v4, 31, v41
	v_add_lshl_u32 v1, v17, v1, 2
	v_and_b32_e32 v0, v0, v5
	v_not_b32_e32 v5, v2
	v_xor_b32_e32 v3, s9, v3
	v_xor_b32_e32 v4, s10, v4
	v_cmp_gt_i32_e64 s9, 0, v2
	s_delay_alu instid0(VALU_DEP_4) | instskip(NEXT) | instid1(VALU_DEP_4)
	v_ashrrev_i32_e32 v2, 31, v5
	v_and_b32_e32 v0, v0, v3
	; wave barrier
	ds_load_b32 v41, v1 offset:40
	v_add_nc_u32_e32 v43, 40, v1
	v_xor_b32_e32 v2, s9, v2
	v_and_b32_e32 v0, v0, v4
	; wave barrier
	s_delay_alu instid0(VALU_DEP_1) | instskip(NEXT) | instid1(VALU_DEP_1)
	v_and_b32_e32 v0, v0, v2
	v_mbcnt_lo_u32_b32 v42, v0, 0
	v_cmp_ne_u32_e64 s10, 0, v0
	s_delay_alu instid0(VALU_DEP_2) | instskip(NEXT) | instid1(VALU_DEP_1)
	v_cmp_eq_u32_e64 s9, 0, v42
	s_and_b32 s10, s10, s9
	s_delay_alu instid0(SALU_CYCLE_1)
	s_and_saveexec_b32 s9, s10
	s_cbranch_execz .LBB278_12
; %bb.11:                               ;   in Loop: Header=BB278_2 Depth=1
	s_waitcnt lgkmcnt(0)
	v_bcnt_u32_b32 v0, v0, v41
	ds_store_b32 v43, v0
.LBB278_12:                             ;   in Loop: Header=BB278_2 Depth=1
	s_or_b32 exec_lo, exec_lo, s9
	v_and_b32_e32 v0, 1, v27
	v_lshlrev_b32_e32 v2, 30, v27
	v_lshlrev_b32_e32 v4, 29, v27
	;; [unrolled: 1-line block ×4, first 2 shown]
	v_add_co_u32 v0, s9, v0, -1
	s_delay_alu instid0(VALU_DEP_1)
	v_cndmask_b32_e64 v3, 0, 1, s9
	v_not_b32_e32 v7, v2
	v_cmp_gt_i32_e64 s10, 0, v2
	v_not_b32_e32 v2, v4
	v_and_b32_e32 v1, 0xff, v27
	v_cmp_ne_u32_e64 s9, 0, v3
	v_ashrrev_i32_e32 v7, 31, v7
	v_lshlrev_b32_e32 v3, 26, v27
	v_ashrrev_i32_e32 v2, 31, v2
	v_mul_u32_u24_e32 v1, 10, v1
	v_xor_b32_e32 v0, s9, v0
	v_cmp_gt_i32_e64 s9, 0, v4
	v_not_b32_e32 v4, v5
	v_xor_b32_e32 v7, s10, v7
	v_cmp_gt_i32_e64 s10, 0, v5
	v_and_b32_e32 v0, exec_lo, v0
	v_not_b32_e32 v5, v6
	v_ashrrev_i32_e32 v4, 31, v4
	v_xor_b32_e32 v2, s9, v2
	v_cmp_gt_i32_e64 s9, 0, v6
	v_and_b32_e32 v0, v0, v7
	v_lshlrev_b32_e32 v7, 25, v27
	v_ashrrev_i32_e32 v5, 31, v5
	v_xor_b32_e32 v4, s10, v4
	v_not_b32_e32 v6, v3
	v_and_b32_e32 v0, v0, v2
	v_lshlrev_b32_e32 v2, 24, v27
	v_not_b32_e32 v44, v7
	v_xor_b32_e32 v5, s9, v5
	v_cmp_gt_i32_e64 s9, 0, v3
	v_and_b32_e32 v0, v0, v4
	v_ashrrev_i32_e32 v3, 31, v6
	v_cmp_gt_i32_e64 s10, 0, v7
	v_ashrrev_i32_e32 v4, 31, v44
	v_add_lshl_u32 v1, v17, v1, 2
	v_and_b32_e32 v0, v0, v5
	v_not_b32_e32 v5, v2
	v_xor_b32_e32 v3, s9, v3
	v_xor_b32_e32 v4, s10, v4
	v_cmp_gt_i32_e64 s9, 0, v2
	s_delay_alu instid0(VALU_DEP_4) | instskip(NEXT) | instid1(VALU_DEP_4)
	v_ashrrev_i32_e32 v2, 31, v5
	v_and_b32_e32 v0, v0, v3
	; wave barrier
	ds_load_b32 v44, v1 offset:40
	v_add_nc_u32_e32 v46, 40, v1
	v_xor_b32_e32 v2, s9, v2
	v_and_b32_e32 v0, v0, v4
	; wave barrier
	s_delay_alu instid0(VALU_DEP_1) | instskip(NEXT) | instid1(VALU_DEP_1)
	v_and_b32_e32 v0, v0, v2
	v_mbcnt_lo_u32_b32 v45, v0, 0
	v_cmp_ne_u32_e64 s10, 0, v0
	s_delay_alu instid0(VALU_DEP_2) | instskip(NEXT) | instid1(VALU_DEP_1)
	v_cmp_eq_u32_e64 s9, 0, v45
	s_and_b32 s10, s10, s9
	s_delay_alu instid0(SALU_CYCLE_1)
	s_and_saveexec_b32 s9, s10
	s_cbranch_execz .LBB278_14
; %bb.13:                               ;   in Loop: Header=BB278_2 Depth=1
	s_waitcnt lgkmcnt(0)
	v_bcnt_u32_b32 v0, v0, v44
	ds_store_b32 v46, v0
.LBB278_14:                             ;   in Loop: Header=BB278_2 Depth=1
	s_or_b32 exec_lo, exec_lo, s9
	v_and_b32_e32 v0, 1, v28
	v_lshlrev_b32_e32 v2, 30, v28
	v_lshlrev_b32_e32 v4, 29, v28
	;; [unrolled: 1-line block ×4, first 2 shown]
	v_add_co_u32 v0, s9, v0, -1
	s_delay_alu instid0(VALU_DEP_1)
	v_cndmask_b32_e64 v3, 0, 1, s9
	v_not_b32_e32 v7, v2
	v_cmp_gt_i32_e64 s10, 0, v2
	v_not_b32_e32 v2, v4
	v_and_b32_e32 v1, 0xff, v28
	v_cmp_ne_u32_e64 s9, 0, v3
	v_ashrrev_i32_e32 v7, 31, v7
	v_lshlrev_b32_e32 v3, 26, v28
	v_ashrrev_i32_e32 v2, 31, v2
	v_mul_u32_u24_e32 v1, 10, v1
	v_xor_b32_e32 v0, s9, v0
	v_cmp_gt_i32_e64 s9, 0, v4
	v_not_b32_e32 v4, v5
	v_xor_b32_e32 v7, s10, v7
	v_cmp_gt_i32_e64 s10, 0, v5
	v_and_b32_e32 v0, exec_lo, v0
	v_not_b32_e32 v5, v6
	v_ashrrev_i32_e32 v4, 31, v4
	v_xor_b32_e32 v2, s9, v2
	v_cmp_gt_i32_e64 s9, 0, v6
	v_and_b32_e32 v0, v0, v7
	v_lshlrev_b32_e32 v7, 25, v28
	v_ashrrev_i32_e32 v5, 31, v5
	v_xor_b32_e32 v4, s10, v4
	v_not_b32_e32 v6, v3
	v_and_b32_e32 v0, v0, v2
	v_lshlrev_b32_e32 v2, 24, v28
	v_not_b32_e32 v47, v7
	v_xor_b32_e32 v5, s9, v5
	v_cmp_gt_i32_e64 s9, 0, v3
	v_and_b32_e32 v0, v0, v4
	v_ashrrev_i32_e32 v3, 31, v6
	v_cmp_gt_i32_e64 s10, 0, v7
	v_ashrrev_i32_e32 v4, 31, v47
	v_add_lshl_u32 v1, v17, v1, 2
	v_and_b32_e32 v0, v0, v5
	v_not_b32_e32 v5, v2
	v_xor_b32_e32 v3, s9, v3
	v_xor_b32_e32 v4, s10, v4
	v_cmp_gt_i32_e64 s9, 0, v2
	s_delay_alu instid0(VALU_DEP_4) | instskip(NEXT) | instid1(VALU_DEP_4)
	v_ashrrev_i32_e32 v2, 31, v5
	v_and_b32_e32 v0, v0, v3
	; wave barrier
	ds_load_b32 v47, v1 offset:40
	v_add_nc_u32_e32 v49, 40, v1
	v_xor_b32_e32 v2, s9, v2
	v_and_b32_e32 v0, v0, v4
	; wave barrier
	s_delay_alu instid0(VALU_DEP_1) | instskip(NEXT) | instid1(VALU_DEP_1)
	v_and_b32_e32 v0, v0, v2
	v_mbcnt_lo_u32_b32 v48, v0, 0
	v_cmp_ne_u32_e64 s10, 0, v0
	s_delay_alu instid0(VALU_DEP_2) | instskip(NEXT) | instid1(VALU_DEP_1)
	v_cmp_eq_u32_e64 s9, 0, v48
	s_and_b32 s10, s10, s9
	s_delay_alu instid0(SALU_CYCLE_1)
	s_and_saveexec_b32 s9, s10
	s_cbranch_execz .LBB278_16
; %bb.15:                               ;   in Loop: Header=BB278_2 Depth=1
	s_waitcnt lgkmcnt(0)
	v_bcnt_u32_b32 v0, v0, v47
	ds_store_b32 v49, v0
.LBB278_16:                             ;   in Loop: Header=BB278_2 Depth=1
	s_or_b32 exec_lo, exec_lo, s9
	v_and_b32_e32 v0, 1, v29
	v_lshlrev_b32_e32 v2, 30, v29
	v_lshlrev_b32_e32 v4, 29, v29
	;; [unrolled: 1-line block ×4, first 2 shown]
	v_add_co_u32 v0, s9, v0, -1
	s_delay_alu instid0(VALU_DEP_1)
	v_cndmask_b32_e64 v3, 0, 1, s9
	v_not_b32_e32 v7, v2
	v_cmp_gt_i32_e64 s10, 0, v2
	v_not_b32_e32 v2, v4
	v_and_b32_e32 v1, 0xff, v29
	v_cmp_ne_u32_e64 s9, 0, v3
	v_ashrrev_i32_e32 v7, 31, v7
	v_lshlrev_b32_e32 v3, 26, v29
	v_ashrrev_i32_e32 v2, 31, v2
	v_mul_u32_u24_e32 v1, 10, v1
	v_xor_b32_e32 v0, s9, v0
	v_cmp_gt_i32_e64 s9, 0, v4
	v_not_b32_e32 v4, v5
	v_xor_b32_e32 v7, s10, v7
	v_cmp_gt_i32_e64 s10, 0, v5
	v_and_b32_e32 v0, exec_lo, v0
	v_not_b32_e32 v5, v6
	v_ashrrev_i32_e32 v4, 31, v4
	v_xor_b32_e32 v2, s9, v2
	v_cmp_gt_i32_e64 s9, 0, v6
	v_and_b32_e32 v0, v0, v7
	v_lshlrev_b32_e32 v7, 25, v29
	v_ashrrev_i32_e32 v5, 31, v5
	v_xor_b32_e32 v4, s10, v4
	v_not_b32_e32 v6, v3
	v_and_b32_e32 v0, v0, v2
	v_lshlrev_b32_e32 v2, 24, v29
	v_not_b32_e32 v50, v7
	v_xor_b32_e32 v5, s9, v5
	v_cmp_gt_i32_e64 s9, 0, v3
	v_and_b32_e32 v0, v0, v4
	v_ashrrev_i32_e32 v3, 31, v6
	v_cmp_gt_i32_e64 s10, 0, v7
	v_ashrrev_i32_e32 v4, 31, v50
	v_add_lshl_u32 v1, v17, v1, 2
	v_and_b32_e32 v0, v0, v5
	v_not_b32_e32 v5, v2
	v_xor_b32_e32 v3, s9, v3
	v_xor_b32_e32 v4, s10, v4
	v_cmp_gt_i32_e64 s9, 0, v2
	s_delay_alu instid0(VALU_DEP_4) | instskip(NEXT) | instid1(VALU_DEP_4)
	v_ashrrev_i32_e32 v2, 31, v5
	v_and_b32_e32 v0, v0, v3
	; wave barrier
	ds_load_b32 v50, v1 offset:40
	v_add_nc_u32_e32 v52, 40, v1
	v_xor_b32_e32 v2, s9, v2
	v_and_b32_e32 v0, v0, v4
	; wave barrier
	s_delay_alu instid0(VALU_DEP_1) | instskip(NEXT) | instid1(VALU_DEP_1)
	v_and_b32_e32 v0, v0, v2
	v_mbcnt_lo_u32_b32 v51, v0, 0
	v_cmp_ne_u32_e64 s10, 0, v0
	s_delay_alu instid0(VALU_DEP_2) | instskip(NEXT) | instid1(VALU_DEP_1)
	v_cmp_eq_u32_e64 s9, 0, v51
	s_and_b32 s10, s10, s9
	s_delay_alu instid0(SALU_CYCLE_1)
	s_and_saveexec_b32 s9, s10
	s_cbranch_execz .LBB278_18
; %bb.17:                               ;   in Loop: Header=BB278_2 Depth=1
	s_waitcnt lgkmcnt(0)
	v_bcnt_u32_b32 v0, v0, v50
	ds_store_b32 v52, v0
.LBB278_18:                             ;   in Loop: Header=BB278_2 Depth=1
	s_or_b32 exec_lo, exec_lo, s9
	; wave barrier
	s_waitcnt lgkmcnt(0)
	s_barrier
	buffer_gl0_inv
	ds_load_2addr_b64 v[4:7], v13 offset0:5 offset1:6
	ds_load_2addr_b64 v[0:3], v16 offset0:2 offset1:3
	s_waitcnt lgkmcnt(1)
	v_add_nc_u32_e32 v53, v5, v4
	s_delay_alu instid0(VALU_DEP_1) | instskip(SKIP_1) | instid1(VALU_DEP_1)
	v_add3_u32 v53, v53, v6, v7
	s_waitcnt lgkmcnt(0)
	v_add3_u32 v53, v53, v0, v1
	s_delay_alu instid0(VALU_DEP_1) | instskip(NEXT) | instid1(VALU_DEP_1)
	v_add3_u32 v3, v53, v2, v3
	v_mov_b32_dpp v53, v3 row_shr:1 row_mask:0xf bank_mask:0xf
	s_delay_alu instid0(VALU_DEP_1) | instskip(NEXT) | instid1(VALU_DEP_1)
	v_cndmask_b32_e64 v53, v53, 0, vcc_lo
	v_add_nc_u32_e32 v3, v53, v3
	s_delay_alu instid0(VALU_DEP_1) | instskip(NEXT) | instid1(VALU_DEP_1)
	v_mov_b32_dpp v53, v3 row_shr:2 row_mask:0xf bank_mask:0xf
	v_cndmask_b32_e64 v53, 0, v53, s0
	s_delay_alu instid0(VALU_DEP_1) | instskip(NEXT) | instid1(VALU_DEP_1)
	v_add_nc_u32_e32 v3, v3, v53
	v_mov_b32_dpp v53, v3 row_shr:4 row_mask:0xf bank_mask:0xf
	s_delay_alu instid0(VALU_DEP_1) | instskip(NEXT) | instid1(VALU_DEP_1)
	v_cndmask_b32_e64 v53, 0, v53, s1
	v_add_nc_u32_e32 v3, v3, v53
	s_delay_alu instid0(VALU_DEP_1) | instskip(NEXT) | instid1(VALU_DEP_1)
	v_mov_b32_dpp v53, v3 row_shr:8 row_mask:0xf bank_mask:0xf
	v_cndmask_b32_e64 v53, 0, v53, s2
	s_delay_alu instid0(VALU_DEP_1) | instskip(SKIP_3) | instid1(VALU_DEP_1)
	v_add_nc_u32_e32 v3, v3, v53
	ds_swizzle_b32 v53, v3 offset:swizzle(BROADCAST,32,15)
	s_waitcnt lgkmcnt(0)
	v_cndmask_b32_e64 v53, v53, 0, s3
	v_add_nc_u32_e32 v3, v3, v53
	s_and_saveexec_b32 s9, s4
	s_cbranch_execz .LBB278_20
; %bb.19:                               ;   in Loop: Header=BB278_2 Depth=1
	ds_store_b32 v18, v3
.LBB278_20:                             ;   in Loop: Header=BB278_2 Depth=1
	s_or_b32 exec_lo, exec_lo, s9
	s_waitcnt lgkmcnt(0)
	s_barrier
	buffer_gl0_inv
	s_and_saveexec_b32 s9, s5
	s_cbranch_execz .LBB278_22
; %bb.21:                               ;   in Loop: Header=BB278_2 Depth=1
	ds_load_b32 v53, v21
	s_waitcnt lgkmcnt(0)
	v_mov_b32_dpp v54, v53 row_shr:1 row_mask:0xf bank_mask:0xf
	s_delay_alu instid0(VALU_DEP_1) | instskip(NEXT) | instid1(VALU_DEP_1)
	v_cndmask_b32_e64 v54, v54, 0, vcc_lo
	v_add_nc_u32_e32 v53, v54, v53
	s_delay_alu instid0(VALU_DEP_1) | instskip(NEXT) | instid1(VALU_DEP_1)
	v_mov_b32_dpp v54, v53 row_shr:2 row_mask:0xf bank_mask:0xf
	v_cndmask_b32_e64 v54, 0, v54, s0
	s_delay_alu instid0(VALU_DEP_1) | instskip(NEXT) | instid1(VALU_DEP_1)
	v_add_nc_u32_e32 v53, v53, v54
	v_mov_b32_dpp v54, v53 row_shr:4 row_mask:0xf bank_mask:0xf
	s_delay_alu instid0(VALU_DEP_1) | instskip(NEXT) | instid1(VALU_DEP_1)
	v_cndmask_b32_e64 v54, 0, v54, s1
	v_add_nc_u32_e32 v53, v53, v54
	s_delay_alu instid0(VALU_DEP_1) | instskip(NEXT) | instid1(VALU_DEP_1)
	v_mov_b32_dpp v54, v53 row_shr:8 row_mask:0xf bank_mask:0xf
	v_cndmask_b32_e64 v54, 0, v54, s2
	s_delay_alu instid0(VALU_DEP_1)
	v_add_nc_u32_e32 v53, v53, v54
	ds_store_b32 v21, v53
.LBB278_22:                             ;   in Loop: Header=BB278_2 Depth=1
	s_or_b32 exec_lo, exec_lo, s9
	v_mov_b32_e32 v53, 0
	s_waitcnt lgkmcnt(0)
	s_barrier
	buffer_gl0_inv
	s_and_saveexec_b32 s9, s6
	s_cbranch_execz .LBB278_1
; %bb.23:                               ;   in Loop: Header=BB278_2 Depth=1
	ds_load_b32 v53, v20
	s_branch .LBB278_1
.LBB278_24:
	s_add_u32 s0, s18, s11
	s_addc_u32 s1, s19, 0
	s_clause 0x7
	global_store_b8 v8, v0, s[0:1]
	global_store_b8 v8, v3, s[0:1] offset:320
	global_store_b8 v8, v4, s[0:1] offset:640
	;; [unrolled: 1-line block ×7, first 2 shown]
	s_nop 0
	s_sendmsg sendmsg(MSG_DEALLOC_VGPRS)
	s_endpgm
	.section	.rodata,"a",@progbits
	.p2align	6, 0x0
	.amdhsa_kernel _Z16sort_keys_kernelI22helper_blocked_stripedaLj320ELj8ELj10EEvPKT0_PS1_
		.amdhsa_group_segment_fixed_size 10288
		.amdhsa_private_segment_fixed_size 0
		.amdhsa_kernarg_size 272
		.amdhsa_user_sgpr_count 15
		.amdhsa_user_sgpr_dispatch_ptr 0
		.amdhsa_user_sgpr_queue_ptr 0
		.amdhsa_user_sgpr_kernarg_segment_ptr 1
		.amdhsa_user_sgpr_dispatch_id 0
		.amdhsa_user_sgpr_private_segment_size 0
		.amdhsa_wavefront_size32 1
		.amdhsa_uses_dynamic_stack 0
		.amdhsa_enable_private_segment 0
		.amdhsa_system_sgpr_workgroup_id_x 1
		.amdhsa_system_sgpr_workgroup_id_y 0
		.amdhsa_system_sgpr_workgroup_id_z 0
		.amdhsa_system_sgpr_workgroup_info 0
		.amdhsa_system_vgpr_workitem_id 2
		.amdhsa_next_free_vgpr 55
		.amdhsa_next_free_sgpr 20
		.amdhsa_reserve_vcc 1
		.amdhsa_float_round_mode_32 0
		.amdhsa_float_round_mode_16_64 0
		.amdhsa_float_denorm_mode_32 3
		.amdhsa_float_denorm_mode_16_64 3
		.amdhsa_dx10_clamp 1
		.amdhsa_ieee_mode 1
		.amdhsa_fp16_overflow 0
		.amdhsa_workgroup_processor_mode 1
		.amdhsa_memory_ordered 1
		.amdhsa_forward_progress 0
		.amdhsa_shared_vgpr_count 0
		.amdhsa_exception_fp_ieee_invalid_op 0
		.amdhsa_exception_fp_denorm_src 0
		.amdhsa_exception_fp_ieee_div_zero 0
		.amdhsa_exception_fp_ieee_overflow 0
		.amdhsa_exception_fp_ieee_underflow 0
		.amdhsa_exception_fp_ieee_inexact 0
		.amdhsa_exception_int_div_zero 0
	.end_amdhsa_kernel
	.section	.text._Z16sort_keys_kernelI22helper_blocked_stripedaLj320ELj8ELj10EEvPKT0_PS1_,"axG",@progbits,_Z16sort_keys_kernelI22helper_blocked_stripedaLj320ELj8ELj10EEvPKT0_PS1_,comdat
.Lfunc_end278:
	.size	_Z16sort_keys_kernelI22helper_blocked_stripedaLj320ELj8ELj10EEvPKT0_PS1_, .Lfunc_end278-_Z16sort_keys_kernelI22helper_blocked_stripedaLj320ELj8ELj10EEvPKT0_PS1_
                                        ; -- End function
	.section	.AMDGPU.csdata,"",@progbits
; Kernel info:
; codeLenInByte = 4584
; NumSgprs: 22
; NumVgprs: 55
; ScratchSize: 0
; MemoryBound: 0
; FloatMode: 240
; IeeeMode: 1
; LDSByteSize: 10288 bytes/workgroup (compile time only)
; SGPRBlocks: 2
; VGPRBlocks: 6
; NumSGPRsForWavesPerEU: 22
; NumVGPRsForWavesPerEU: 55
; Occupancy: 15
; WaveLimiterHint : 1
; COMPUTE_PGM_RSRC2:SCRATCH_EN: 0
; COMPUTE_PGM_RSRC2:USER_SGPR: 15
; COMPUTE_PGM_RSRC2:TRAP_HANDLER: 0
; COMPUTE_PGM_RSRC2:TGID_X_EN: 1
; COMPUTE_PGM_RSRC2:TGID_Y_EN: 0
; COMPUTE_PGM_RSRC2:TGID_Z_EN: 0
; COMPUTE_PGM_RSRC2:TIDIG_COMP_CNT: 2
	.section	.text._Z17sort_pairs_kernelI22helper_blocked_stripedaLj320ELj8ELj10EEvPKT0_PS1_,"axG",@progbits,_Z17sort_pairs_kernelI22helper_blocked_stripedaLj320ELj8ELj10EEvPKT0_PS1_,comdat
	.protected	_Z17sort_pairs_kernelI22helper_blocked_stripedaLj320ELj8ELj10EEvPKT0_PS1_ ; -- Begin function _Z17sort_pairs_kernelI22helper_blocked_stripedaLj320ELj8ELj10EEvPKT0_PS1_
	.globl	_Z17sort_pairs_kernelI22helper_blocked_stripedaLj320ELj8ELj10EEvPKT0_PS1_
	.p2align	8
	.type	_Z17sort_pairs_kernelI22helper_blocked_stripedaLj320ELj8ELj10EEvPKT0_PS1_,@function
_Z17sort_pairs_kernelI22helper_blocked_stripedaLj320ELj8ELj10EEvPKT0_PS1_: ; @_Z17sort_pairs_kernelI22helper_blocked_stripedaLj320ELj8ELj10EEvPKT0_PS1_
; %bb.0:
	s_clause 0x1
	s_load_b128 s[16:19], s[0:1], 0x0
	s_load_b32 s8, s[0:1], 0x1c
	v_and_b32_e32 v8, 0x3ff, v0
	s_mul_i32 s11, s15, 0xa00
	v_mbcnt_lo_u32_b32 v4, -1, 0
	v_bfe_u32 v5, v0, 10, 10
	v_bfe_u32 v0, v0, 20, 10
	v_lshlrev_b32_e32 v1, 3, v8
	s_mov_b32 s12, 10
	v_add_nc_u32_e32 v14, -1, v4
	v_and_b32_e32 v6, 15, v4
	v_and_b32_e32 v7, 16, v4
	v_cmp_eq_u32_e32 vcc_lo, 0, v4
	s_delay_alu instid0(VALU_DEP_4) | instskip(NEXT) | instid1(VALU_DEP_3)
	v_cmp_gt_i32_e64 s7, 0, v14
	v_cmp_eq_u32_e64 s4, 0, v7
	s_waitcnt lgkmcnt(0)
	s_add_u32 s0, s16, s11
	s_addc_u32 s1, s17, 0
	s_lshr_b32 s9, s8, 16
	global_load_b64 v[2:3], v1, s[0:1]
	s_mov_b32 s0, 0
	v_mad_u32_u24 v5, v0, s9, v5
	s_mov_b32 s1, s0
	s_mov_b32 s2, s0
	v_mov_b32_e32 v10, s1
	s_mov_b32 s3, s0
	s_delay_alu instid0(SALU_CYCLE_1)
	v_dual_mov_b32 v9, s0 :: v_dual_mov_b32 v12, s3
	v_dual_mov_b32 v11, s2 :: v_dual_and_b32 v16, 0x1e0, v8
	v_cmp_eq_u32_e64 s0, 0, v6
	v_cmp_lt_u32_e64 s1, 1, v6
	v_cmp_lt_u32_e64 s2, 3, v6
	;; [unrolled: 1-line block ×3, first 2 shown]
	v_cndmask_b32_e64 v6, v14, v4, s7
	v_lshrrev_b32_e32 v7, 3, v8
	v_or_b32_e32 v18, v4, v16
	v_and_or_b32 v14, 0xf00, v1, v4
	v_min_u32_e32 v4, 0x120, v16
	v_lshlrev_b32_e32 v16, 2, v6
	v_and_b32_e32 v17, 60, v7
	s_and_b32 s8, s8, 0xffff
	v_lshlrev_b32_e32 v13, 5, v8
	v_mul_u32_u24_e32 v21, 3, v8
	v_or_b32_e32 v4, 31, v4
	v_cmp_gt_u32_e64 s5, 10, v8
	v_cmp_lt_u32_e64 s6, 31, v8
	v_cmp_eq_u32_e64 s7, 0, v8
	v_add_nc_u32_e32 v15, 40, v13
	v_lshlrev_b32_e32 v18, 3, v18
	v_add_nc_u32_e32 v21, v8, v21
	s_waitcnt vmcnt(0)
	v_lshrrev_b32_e32 v6, 16, v2
	v_lshrrev_b32_e32 v20, 16, v3
	;; [unrolled: 1-line block ×6, first 2 shown]
	v_add_nc_u16 v23, v2, 1
	v_add_nc_u16 v24, v3, 1
	;; [unrolled: 1-line block ×4, first 2 shown]
	v_lshlrev_b16 v1, 8, v1
	v_lshlrev_b16 v7, 8, v7
	;; [unrolled: 1-line block ×4, first 2 shown]
	v_and_b32_e32 v23, 0xff, v23
	v_and_b32_e32 v24, 0xff, v24
	;; [unrolled: 1-line block ×4, first 2 shown]
	s_delay_alu instid0(VALU_DEP_4) | instskip(NEXT) | instid1(VALU_DEP_4)
	v_or_b32_e32 v23, v1, v23
	v_or_b32_e32 v19, v19, v24
	s_delay_alu instid0(VALU_DEP_4) | instskip(NEXT) | instid1(VALU_DEP_4)
	v_or_b32_e32 v6, v7, v6
	v_or_b32_e32 v7, v22, v20
	v_mad_u64_u32 v[0:1], null, v5, s8, v[8:9]
	v_add_nc_u16 v1, v23, 0x100
	v_add_nc_u16 v5, v19, 0x100
	;; [unrolled: 1-line block ×4, first 2 shown]
	v_add_nc_u32_e32 v19, -4, v17
	v_and_b32_e32 v1, 0xffff, v1
	v_and_b32_e32 v5, 0xffff, v5
	v_lshlrev_b32_e32 v6, 16, v6
	v_lshlrev_b32_e32 v7, 16, v7
	v_cmp_eq_u32_e64 s8, v4, v8
	v_lshrrev_b32_e32 v20, 5, v0
	s_delay_alu instid0(VALU_DEP_4) | instskip(NEXT) | instid1(VALU_DEP_4)
	v_or_b32_e32 v0, v1, v6
	v_or_b32_e32 v1, v5, v7
	s_branch .LBB279_2
.LBB279_1:                              ;   in Loop: Header=BB279_2 Depth=1
	s_or_b32 exec_lo, exec_lo, s9
	s_waitcnt lgkmcnt(0)
	v_add_nc_u32_e32 v3, v61, v3
	s_add_i32 s12, s12, -1
	s_delay_alu instid0(SALU_CYCLE_1) | instskip(SKIP_3) | instid1(VALU_DEP_1)
	s_cmp_eq_u32 s12, 0
	ds_bpermute_b32 v3, v16, v3
	s_waitcnt lgkmcnt(0)
	v_cndmask_b32_e32 v3, v3, v61, vcc_lo
	v_cndmask_b32_e64 v3, v3, 0, s7
	s_delay_alu instid0(VALU_DEP_1) | instskip(NEXT) | instid1(VALU_DEP_1)
	v_add_nc_u32_e32 v4, v3, v4
	v_add_nc_u32_e32 v5, v4, v5
	s_delay_alu instid0(VALU_DEP_1) | instskip(NEXT) | instid1(VALU_DEP_1)
	v_add_nc_u32_e32 v6, v5, v6
	v_add_nc_u32_e32 v61, v6, v7
	;; [unrolled: 3-line block ×3, first 2 shown]
	s_delay_alu instid0(VALU_DEP_1)
	v_add_nc_u32_e32 v1, v0, v2
	ds_store_2addr_b64 v13, v[3:4], v[5:6] offset0:5 offset1:6
	ds_store_2addr_b64 v15, v[61:62], v[0:1] offset0:2 offset1:3
	s_waitcnt lgkmcnt(0)
	s_barrier
	buffer_gl0_inv
	ds_load_b32 v0, v39
	ds_load_b32 v1, v42
	;; [unrolled: 1-line block ×8, first 2 shown]
	s_waitcnt lgkmcnt(0)
	s_barrier
	buffer_gl0_inv
	v_add_nc_u32_e32 v0, v0, v38
	v_add3_u32 v1, v41, v40, v1
	v_add3_u32 v2, v44, v43, v2
	;; [unrolled: 1-line block ×7, first 2 shown]
	ds_store_b8 v0, v22
	ds_store_b8 v1, v23
	;; [unrolled: 1-line block ×8, first 2 shown]
	s_waitcnt lgkmcnt(0)
	s_barrier
	buffer_gl0_inv
	ds_load_u8 v26, v8
	ds_load_u8 v28, v8 offset:320
	ds_load_u8 v29, v8 offset:640
	;; [unrolled: 1-line block ×7, first 2 shown]
	s_waitcnt lgkmcnt(0)
	s_barrier
	buffer_gl0_inv
	ds_store_b8 v0, v30
	ds_store_b8 v1, v31
	;; [unrolled: 1-line block ×8, first 2 shown]
	s_waitcnt lgkmcnt(0)
	s_barrier
	buffer_gl0_inv
	ds_load_u8 v5, v8 offset:320
	ds_load_u8 v6, v8 offset:960
	;; [unrolled: 1-line block ×4, first 2 shown]
	ds_load_u8 v25, v8
	ds_load_u8 v24, v8 offset:640
	ds_load_u8 v23, v8 offset:1280
	;; [unrolled: 1-line block ×3, first 2 shown]
	v_xor_b32_e32 v27, 0xffffff80, v26
	v_xor_b32_e32 v28, 0xffffff80, v28
	;; [unrolled: 1-line block ×8, first 2 shown]
	s_waitcnt lgkmcnt(7)
	v_lshlrev_b16 v0, 8, v5
	s_waitcnt lgkmcnt(6)
	v_lshlrev_b16 v1, 8, v6
	;; [unrolled: 2-line block ×4, first 2 shown]
	v_lshlrev_b16 v34, 8, v28
	v_and_b32_e32 v35, 0xff, v27
	v_lshlrev_b16 v36, 8, v30
	v_and_b32_e32 v37, 0xff, v29
	v_lshlrev_b16 v38, 8, v32
	v_and_b32_e32 v39, 0xff, v31
	v_lshlrev_b16 v40, 8, v26
	v_and_b32_e32 v41, 0xff, v33
	s_waitcnt lgkmcnt(3)
	v_or_b32_e32 v0, v25, v0
	s_waitcnt lgkmcnt(2)
	v_or_b32_e32 v1, v24, v1
	;; [unrolled: 2-line block ×4, first 2 shown]
	v_or_b32_e32 v34, v35, v34
	v_or_b32_e32 v35, v37, v36
	v_or_b32_e32 v36, v39, v38
	v_or_b32_e32 v37, v41, v40
	v_and_b32_e32 v0, 0xffff, v0
	v_lshlrev_b32_e32 v1, 16, v1
	v_and_b32_e32 v2, 0xffff, v2
	v_lshlrev_b32_e32 v3, 16, v3
	;; [unrolled: 2-line block ×4, first 2 shown]
	v_or_b32_e32 v0, v0, v1
	v_or_b32_e32 v1, v2, v3
	;; [unrolled: 1-line block ×3, first 2 shown]
	s_delay_alu instid0(VALU_DEP_4)
	v_or_b32_e32 v3, v36, v37
	s_cbranch_scc1 .LBB279_24
.LBB279_2:                              ; =>This Inner Loop Header: Depth=1
	s_delay_alu instid0(VALU_DEP_1) | instskip(NEXT) | instid1(VALU_DEP_3)
	v_lshrrev_b32_e32 v4, 16, v3
	v_lshrrev_b32_e32 v5, 16, v2
	v_xor_b32_e32 v6, 0x80, v3
	v_and_b32_e32 v7, 0xffffff00, v2
	v_xor_b32_e32 v2, 0x80, v2
	v_xor_b32_e32 v22, 0x80, v4
	;; [unrolled: 1-line block ×3, first 2 shown]
	v_and_b32_e32 v3, 0xffffff00, v3
	v_and_b32_e32 v6, 0xff, v6
	v_and_b32_e32 v4, 0xffffff00, v4
	v_and_b32_e32 v22, 0xff, v22
	v_and_b32_e32 v2, 0xff, v2
	v_and_b32_e32 v5, 0xffffff00, v5
	v_and_b32_e32 v23, 0xff, v23
	v_or_b32_e32 v3, v6, v3
	v_or_b32_e32 v4, v22, v4
	;; [unrolled: 1-line block ×3, first 2 shown]
	s_delay_alu instid0(VALU_DEP_4) | instskip(NEXT) | instid1(VALU_DEP_4)
	v_or_b32_e32 v5, v23, v5
	v_add_nc_u16 v3, v3, 0x8000
	s_delay_alu instid0(VALU_DEP_4) | instskip(NEXT) | instid1(VALU_DEP_4)
	v_add_nc_u16 v4, v4, 0x8000
	v_add_nc_u16 v2, v2, 0x8000
	s_delay_alu instid0(VALU_DEP_4) | instskip(NEXT) | instid1(VALU_DEP_4)
	v_add_nc_u16 v5, v5, 0x8000
	v_and_b32_e32 v3, 0xffff, v3
	s_delay_alu instid0(VALU_DEP_4) | instskip(NEXT) | instid1(VALU_DEP_4)
	v_lshlrev_b32_e32 v4, 16, v4
	v_and_b32_e32 v2, 0xffff, v2
	s_delay_alu instid0(VALU_DEP_4) | instskip(NEXT) | instid1(VALU_DEP_3)
	v_lshlrev_b32_e32 v5, 16, v5
	v_or_b32_e32 v3, v3, v4
	s_delay_alu instid0(VALU_DEP_2)
	v_or_b32_e32 v2, v2, v5
	ds_store_b64 v18, v[2:3]
	; wave barrier
	ds_load_u8 v22, v14
	ds_load_u8 v23, v14 offset:32
	ds_load_u8 v24, v14 offset:64
	;; [unrolled: 1-line block ×7, first 2 shown]
	; wave barrier
	ds_store_b64 v18, v[0:1]
	; wave barrier
	s_waitcnt lgkmcnt(8)
	v_and_b32_e32 v2, 1, v22
	v_lshlrev_b32_e32 v3, 30, v22
	v_lshlrev_b32_e32 v4, 29, v22
	;; [unrolled: 1-line block ×4, first 2 shown]
	v_add_co_u32 v2, s9, v2, -1
	s_delay_alu instid0(VALU_DEP_1)
	v_cndmask_b32_e64 v6, 0, 1, s9
	v_not_b32_e32 v32, v3
	v_cmp_gt_i32_e64 s10, 0, v3
	v_not_b32_e32 v3, v4
	v_lshlrev_b32_e32 v30, 26, v22
	v_cmp_ne_u32_e64 s9, 0, v6
	v_ashrrev_i32_e32 v32, 31, v32
	v_lshlrev_b32_e32 v31, 25, v22
	v_ashrrev_i32_e32 v3, 31, v3
	v_lshlrev_b32_e32 v6, 24, v22
	v_xor_b32_e32 v2, s9, v2
	v_cmp_gt_i32_e64 s9, 0, v4
	v_not_b32_e32 v4, v5
	v_xor_b32_e32 v32, s10, v32
	v_cmp_gt_i32_e64 s10, 0, v5
	v_and_b32_e32 v2, exec_lo, v2
	v_not_b32_e32 v5, v7
	v_ashrrev_i32_e32 v4, 31, v4
	v_xor_b32_e32 v3, s9, v3
	v_cmp_gt_i32_e64 s9, 0, v7
	v_and_b32_e32 v2, v2, v32
	v_not_b32_e32 v7, v30
	v_ashrrev_i32_e32 v5, 31, v5
	v_xor_b32_e32 v4, s10, v4
	v_cmp_gt_i32_e64 s10, 0, v30
	v_and_b32_e32 v2, v2, v3
	;; [unrolled: 5-line block ×4, first 2 shown]
	v_ashrrev_i32_e32 v4, 31, v4
	v_xor_b32_e32 v3, s9, v3
	ds_load_u8 v30, v14
	ds_load_u8 v31, v14 offset:32
	ds_load_u8 v32, v14 offset:64
	;; [unrolled: 1-line block ×7, first 2 shown]
	s_waitcnt lgkmcnt(0)
	v_and_b32_e32 v2, v2, v7
	v_xor_b32_e32 v0, s10, v4
	s_barrier
	buffer_gl0_inv
	ds_store_2addr_b64 v13, v[9:10], v[11:12] offset0:5 offset1:6
	ds_store_2addr_b64 v15, v[9:10], v[11:12] offset0:2 offset1:3
	v_and_b32_e32 v1, v2, v3
	s_waitcnt lgkmcnt(0)
	s_barrier
	buffer_gl0_inv
	v_and_b32_e32 v0, v1, v0
	v_and_b32_e32 v1, 0xff, v22
	; wave barrier
	s_delay_alu instid0(VALU_DEP_2) | instskip(NEXT) | instid1(VALU_DEP_2)
	v_mbcnt_lo_u32_b32 v38, v0, 0
	v_mad_u32_u24 v1, v1, 10, v20
	v_cmp_ne_u32_e64 s10, 0, v0
	s_delay_alu instid0(VALU_DEP_3) | instskip(NEXT) | instid1(VALU_DEP_3)
	v_cmp_eq_u32_e64 s9, 0, v38
	v_lshl_add_u32 v39, v1, 2, 40
	s_delay_alu instid0(VALU_DEP_2) | instskip(NEXT) | instid1(SALU_CYCLE_1)
	s_and_b32 s10, s10, s9
	s_and_saveexec_b32 s9, s10
	s_cbranch_execz .LBB279_4
; %bb.3:                                ;   in Loop: Header=BB279_2 Depth=1
	v_bcnt_u32_b32 v0, v0, 0
	ds_store_b32 v39, v0
.LBB279_4:                              ;   in Loop: Header=BB279_2 Depth=1
	s_or_b32 exec_lo, exec_lo, s9
	v_and_b32_e32 v0, 1, v23
	v_lshlrev_b32_e32 v2, 30, v23
	v_lshlrev_b32_e32 v4, 29, v23
	;; [unrolled: 1-line block ×4, first 2 shown]
	v_add_co_u32 v0, s9, v0, -1
	s_delay_alu instid0(VALU_DEP_1)
	v_cndmask_b32_e64 v3, 0, 1, s9
	v_not_b32_e32 v7, v2
	v_cmp_gt_i32_e64 s10, 0, v2
	v_not_b32_e32 v2, v4
	v_and_b32_e32 v1, 0xff, v23
	v_cmp_ne_u32_e64 s9, 0, v3
	v_ashrrev_i32_e32 v7, 31, v7
	v_lshlrev_b32_e32 v3, 26, v23
	v_ashrrev_i32_e32 v2, 31, v2
	v_mul_u32_u24_e32 v1, 10, v1
	v_xor_b32_e32 v0, s9, v0
	v_cmp_gt_i32_e64 s9, 0, v4
	v_not_b32_e32 v4, v5
	v_xor_b32_e32 v7, s10, v7
	v_cmp_gt_i32_e64 s10, 0, v5
	v_and_b32_e32 v0, exec_lo, v0
	v_not_b32_e32 v5, v6
	v_ashrrev_i32_e32 v4, 31, v4
	v_xor_b32_e32 v2, s9, v2
	v_cmp_gt_i32_e64 s9, 0, v6
	v_and_b32_e32 v0, v0, v7
	v_lshlrev_b32_e32 v7, 25, v23
	v_ashrrev_i32_e32 v5, 31, v5
	v_xor_b32_e32 v4, s10, v4
	v_not_b32_e32 v6, v3
	v_and_b32_e32 v0, v0, v2
	v_lshlrev_b32_e32 v2, 24, v23
	v_not_b32_e32 v40, v7
	v_xor_b32_e32 v5, s9, v5
	v_cmp_gt_i32_e64 s9, 0, v3
	v_and_b32_e32 v0, v0, v4
	v_ashrrev_i32_e32 v3, 31, v6
	v_cmp_gt_i32_e64 s10, 0, v7
	v_ashrrev_i32_e32 v4, 31, v40
	v_add_lshl_u32 v1, v20, v1, 2
	v_and_b32_e32 v0, v0, v5
	v_not_b32_e32 v5, v2
	v_xor_b32_e32 v3, s9, v3
	v_xor_b32_e32 v4, s10, v4
	v_cmp_gt_i32_e64 s9, 0, v2
	s_delay_alu instid0(VALU_DEP_4) | instskip(NEXT) | instid1(VALU_DEP_4)
	v_ashrrev_i32_e32 v2, 31, v5
	v_and_b32_e32 v0, v0, v3
	; wave barrier
	ds_load_b32 v40, v1 offset:40
	v_add_nc_u32_e32 v42, 40, v1
	v_xor_b32_e32 v2, s9, v2
	v_and_b32_e32 v0, v0, v4
	; wave barrier
	s_delay_alu instid0(VALU_DEP_1) | instskip(NEXT) | instid1(VALU_DEP_1)
	v_and_b32_e32 v0, v0, v2
	v_mbcnt_lo_u32_b32 v41, v0, 0
	v_cmp_ne_u32_e64 s10, 0, v0
	s_delay_alu instid0(VALU_DEP_2) | instskip(NEXT) | instid1(VALU_DEP_1)
	v_cmp_eq_u32_e64 s9, 0, v41
	s_and_b32 s10, s10, s9
	s_delay_alu instid0(SALU_CYCLE_1)
	s_and_saveexec_b32 s9, s10
	s_cbranch_execz .LBB279_6
; %bb.5:                                ;   in Loop: Header=BB279_2 Depth=1
	s_waitcnt lgkmcnt(0)
	v_bcnt_u32_b32 v0, v0, v40
	ds_store_b32 v42, v0
.LBB279_6:                              ;   in Loop: Header=BB279_2 Depth=1
	s_or_b32 exec_lo, exec_lo, s9
	v_and_b32_e32 v0, 1, v24
	v_lshlrev_b32_e32 v2, 30, v24
	v_lshlrev_b32_e32 v4, 29, v24
	;; [unrolled: 1-line block ×4, first 2 shown]
	v_add_co_u32 v0, s9, v0, -1
	s_delay_alu instid0(VALU_DEP_1)
	v_cndmask_b32_e64 v3, 0, 1, s9
	v_not_b32_e32 v7, v2
	v_cmp_gt_i32_e64 s10, 0, v2
	v_not_b32_e32 v2, v4
	v_and_b32_e32 v1, 0xff, v24
	v_cmp_ne_u32_e64 s9, 0, v3
	v_ashrrev_i32_e32 v7, 31, v7
	v_lshlrev_b32_e32 v3, 26, v24
	v_ashrrev_i32_e32 v2, 31, v2
	v_mul_u32_u24_e32 v1, 10, v1
	v_xor_b32_e32 v0, s9, v0
	v_cmp_gt_i32_e64 s9, 0, v4
	v_not_b32_e32 v4, v5
	v_xor_b32_e32 v7, s10, v7
	v_cmp_gt_i32_e64 s10, 0, v5
	v_and_b32_e32 v0, exec_lo, v0
	v_not_b32_e32 v5, v6
	v_ashrrev_i32_e32 v4, 31, v4
	v_xor_b32_e32 v2, s9, v2
	v_cmp_gt_i32_e64 s9, 0, v6
	v_and_b32_e32 v0, v0, v7
	v_lshlrev_b32_e32 v7, 25, v24
	v_ashrrev_i32_e32 v5, 31, v5
	v_xor_b32_e32 v4, s10, v4
	v_not_b32_e32 v6, v3
	v_and_b32_e32 v0, v0, v2
	v_lshlrev_b32_e32 v2, 24, v24
	v_not_b32_e32 v43, v7
	v_xor_b32_e32 v5, s9, v5
	v_cmp_gt_i32_e64 s9, 0, v3
	v_and_b32_e32 v0, v0, v4
	v_ashrrev_i32_e32 v3, 31, v6
	v_cmp_gt_i32_e64 s10, 0, v7
	v_ashrrev_i32_e32 v4, 31, v43
	v_add_lshl_u32 v1, v20, v1, 2
	v_and_b32_e32 v0, v0, v5
	v_not_b32_e32 v5, v2
	v_xor_b32_e32 v3, s9, v3
	v_xor_b32_e32 v4, s10, v4
	v_cmp_gt_i32_e64 s9, 0, v2
	s_delay_alu instid0(VALU_DEP_4) | instskip(NEXT) | instid1(VALU_DEP_4)
	v_ashrrev_i32_e32 v2, 31, v5
	v_and_b32_e32 v0, v0, v3
	; wave barrier
	ds_load_b32 v43, v1 offset:40
	v_add_nc_u32_e32 v45, 40, v1
	v_xor_b32_e32 v2, s9, v2
	v_and_b32_e32 v0, v0, v4
	; wave barrier
	s_delay_alu instid0(VALU_DEP_1) | instskip(NEXT) | instid1(VALU_DEP_1)
	v_and_b32_e32 v0, v0, v2
	v_mbcnt_lo_u32_b32 v44, v0, 0
	v_cmp_ne_u32_e64 s10, 0, v0
	s_delay_alu instid0(VALU_DEP_2) | instskip(NEXT) | instid1(VALU_DEP_1)
	v_cmp_eq_u32_e64 s9, 0, v44
	s_and_b32 s10, s10, s9
	s_delay_alu instid0(SALU_CYCLE_1)
	s_and_saveexec_b32 s9, s10
	s_cbranch_execz .LBB279_8
; %bb.7:                                ;   in Loop: Header=BB279_2 Depth=1
	s_waitcnt lgkmcnt(0)
	v_bcnt_u32_b32 v0, v0, v43
	ds_store_b32 v45, v0
.LBB279_8:                              ;   in Loop: Header=BB279_2 Depth=1
	s_or_b32 exec_lo, exec_lo, s9
	v_and_b32_e32 v0, 1, v25
	v_lshlrev_b32_e32 v2, 30, v25
	v_lshlrev_b32_e32 v4, 29, v25
	;; [unrolled: 1-line block ×4, first 2 shown]
	v_add_co_u32 v0, s9, v0, -1
	s_delay_alu instid0(VALU_DEP_1)
	v_cndmask_b32_e64 v3, 0, 1, s9
	v_not_b32_e32 v7, v2
	v_cmp_gt_i32_e64 s10, 0, v2
	v_not_b32_e32 v2, v4
	v_and_b32_e32 v1, 0xff, v25
	v_cmp_ne_u32_e64 s9, 0, v3
	v_ashrrev_i32_e32 v7, 31, v7
	v_lshlrev_b32_e32 v3, 26, v25
	v_ashrrev_i32_e32 v2, 31, v2
	v_mul_u32_u24_e32 v1, 10, v1
	v_xor_b32_e32 v0, s9, v0
	v_cmp_gt_i32_e64 s9, 0, v4
	v_not_b32_e32 v4, v5
	v_xor_b32_e32 v7, s10, v7
	v_cmp_gt_i32_e64 s10, 0, v5
	v_and_b32_e32 v0, exec_lo, v0
	v_not_b32_e32 v5, v6
	v_ashrrev_i32_e32 v4, 31, v4
	v_xor_b32_e32 v2, s9, v2
	v_cmp_gt_i32_e64 s9, 0, v6
	v_and_b32_e32 v0, v0, v7
	v_lshlrev_b32_e32 v7, 25, v25
	v_ashrrev_i32_e32 v5, 31, v5
	v_xor_b32_e32 v4, s10, v4
	v_not_b32_e32 v6, v3
	v_and_b32_e32 v0, v0, v2
	v_lshlrev_b32_e32 v2, 24, v25
	v_not_b32_e32 v46, v7
	v_xor_b32_e32 v5, s9, v5
	v_cmp_gt_i32_e64 s9, 0, v3
	v_and_b32_e32 v0, v0, v4
	v_ashrrev_i32_e32 v3, 31, v6
	v_cmp_gt_i32_e64 s10, 0, v7
	v_ashrrev_i32_e32 v4, 31, v46
	v_add_lshl_u32 v1, v20, v1, 2
	v_and_b32_e32 v0, v0, v5
	v_not_b32_e32 v5, v2
	v_xor_b32_e32 v3, s9, v3
	v_xor_b32_e32 v4, s10, v4
	v_cmp_gt_i32_e64 s9, 0, v2
	s_delay_alu instid0(VALU_DEP_4) | instskip(NEXT) | instid1(VALU_DEP_4)
	v_ashrrev_i32_e32 v2, 31, v5
	v_and_b32_e32 v0, v0, v3
	; wave barrier
	ds_load_b32 v46, v1 offset:40
	v_add_nc_u32_e32 v48, 40, v1
	v_xor_b32_e32 v2, s9, v2
	v_and_b32_e32 v0, v0, v4
	; wave barrier
	s_delay_alu instid0(VALU_DEP_1) | instskip(NEXT) | instid1(VALU_DEP_1)
	v_and_b32_e32 v0, v0, v2
	v_mbcnt_lo_u32_b32 v47, v0, 0
	v_cmp_ne_u32_e64 s10, 0, v0
	s_delay_alu instid0(VALU_DEP_2) | instskip(NEXT) | instid1(VALU_DEP_1)
	v_cmp_eq_u32_e64 s9, 0, v47
	s_and_b32 s10, s10, s9
	s_delay_alu instid0(SALU_CYCLE_1)
	s_and_saveexec_b32 s9, s10
	s_cbranch_execz .LBB279_10
; %bb.9:                                ;   in Loop: Header=BB279_2 Depth=1
	s_waitcnt lgkmcnt(0)
	v_bcnt_u32_b32 v0, v0, v46
	ds_store_b32 v48, v0
.LBB279_10:                             ;   in Loop: Header=BB279_2 Depth=1
	s_or_b32 exec_lo, exec_lo, s9
	v_and_b32_e32 v0, 1, v26
	v_lshlrev_b32_e32 v2, 30, v26
	v_lshlrev_b32_e32 v4, 29, v26
	;; [unrolled: 1-line block ×4, first 2 shown]
	v_add_co_u32 v0, s9, v0, -1
	s_delay_alu instid0(VALU_DEP_1)
	v_cndmask_b32_e64 v3, 0, 1, s9
	v_not_b32_e32 v7, v2
	v_cmp_gt_i32_e64 s10, 0, v2
	v_not_b32_e32 v2, v4
	v_and_b32_e32 v1, 0xff, v26
	v_cmp_ne_u32_e64 s9, 0, v3
	v_ashrrev_i32_e32 v7, 31, v7
	v_lshlrev_b32_e32 v3, 26, v26
	v_ashrrev_i32_e32 v2, 31, v2
	v_mul_u32_u24_e32 v1, 10, v1
	v_xor_b32_e32 v0, s9, v0
	v_cmp_gt_i32_e64 s9, 0, v4
	v_not_b32_e32 v4, v5
	v_xor_b32_e32 v7, s10, v7
	v_cmp_gt_i32_e64 s10, 0, v5
	v_and_b32_e32 v0, exec_lo, v0
	v_not_b32_e32 v5, v6
	v_ashrrev_i32_e32 v4, 31, v4
	v_xor_b32_e32 v2, s9, v2
	v_cmp_gt_i32_e64 s9, 0, v6
	v_and_b32_e32 v0, v0, v7
	v_lshlrev_b32_e32 v7, 25, v26
	v_ashrrev_i32_e32 v5, 31, v5
	v_xor_b32_e32 v4, s10, v4
	v_not_b32_e32 v6, v3
	v_and_b32_e32 v0, v0, v2
	v_lshlrev_b32_e32 v2, 24, v26
	v_not_b32_e32 v49, v7
	v_xor_b32_e32 v5, s9, v5
	v_cmp_gt_i32_e64 s9, 0, v3
	v_and_b32_e32 v0, v0, v4
	v_ashrrev_i32_e32 v3, 31, v6
	v_cmp_gt_i32_e64 s10, 0, v7
	v_ashrrev_i32_e32 v4, 31, v49
	v_add_lshl_u32 v1, v20, v1, 2
	v_and_b32_e32 v0, v0, v5
	v_not_b32_e32 v5, v2
	v_xor_b32_e32 v3, s9, v3
	v_xor_b32_e32 v4, s10, v4
	v_cmp_gt_i32_e64 s9, 0, v2
	s_delay_alu instid0(VALU_DEP_4) | instskip(NEXT) | instid1(VALU_DEP_4)
	v_ashrrev_i32_e32 v2, 31, v5
	v_and_b32_e32 v0, v0, v3
	; wave barrier
	ds_load_b32 v49, v1 offset:40
	v_add_nc_u32_e32 v51, 40, v1
	v_xor_b32_e32 v2, s9, v2
	v_and_b32_e32 v0, v0, v4
	; wave barrier
	s_delay_alu instid0(VALU_DEP_1) | instskip(NEXT) | instid1(VALU_DEP_1)
	v_and_b32_e32 v0, v0, v2
	v_mbcnt_lo_u32_b32 v50, v0, 0
	v_cmp_ne_u32_e64 s10, 0, v0
	s_delay_alu instid0(VALU_DEP_2) | instskip(NEXT) | instid1(VALU_DEP_1)
	v_cmp_eq_u32_e64 s9, 0, v50
	s_and_b32 s10, s10, s9
	s_delay_alu instid0(SALU_CYCLE_1)
	s_and_saveexec_b32 s9, s10
	s_cbranch_execz .LBB279_12
; %bb.11:                               ;   in Loop: Header=BB279_2 Depth=1
	s_waitcnt lgkmcnt(0)
	v_bcnt_u32_b32 v0, v0, v49
	ds_store_b32 v51, v0
.LBB279_12:                             ;   in Loop: Header=BB279_2 Depth=1
	s_or_b32 exec_lo, exec_lo, s9
	v_and_b32_e32 v0, 1, v27
	v_lshlrev_b32_e32 v2, 30, v27
	v_lshlrev_b32_e32 v4, 29, v27
	;; [unrolled: 1-line block ×4, first 2 shown]
	v_add_co_u32 v0, s9, v0, -1
	s_delay_alu instid0(VALU_DEP_1)
	v_cndmask_b32_e64 v3, 0, 1, s9
	v_not_b32_e32 v7, v2
	v_cmp_gt_i32_e64 s10, 0, v2
	v_not_b32_e32 v2, v4
	v_and_b32_e32 v1, 0xff, v27
	v_cmp_ne_u32_e64 s9, 0, v3
	v_ashrrev_i32_e32 v7, 31, v7
	v_lshlrev_b32_e32 v3, 26, v27
	v_ashrrev_i32_e32 v2, 31, v2
	v_mul_u32_u24_e32 v1, 10, v1
	v_xor_b32_e32 v0, s9, v0
	v_cmp_gt_i32_e64 s9, 0, v4
	v_not_b32_e32 v4, v5
	v_xor_b32_e32 v7, s10, v7
	v_cmp_gt_i32_e64 s10, 0, v5
	v_and_b32_e32 v0, exec_lo, v0
	v_not_b32_e32 v5, v6
	v_ashrrev_i32_e32 v4, 31, v4
	v_xor_b32_e32 v2, s9, v2
	v_cmp_gt_i32_e64 s9, 0, v6
	v_and_b32_e32 v0, v0, v7
	v_lshlrev_b32_e32 v7, 25, v27
	v_ashrrev_i32_e32 v5, 31, v5
	v_xor_b32_e32 v4, s10, v4
	v_not_b32_e32 v6, v3
	v_and_b32_e32 v0, v0, v2
	v_lshlrev_b32_e32 v2, 24, v27
	v_not_b32_e32 v52, v7
	v_xor_b32_e32 v5, s9, v5
	v_cmp_gt_i32_e64 s9, 0, v3
	v_and_b32_e32 v0, v0, v4
	v_ashrrev_i32_e32 v3, 31, v6
	v_cmp_gt_i32_e64 s10, 0, v7
	v_ashrrev_i32_e32 v4, 31, v52
	v_add_lshl_u32 v1, v20, v1, 2
	v_and_b32_e32 v0, v0, v5
	v_not_b32_e32 v5, v2
	v_xor_b32_e32 v3, s9, v3
	v_xor_b32_e32 v4, s10, v4
	v_cmp_gt_i32_e64 s9, 0, v2
	s_delay_alu instid0(VALU_DEP_4) | instskip(NEXT) | instid1(VALU_DEP_4)
	v_ashrrev_i32_e32 v2, 31, v5
	v_and_b32_e32 v0, v0, v3
	; wave barrier
	ds_load_b32 v52, v1 offset:40
	v_add_nc_u32_e32 v54, 40, v1
	v_xor_b32_e32 v2, s9, v2
	v_and_b32_e32 v0, v0, v4
	; wave barrier
	s_delay_alu instid0(VALU_DEP_1) | instskip(NEXT) | instid1(VALU_DEP_1)
	v_and_b32_e32 v0, v0, v2
	v_mbcnt_lo_u32_b32 v53, v0, 0
	v_cmp_ne_u32_e64 s10, 0, v0
	s_delay_alu instid0(VALU_DEP_2) | instskip(NEXT) | instid1(VALU_DEP_1)
	v_cmp_eq_u32_e64 s9, 0, v53
	s_and_b32 s10, s10, s9
	s_delay_alu instid0(SALU_CYCLE_1)
	s_and_saveexec_b32 s9, s10
	s_cbranch_execz .LBB279_14
; %bb.13:                               ;   in Loop: Header=BB279_2 Depth=1
	s_waitcnt lgkmcnt(0)
	v_bcnt_u32_b32 v0, v0, v52
	ds_store_b32 v54, v0
.LBB279_14:                             ;   in Loop: Header=BB279_2 Depth=1
	s_or_b32 exec_lo, exec_lo, s9
	v_and_b32_e32 v0, 1, v28
	v_lshlrev_b32_e32 v2, 30, v28
	v_lshlrev_b32_e32 v4, 29, v28
	;; [unrolled: 1-line block ×4, first 2 shown]
	v_add_co_u32 v0, s9, v0, -1
	s_delay_alu instid0(VALU_DEP_1)
	v_cndmask_b32_e64 v3, 0, 1, s9
	v_not_b32_e32 v7, v2
	v_cmp_gt_i32_e64 s10, 0, v2
	v_not_b32_e32 v2, v4
	v_and_b32_e32 v1, 0xff, v28
	v_cmp_ne_u32_e64 s9, 0, v3
	v_ashrrev_i32_e32 v7, 31, v7
	v_lshlrev_b32_e32 v3, 26, v28
	v_ashrrev_i32_e32 v2, 31, v2
	v_mul_u32_u24_e32 v1, 10, v1
	v_xor_b32_e32 v0, s9, v0
	v_cmp_gt_i32_e64 s9, 0, v4
	v_not_b32_e32 v4, v5
	v_xor_b32_e32 v7, s10, v7
	v_cmp_gt_i32_e64 s10, 0, v5
	v_and_b32_e32 v0, exec_lo, v0
	v_not_b32_e32 v5, v6
	v_ashrrev_i32_e32 v4, 31, v4
	v_xor_b32_e32 v2, s9, v2
	v_cmp_gt_i32_e64 s9, 0, v6
	v_and_b32_e32 v0, v0, v7
	v_lshlrev_b32_e32 v7, 25, v28
	v_ashrrev_i32_e32 v5, 31, v5
	v_xor_b32_e32 v4, s10, v4
	v_not_b32_e32 v6, v3
	v_and_b32_e32 v0, v0, v2
	v_lshlrev_b32_e32 v2, 24, v28
	v_not_b32_e32 v55, v7
	v_xor_b32_e32 v5, s9, v5
	v_cmp_gt_i32_e64 s9, 0, v3
	v_and_b32_e32 v0, v0, v4
	v_ashrrev_i32_e32 v3, 31, v6
	v_cmp_gt_i32_e64 s10, 0, v7
	v_ashrrev_i32_e32 v4, 31, v55
	v_add_lshl_u32 v1, v20, v1, 2
	v_and_b32_e32 v0, v0, v5
	v_not_b32_e32 v5, v2
	v_xor_b32_e32 v3, s9, v3
	v_xor_b32_e32 v4, s10, v4
	v_cmp_gt_i32_e64 s9, 0, v2
	s_delay_alu instid0(VALU_DEP_4) | instskip(NEXT) | instid1(VALU_DEP_4)
	v_ashrrev_i32_e32 v2, 31, v5
	v_and_b32_e32 v0, v0, v3
	; wave barrier
	ds_load_b32 v55, v1 offset:40
	v_add_nc_u32_e32 v57, 40, v1
	v_xor_b32_e32 v2, s9, v2
	v_and_b32_e32 v0, v0, v4
	; wave barrier
	s_delay_alu instid0(VALU_DEP_1) | instskip(NEXT) | instid1(VALU_DEP_1)
	v_and_b32_e32 v0, v0, v2
	v_mbcnt_lo_u32_b32 v56, v0, 0
	v_cmp_ne_u32_e64 s10, 0, v0
	s_delay_alu instid0(VALU_DEP_2) | instskip(NEXT) | instid1(VALU_DEP_1)
	v_cmp_eq_u32_e64 s9, 0, v56
	s_and_b32 s10, s10, s9
	s_delay_alu instid0(SALU_CYCLE_1)
	s_and_saveexec_b32 s9, s10
	s_cbranch_execz .LBB279_16
; %bb.15:                               ;   in Loop: Header=BB279_2 Depth=1
	s_waitcnt lgkmcnt(0)
	v_bcnt_u32_b32 v0, v0, v55
	ds_store_b32 v57, v0
.LBB279_16:                             ;   in Loop: Header=BB279_2 Depth=1
	s_or_b32 exec_lo, exec_lo, s9
	v_and_b32_e32 v0, 1, v29
	v_lshlrev_b32_e32 v2, 30, v29
	v_lshlrev_b32_e32 v4, 29, v29
	v_lshlrev_b32_e32 v5, 28, v29
	v_lshlrev_b32_e32 v6, 27, v29
	v_add_co_u32 v0, s9, v0, -1
	s_delay_alu instid0(VALU_DEP_1)
	v_cndmask_b32_e64 v3, 0, 1, s9
	v_not_b32_e32 v7, v2
	v_cmp_gt_i32_e64 s10, 0, v2
	v_not_b32_e32 v2, v4
	v_and_b32_e32 v1, 0xff, v29
	v_cmp_ne_u32_e64 s9, 0, v3
	v_ashrrev_i32_e32 v7, 31, v7
	v_lshlrev_b32_e32 v3, 26, v29
	v_ashrrev_i32_e32 v2, 31, v2
	v_mul_u32_u24_e32 v1, 10, v1
	v_xor_b32_e32 v0, s9, v0
	v_cmp_gt_i32_e64 s9, 0, v4
	v_not_b32_e32 v4, v5
	v_xor_b32_e32 v7, s10, v7
	v_cmp_gt_i32_e64 s10, 0, v5
	v_and_b32_e32 v0, exec_lo, v0
	v_not_b32_e32 v5, v6
	v_ashrrev_i32_e32 v4, 31, v4
	v_xor_b32_e32 v2, s9, v2
	v_cmp_gt_i32_e64 s9, 0, v6
	v_and_b32_e32 v0, v0, v7
	v_lshlrev_b32_e32 v7, 25, v29
	v_ashrrev_i32_e32 v5, 31, v5
	v_xor_b32_e32 v4, s10, v4
	v_not_b32_e32 v6, v3
	v_and_b32_e32 v0, v0, v2
	v_lshlrev_b32_e32 v2, 24, v29
	v_not_b32_e32 v58, v7
	v_xor_b32_e32 v5, s9, v5
	v_cmp_gt_i32_e64 s9, 0, v3
	v_and_b32_e32 v0, v0, v4
	v_ashrrev_i32_e32 v3, 31, v6
	v_cmp_gt_i32_e64 s10, 0, v7
	v_ashrrev_i32_e32 v4, 31, v58
	v_add_lshl_u32 v1, v20, v1, 2
	v_and_b32_e32 v0, v0, v5
	v_not_b32_e32 v5, v2
	v_xor_b32_e32 v3, s9, v3
	v_xor_b32_e32 v4, s10, v4
	v_cmp_gt_i32_e64 s9, 0, v2
	s_delay_alu instid0(VALU_DEP_4) | instskip(NEXT) | instid1(VALU_DEP_4)
	v_ashrrev_i32_e32 v2, 31, v5
	v_and_b32_e32 v0, v0, v3
	; wave barrier
	ds_load_b32 v58, v1 offset:40
	v_add_nc_u32_e32 v60, 40, v1
	v_xor_b32_e32 v2, s9, v2
	v_and_b32_e32 v0, v0, v4
	; wave barrier
	s_delay_alu instid0(VALU_DEP_1) | instskip(NEXT) | instid1(VALU_DEP_1)
	v_and_b32_e32 v0, v0, v2
	v_mbcnt_lo_u32_b32 v59, v0, 0
	v_cmp_ne_u32_e64 s10, 0, v0
	s_delay_alu instid0(VALU_DEP_2) | instskip(NEXT) | instid1(VALU_DEP_1)
	v_cmp_eq_u32_e64 s9, 0, v59
	s_and_b32 s10, s10, s9
	s_delay_alu instid0(SALU_CYCLE_1)
	s_and_saveexec_b32 s9, s10
	s_cbranch_execz .LBB279_18
; %bb.17:                               ;   in Loop: Header=BB279_2 Depth=1
	s_waitcnt lgkmcnt(0)
	v_bcnt_u32_b32 v0, v0, v58
	ds_store_b32 v60, v0
.LBB279_18:                             ;   in Loop: Header=BB279_2 Depth=1
	s_or_b32 exec_lo, exec_lo, s9
	; wave barrier
	s_waitcnt lgkmcnt(0)
	s_barrier
	buffer_gl0_inv
	ds_load_2addr_b64 v[4:7], v13 offset0:5 offset1:6
	ds_load_2addr_b64 v[0:3], v15 offset0:2 offset1:3
	s_waitcnt lgkmcnt(1)
	v_add_nc_u32_e32 v61, v5, v4
	s_delay_alu instid0(VALU_DEP_1) | instskip(SKIP_1) | instid1(VALU_DEP_1)
	v_add3_u32 v61, v61, v6, v7
	s_waitcnt lgkmcnt(0)
	v_add3_u32 v61, v61, v0, v1
	s_delay_alu instid0(VALU_DEP_1) | instskip(NEXT) | instid1(VALU_DEP_1)
	v_add3_u32 v3, v61, v2, v3
	v_mov_b32_dpp v61, v3 row_shr:1 row_mask:0xf bank_mask:0xf
	s_delay_alu instid0(VALU_DEP_1) | instskip(NEXT) | instid1(VALU_DEP_1)
	v_cndmask_b32_e64 v61, v61, 0, s0
	v_add_nc_u32_e32 v3, v61, v3
	s_delay_alu instid0(VALU_DEP_1) | instskip(NEXT) | instid1(VALU_DEP_1)
	v_mov_b32_dpp v61, v3 row_shr:2 row_mask:0xf bank_mask:0xf
	v_cndmask_b32_e64 v61, 0, v61, s1
	s_delay_alu instid0(VALU_DEP_1) | instskip(NEXT) | instid1(VALU_DEP_1)
	v_add_nc_u32_e32 v3, v3, v61
	v_mov_b32_dpp v61, v3 row_shr:4 row_mask:0xf bank_mask:0xf
	s_delay_alu instid0(VALU_DEP_1) | instskip(NEXT) | instid1(VALU_DEP_1)
	v_cndmask_b32_e64 v61, 0, v61, s2
	v_add_nc_u32_e32 v3, v3, v61
	s_delay_alu instid0(VALU_DEP_1) | instskip(NEXT) | instid1(VALU_DEP_1)
	v_mov_b32_dpp v61, v3 row_shr:8 row_mask:0xf bank_mask:0xf
	v_cndmask_b32_e64 v61, 0, v61, s3
	s_delay_alu instid0(VALU_DEP_1) | instskip(SKIP_3) | instid1(VALU_DEP_1)
	v_add_nc_u32_e32 v3, v3, v61
	ds_swizzle_b32 v61, v3 offset:swizzle(BROADCAST,32,15)
	s_waitcnt lgkmcnt(0)
	v_cndmask_b32_e64 v61, v61, 0, s4
	v_add_nc_u32_e32 v3, v3, v61
	s_and_saveexec_b32 s9, s8
	s_cbranch_execz .LBB279_20
; %bb.19:                               ;   in Loop: Header=BB279_2 Depth=1
	ds_store_b32 v17, v3
.LBB279_20:                             ;   in Loop: Header=BB279_2 Depth=1
	s_or_b32 exec_lo, exec_lo, s9
	s_waitcnt lgkmcnt(0)
	s_barrier
	buffer_gl0_inv
	s_and_saveexec_b32 s9, s5
	s_cbranch_execz .LBB279_22
; %bb.21:                               ;   in Loop: Header=BB279_2 Depth=1
	ds_load_b32 v61, v21
	s_waitcnt lgkmcnt(0)
	v_mov_b32_dpp v62, v61 row_shr:1 row_mask:0xf bank_mask:0xf
	s_delay_alu instid0(VALU_DEP_1) | instskip(NEXT) | instid1(VALU_DEP_1)
	v_cndmask_b32_e64 v62, v62, 0, s0
	v_add_nc_u32_e32 v61, v62, v61
	s_delay_alu instid0(VALU_DEP_1) | instskip(NEXT) | instid1(VALU_DEP_1)
	v_mov_b32_dpp v62, v61 row_shr:2 row_mask:0xf bank_mask:0xf
	v_cndmask_b32_e64 v62, 0, v62, s1
	s_delay_alu instid0(VALU_DEP_1) | instskip(NEXT) | instid1(VALU_DEP_1)
	v_add_nc_u32_e32 v61, v61, v62
	v_mov_b32_dpp v62, v61 row_shr:4 row_mask:0xf bank_mask:0xf
	s_delay_alu instid0(VALU_DEP_1) | instskip(NEXT) | instid1(VALU_DEP_1)
	v_cndmask_b32_e64 v62, 0, v62, s2
	v_add_nc_u32_e32 v61, v61, v62
	s_delay_alu instid0(VALU_DEP_1) | instskip(NEXT) | instid1(VALU_DEP_1)
	v_mov_b32_dpp v62, v61 row_shr:8 row_mask:0xf bank_mask:0xf
	v_cndmask_b32_e64 v62, 0, v62, s3
	s_delay_alu instid0(VALU_DEP_1)
	v_add_nc_u32_e32 v61, v61, v62
	ds_store_b32 v21, v61
.LBB279_22:                             ;   in Loop: Header=BB279_2 Depth=1
	s_or_b32 exec_lo, exec_lo, s9
	v_mov_b32_e32 v61, 0
	s_waitcnt lgkmcnt(0)
	s_barrier
	buffer_gl0_inv
	s_and_saveexec_b32 s9, s6
	s_cbranch_execz .LBB279_1
; %bb.23:                               ;   in Loop: Header=BB279_2 Depth=1
	ds_load_b32 v61, v19
	s_branch .LBB279_1
.LBB279_24:
	v_add_nc_u16 v0, v27, v25
	v_add_nc_u16 v1, v28, v5
	;; [unrolled: 1-line block ×3, first 2 shown]
	s_add_u32 s0, s18, s11
	v_add_nc_u16 v3, v30, v6
	s_addc_u32 s1, s19, 0
	v_add_nc_u16 v5, v31, v23
	v_add_nc_u16 v6, v32, v7
	v_add_nc_u16 v7, v33, v22
	v_add_nc_u16 v4, v26, v4
	s_clause 0x7
	global_store_b8 v8, v0, s[0:1]
	global_store_b8 v8, v1, s[0:1] offset:320
	global_store_b8 v8, v2, s[0:1] offset:640
	;; [unrolled: 1-line block ×7, first 2 shown]
	s_nop 0
	s_sendmsg sendmsg(MSG_DEALLOC_VGPRS)
	s_endpgm
	.section	.rodata,"a",@progbits
	.p2align	6, 0x0
	.amdhsa_kernel _Z17sort_pairs_kernelI22helper_blocked_stripedaLj320ELj8ELj10EEvPKT0_PS1_
		.amdhsa_group_segment_fixed_size 10288
		.amdhsa_private_segment_fixed_size 0
		.amdhsa_kernarg_size 272
		.amdhsa_user_sgpr_count 15
		.amdhsa_user_sgpr_dispatch_ptr 0
		.amdhsa_user_sgpr_queue_ptr 0
		.amdhsa_user_sgpr_kernarg_segment_ptr 1
		.amdhsa_user_sgpr_dispatch_id 0
		.amdhsa_user_sgpr_private_segment_size 0
		.amdhsa_wavefront_size32 1
		.amdhsa_uses_dynamic_stack 0
		.amdhsa_enable_private_segment 0
		.amdhsa_system_sgpr_workgroup_id_x 1
		.amdhsa_system_sgpr_workgroup_id_y 0
		.amdhsa_system_sgpr_workgroup_id_z 0
		.amdhsa_system_sgpr_workgroup_info 0
		.amdhsa_system_vgpr_workitem_id 2
		.amdhsa_next_free_vgpr 63
		.amdhsa_next_free_sgpr 20
		.amdhsa_reserve_vcc 1
		.amdhsa_float_round_mode_32 0
		.amdhsa_float_round_mode_16_64 0
		.amdhsa_float_denorm_mode_32 3
		.amdhsa_float_denorm_mode_16_64 3
		.amdhsa_dx10_clamp 1
		.amdhsa_ieee_mode 1
		.amdhsa_fp16_overflow 0
		.amdhsa_workgroup_processor_mode 1
		.amdhsa_memory_ordered 1
		.amdhsa_forward_progress 0
		.amdhsa_shared_vgpr_count 0
		.amdhsa_exception_fp_ieee_invalid_op 0
		.amdhsa_exception_fp_denorm_src 0
		.amdhsa_exception_fp_ieee_div_zero 0
		.amdhsa_exception_fp_ieee_overflow 0
		.amdhsa_exception_fp_ieee_underflow 0
		.amdhsa_exception_fp_ieee_inexact 0
		.amdhsa_exception_int_div_zero 0
	.end_amdhsa_kernel
	.section	.text._Z17sort_pairs_kernelI22helper_blocked_stripedaLj320ELj8ELj10EEvPKT0_PS1_,"axG",@progbits,_Z17sort_pairs_kernelI22helper_blocked_stripedaLj320ELj8ELj10EEvPKT0_PS1_,comdat
.Lfunc_end279:
	.size	_Z17sort_pairs_kernelI22helper_blocked_stripedaLj320ELj8ELj10EEvPKT0_PS1_, .Lfunc_end279-_Z17sort_pairs_kernelI22helper_blocked_stripedaLj320ELj8ELj10EEvPKT0_PS1_
                                        ; -- End function
	.section	.AMDGPU.csdata,"",@progbits
; Kernel info:
; codeLenInByte = 5164
; NumSgprs: 22
; NumVgprs: 63
; ScratchSize: 0
; MemoryBound: 0
; FloatMode: 240
; IeeeMode: 1
; LDSByteSize: 10288 bytes/workgroup (compile time only)
; SGPRBlocks: 2
; VGPRBlocks: 7
; NumSGPRsForWavesPerEU: 22
; NumVGPRsForWavesPerEU: 63
; Occupancy: 15
; WaveLimiterHint : 1
; COMPUTE_PGM_RSRC2:SCRATCH_EN: 0
; COMPUTE_PGM_RSRC2:USER_SGPR: 15
; COMPUTE_PGM_RSRC2:TRAP_HANDLER: 0
; COMPUTE_PGM_RSRC2:TGID_X_EN: 1
; COMPUTE_PGM_RSRC2:TGID_Y_EN: 0
; COMPUTE_PGM_RSRC2:TGID_Z_EN: 0
; COMPUTE_PGM_RSRC2:TIDIG_COMP_CNT: 2
	.section	.text._Z16sort_keys_kernelI22helper_blocked_stripedaLj512ELj1ELj10EEvPKT0_PS1_,"axG",@progbits,_Z16sort_keys_kernelI22helper_blocked_stripedaLj512ELj1ELj10EEvPKT0_PS1_,comdat
	.protected	_Z16sort_keys_kernelI22helper_blocked_stripedaLj512ELj1ELj10EEvPKT0_PS1_ ; -- Begin function _Z16sort_keys_kernelI22helper_blocked_stripedaLj512ELj1ELj10EEvPKT0_PS1_
	.globl	_Z16sort_keys_kernelI22helper_blocked_stripedaLj512ELj1ELj10EEvPKT0_PS1_
	.p2align	8
	.type	_Z16sort_keys_kernelI22helper_blocked_stripedaLj512ELj1ELj10EEvPKT0_PS1_,@function
_Z16sort_keys_kernelI22helper_blocked_stripedaLj512ELj1ELj10EEvPKT0_PS1_: ; @_Z16sort_keys_kernelI22helper_blocked_stripedaLj512ELj1ELj10EEvPKT0_PS1_
; %bb.0:
	s_clause 0x1
	s_load_b128 s[16:19], s[0:1], 0x0
	s_load_b32 s8, s[0:1], 0x1c
	s_lshl_b32 s12, s15, 9
	v_and_b32_e32 v8, 0x3ff, v0
	v_mbcnt_lo_u32_b32 v1, -1, 0
	v_bfe_u32 v3, v0, 10, 10
	v_bfe_u32 v0, v0, 20, 10
	s_mov_b32 s13, 10
	s_delay_alu instid0(VALU_DEP_3) | instskip(SKIP_3) | instid1(VALU_DEP_1)
	v_add_nc_u32_e32 v6, -1, v1
	v_and_b32_e32 v4, 15, v1
	v_cmp_eq_u32_e32 vcc_lo, 0, v1
	v_and_b32_e32 v5, 16, v1
	v_cmp_eq_u32_e64 s4, 0, v5
	s_waitcnt lgkmcnt(0)
	s_add_u32 s0, s16, s12
	s_addc_u32 s1, s17, 0
	s_lshr_b32 s7, s8, 16
	global_load_u8 v2, v8, s[0:1]
	s_mov_b32 s0, 0
	v_mad_u32_u24 v3, v0, s7, v3
	s_mov_b32 s3, s0
	s_mov_b32 s1, s0
	;; [unrolled: 1-line block ×3, first 2 shown]
	v_mov_b32_e32 v12, s3
	v_cmp_gt_i32_e64 s7, 0, v6
	v_dual_mov_b32 v10, s1 :: v_dual_mov_b32 v11, s2
	v_mov_b32_e32 v9, s0
	v_lshlrev_b32_e32 v13, 5, v8
	s_delay_alu instid0(VALU_DEP_4)
	v_cndmask_b32_e64 v5, v6, v1, s7
	v_lshrrev_b32_e32 v6, 3, v8
	s_and_b32 s7, s8, 0xffff
	v_cmp_eq_u32_e64 s0, 0, v4
	v_mad_u64_u32 v[0:1], null, v3, s7, v[8:9]
	v_cmp_lt_u32_e64 s1, 1, v4
	v_cmp_lt_u32_e64 s2, 3, v4
	;; [unrolled: 1-line block ×3, first 2 shown]
	v_or_b32_e32 v4, 31, v8
	v_and_b32_e32 v14, 60, v6
	v_mul_u32_u24_e32 v1, 3, v8
	v_cmp_gt_u32_e64 s5, 16, v8
	v_cmp_lt_u32_e64 s6, 31, v8
	v_cmp_eq_u32_e64 s7, 0, v8
	v_add_nc_u32_e32 v15, 64, v13
	v_cmp_eq_u32_e64 s8, v4, v8
	v_lshlrev_b32_e32 v16, 2, v5
	v_add_nc_u32_e32 v17, -4, v14
	v_lshrrev_b32_e32 v18, 5, v0
	v_add_nc_u32_e32 v19, v8, v1
	s_waitcnt vmcnt(0)
	v_xor_b32_e32 v20, 0xffffff80, v2
	s_branch .LBB280_2
.LBB280_1:                              ;   in Loop: Header=BB280_2 Depth=1
	s_or_b32 exec_lo, exec_lo, s9
	s_waitcnt lgkmcnt(0)
	v_add_nc_u32_e32 v3, v23, v3
	s_add_i32 s13, s13, -1
	s_delay_alu instid0(SALU_CYCLE_1) | instskip(SKIP_3) | instid1(VALU_DEP_1)
	s_cmp_eq_u32 s13, 0
	ds_bpermute_b32 v3, v16, v3
	s_waitcnt lgkmcnt(0)
	v_cndmask_b32_e32 v3, v3, v23, vcc_lo
	v_cndmask_b32_e64 v3, v3, 0, s7
	s_delay_alu instid0(VALU_DEP_1) | instskip(NEXT) | instid1(VALU_DEP_1)
	v_add_nc_u32_e32 v4, v3, v4
	v_add_nc_u32_e32 v5, v4, v5
	s_delay_alu instid0(VALU_DEP_1) | instskip(NEXT) | instid1(VALU_DEP_1)
	v_add_nc_u32_e32 v6, v5, v6
	v_add_nc_u32_e32 v23, v6, v7
	;; [unrolled: 3-line block ×3, first 2 shown]
	s_delay_alu instid0(VALU_DEP_1)
	v_add_nc_u32_e32 v1, v0, v2
	ds_store_2addr_b64 v13, v[3:4], v[5:6] offset0:8 offset1:9
	ds_store_2addr_b64 v15, v[23:24], v[0:1] offset0:2 offset1:3
	s_waitcnt lgkmcnt(0)
	s_barrier
	buffer_gl0_inv
	ds_load_b32 v0, v22
	s_waitcnt lgkmcnt(0)
	s_barrier
	buffer_gl0_inv
	v_add_nc_u32_e32 v0, v0, v21
	ds_store_b8 v0, v20
	s_waitcnt lgkmcnt(0)
	s_barrier
	buffer_gl0_inv
	ds_load_u8 v20, v8
	s_cbranch_scc1 .LBB280_10
.LBB280_2:                              ; =>This Inner Loop Header: Depth=1
	s_waitcnt lgkmcnt(0)
	s_delay_alu instid0(VALU_DEP_1)
	v_and_b32_e32 v0, 1, v20
	v_lshlrev_b32_e32 v1, 30, v20
	v_lshlrev_b32_e32 v2, 29, v20
	;; [unrolled: 1-line block ×4, first 2 shown]
	v_add_co_u32 v0, s9, v0, -1
	s_delay_alu instid0(VALU_DEP_1)
	v_cndmask_b32_e64 v3, 0, 1, s9
	v_not_b32_e32 v7, v1
	v_cmp_gt_i32_e64 s10, 0, v1
	v_not_b32_e32 v1, v2
	v_lshlrev_b32_e32 v6, 26, v20
	v_cmp_ne_u32_e64 s9, 0, v3
	v_ashrrev_i32_e32 v7, 31, v7
	v_lshlrev_b32_e32 v3, 25, v20
	v_ashrrev_i32_e32 v1, 31, v1
	v_cmp_gt_i32_e64 s11, 0, v5
	v_xor_b32_e32 v0, s9, v0
	v_cmp_gt_i32_e64 s9, 0, v2
	v_not_b32_e32 v2, v4
	v_xor_b32_e32 v7, s10, v7
	v_cmp_gt_i32_e64 s10, 0, v4
	v_and_b32_e32 v0, exec_lo, v0
	v_xor_b32_e32 v1, s9, v1
	v_ashrrev_i32_e32 v2, 31, v2
	v_not_b32_e32 v4, v5
	v_not_b32_e32 v5, v6
	v_and_b32_e32 v0, v0, v7
	v_cmp_gt_i32_e64 s9, 0, v6
	v_xor_b32_e32 v2, s10, v2
	v_not_b32_e32 v6, v3
	ds_store_2addr_b64 v13, v[9:10], v[11:12] offset0:8 offset1:9
	ds_store_2addr_b64 v15, v[9:10], v[11:12] offset0:2 offset1:3
	v_and_b32_e32 v0, v0, v1
	v_ashrrev_i32_e32 v1, 31, v4
	v_ashrrev_i32_e32 v4, 31, v5
	v_lshlrev_b32_e32 v5, 24, v20
	s_waitcnt lgkmcnt(0)
	v_and_b32_e32 v0, v0, v2
	v_xor_b32_e32 v1, s11, v1
	v_xor_b32_e32 v2, s9, v4
	v_cmp_gt_i32_e64 s9, 0, v3
	v_not_b32_e32 v3, v5
	v_ashrrev_i32_e32 v4, 31, v6
	v_and_b32_e32 v0, v0, v1
	v_cmp_gt_i32_e64 s10, 0, v5
	s_barrier
	v_ashrrev_i32_e32 v1, 31, v3
	v_xor_b32_e32 v3, s9, v4
	v_and_b32_e32 v0, v0, v2
	buffer_gl0_inv
	v_xor_b32_e32 v1, s10, v1
	; wave barrier
	v_and_b32_e32 v0, v0, v3
	s_delay_alu instid0(VALU_DEP_1) | instskip(SKIP_1) | instid1(VALU_DEP_2)
	v_and_b32_e32 v0, v0, v1
	v_and_b32_e32 v1, 0xff, v20
	v_mbcnt_lo_u32_b32 v21, v0, 0
	s_delay_alu instid0(VALU_DEP_2) | instskip(SKIP_1) | instid1(VALU_DEP_3)
	v_lshl_add_u32 v1, v1, 4, v18
	v_cmp_ne_u32_e64 s10, 0, v0
	v_cmp_eq_u32_e64 s9, 0, v21
	s_delay_alu instid0(VALU_DEP_3) | instskip(NEXT) | instid1(VALU_DEP_2)
	v_lshl_add_u32 v22, v1, 2, 64
	s_and_b32 s10, s10, s9
	s_delay_alu instid0(SALU_CYCLE_1)
	s_and_saveexec_b32 s9, s10
	s_cbranch_execz .LBB280_4
; %bb.3:                                ;   in Loop: Header=BB280_2 Depth=1
	v_bcnt_u32_b32 v0, v0, 0
	ds_store_b32 v22, v0
.LBB280_4:                              ;   in Loop: Header=BB280_2 Depth=1
	s_or_b32 exec_lo, exec_lo, s9
	; wave barrier
	s_waitcnt lgkmcnt(0)
	s_barrier
	buffer_gl0_inv
	ds_load_2addr_b64 v[4:7], v13 offset0:8 offset1:9
	ds_load_2addr_b64 v[0:3], v15 offset0:2 offset1:3
	s_waitcnt lgkmcnt(1)
	v_add_nc_u32_e32 v23, v5, v4
	s_delay_alu instid0(VALU_DEP_1) | instskip(SKIP_1) | instid1(VALU_DEP_1)
	v_add3_u32 v23, v23, v6, v7
	s_waitcnt lgkmcnt(0)
	v_add3_u32 v23, v23, v0, v1
	s_delay_alu instid0(VALU_DEP_1) | instskip(NEXT) | instid1(VALU_DEP_1)
	v_add3_u32 v3, v23, v2, v3
	v_mov_b32_dpp v23, v3 row_shr:1 row_mask:0xf bank_mask:0xf
	s_delay_alu instid0(VALU_DEP_1) | instskip(NEXT) | instid1(VALU_DEP_1)
	v_cndmask_b32_e64 v23, v23, 0, s0
	v_add_nc_u32_e32 v3, v23, v3
	s_delay_alu instid0(VALU_DEP_1) | instskip(NEXT) | instid1(VALU_DEP_1)
	v_mov_b32_dpp v23, v3 row_shr:2 row_mask:0xf bank_mask:0xf
	v_cndmask_b32_e64 v23, 0, v23, s1
	s_delay_alu instid0(VALU_DEP_1) | instskip(NEXT) | instid1(VALU_DEP_1)
	v_add_nc_u32_e32 v3, v3, v23
	v_mov_b32_dpp v23, v3 row_shr:4 row_mask:0xf bank_mask:0xf
	s_delay_alu instid0(VALU_DEP_1) | instskip(NEXT) | instid1(VALU_DEP_1)
	v_cndmask_b32_e64 v23, 0, v23, s2
	v_add_nc_u32_e32 v3, v3, v23
	s_delay_alu instid0(VALU_DEP_1) | instskip(NEXT) | instid1(VALU_DEP_1)
	v_mov_b32_dpp v23, v3 row_shr:8 row_mask:0xf bank_mask:0xf
	v_cndmask_b32_e64 v23, 0, v23, s3
	s_delay_alu instid0(VALU_DEP_1) | instskip(SKIP_3) | instid1(VALU_DEP_1)
	v_add_nc_u32_e32 v3, v3, v23
	ds_swizzle_b32 v23, v3 offset:swizzle(BROADCAST,32,15)
	s_waitcnt lgkmcnt(0)
	v_cndmask_b32_e64 v23, v23, 0, s4
	v_add_nc_u32_e32 v3, v3, v23
	s_and_saveexec_b32 s9, s8
	s_cbranch_execz .LBB280_6
; %bb.5:                                ;   in Loop: Header=BB280_2 Depth=1
	ds_store_b32 v14, v3
.LBB280_6:                              ;   in Loop: Header=BB280_2 Depth=1
	s_or_b32 exec_lo, exec_lo, s9
	s_waitcnt lgkmcnt(0)
	s_barrier
	buffer_gl0_inv
	s_and_saveexec_b32 s9, s5
	s_cbranch_execz .LBB280_8
; %bb.7:                                ;   in Loop: Header=BB280_2 Depth=1
	ds_load_b32 v23, v19
	s_waitcnt lgkmcnt(0)
	v_mov_b32_dpp v24, v23 row_shr:1 row_mask:0xf bank_mask:0xf
	s_delay_alu instid0(VALU_DEP_1) | instskip(NEXT) | instid1(VALU_DEP_1)
	v_cndmask_b32_e64 v24, v24, 0, s0
	v_add_nc_u32_e32 v23, v24, v23
	s_delay_alu instid0(VALU_DEP_1) | instskip(NEXT) | instid1(VALU_DEP_1)
	v_mov_b32_dpp v24, v23 row_shr:2 row_mask:0xf bank_mask:0xf
	v_cndmask_b32_e64 v24, 0, v24, s1
	s_delay_alu instid0(VALU_DEP_1) | instskip(NEXT) | instid1(VALU_DEP_1)
	v_add_nc_u32_e32 v23, v23, v24
	v_mov_b32_dpp v24, v23 row_shr:4 row_mask:0xf bank_mask:0xf
	s_delay_alu instid0(VALU_DEP_1) | instskip(NEXT) | instid1(VALU_DEP_1)
	v_cndmask_b32_e64 v24, 0, v24, s2
	v_add_nc_u32_e32 v23, v23, v24
	s_delay_alu instid0(VALU_DEP_1) | instskip(NEXT) | instid1(VALU_DEP_1)
	v_mov_b32_dpp v24, v23 row_shr:8 row_mask:0xf bank_mask:0xf
	v_cndmask_b32_e64 v24, 0, v24, s3
	s_delay_alu instid0(VALU_DEP_1)
	v_add_nc_u32_e32 v23, v23, v24
	ds_store_b32 v19, v23
.LBB280_8:                              ;   in Loop: Header=BB280_2 Depth=1
	s_or_b32 exec_lo, exec_lo, s9
	v_mov_b32_e32 v23, 0
	s_waitcnt lgkmcnt(0)
	s_barrier
	buffer_gl0_inv
	s_and_saveexec_b32 s9, s6
	s_cbranch_execz .LBB280_1
; %bb.9:                                ;   in Loop: Header=BB280_2 Depth=1
	ds_load_b32 v23, v17
	s_branch .LBB280_1
.LBB280_10:
	s_add_u32 s0, s18, s12
	s_addc_u32 s1, s19, 0
	v_add_co_u32 v0, s0, s0, v8
	s_waitcnt lgkmcnt(0)
	v_xor_b32_e32 v2, 0x80, v20
	v_add_co_ci_u32_e64 v1, null, s1, 0, s0
	global_store_b8 v[0:1], v2, off
	s_nop 0
	s_sendmsg sendmsg(MSG_DEALLOC_VGPRS)
	s_endpgm
	.section	.rodata,"a",@progbits
	.p2align	6, 0x0
	.amdhsa_kernel _Z16sort_keys_kernelI22helper_blocked_stripedaLj512ELj1ELj10EEvPKT0_PS1_
		.amdhsa_group_segment_fixed_size 16448
		.amdhsa_private_segment_fixed_size 0
		.amdhsa_kernarg_size 272
		.amdhsa_user_sgpr_count 15
		.amdhsa_user_sgpr_dispatch_ptr 0
		.amdhsa_user_sgpr_queue_ptr 0
		.amdhsa_user_sgpr_kernarg_segment_ptr 1
		.amdhsa_user_sgpr_dispatch_id 0
		.amdhsa_user_sgpr_private_segment_size 0
		.amdhsa_wavefront_size32 1
		.amdhsa_uses_dynamic_stack 0
		.amdhsa_enable_private_segment 0
		.amdhsa_system_sgpr_workgroup_id_x 1
		.amdhsa_system_sgpr_workgroup_id_y 0
		.amdhsa_system_sgpr_workgroup_id_z 0
		.amdhsa_system_sgpr_workgroup_info 0
		.amdhsa_system_vgpr_workitem_id 2
		.amdhsa_next_free_vgpr 25
		.amdhsa_next_free_sgpr 20
		.amdhsa_reserve_vcc 1
		.amdhsa_float_round_mode_32 0
		.amdhsa_float_round_mode_16_64 0
		.amdhsa_float_denorm_mode_32 3
		.amdhsa_float_denorm_mode_16_64 3
		.amdhsa_dx10_clamp 1
		.amdhsa_ieee_mode 1
		.amdhsa_fp16_overflow 0
		.amdhsa_workgroup_processor_mode 1
		.amdhsa_memory_ordered 1
		.amdhsa_forward_progress 0
		.amdhsa_shared_vgpr_count 0
		.amdhsa_exception_fp_ieee_invalid_op 0
		.amdhsa_exception_fp_denorm_src 0
		.amdhsa_exception_fp_ieee_div_zero 0
		.amdhsa_exception_fp_ieee_overflow 0
		.amdhsa_exception_fp_ieee_underflow 0
		.amdhsa_exception_fp_ieee_inexact 0
		.amdhsa_exception_int_div_zero 0
	.end_amdhsa_kernel
	.section	.text._Z16sort_keys_kernelI22helper_blocked_stripedaLj512ELj1ELj10EEvPKT0_PS1_,"axG",@progbits,_Z16sort_keys_kernelI22helper_blocked_stripedaLj512ELj1ELj10EEvPKT0_PS1_,comdat
.Lfunc_end280:
	.size	_Z16sort_keys_kernelI22helper_blocked_stripedaLj512ELj1ELj10EEvPKT0_PS1_, .Lfunc_end280-_Z16sort_keys_kernelI22helper_blocked_stripedaLj512ELj1ELj10EEvPKT0_PS1_
                                        ; -- End function
	.section	.AMDGPU.csdata,"",@progbits
; Kernel info:
; codeLenInByte = 1340
; NumSgprs: 22
; NumVgprs: 25
; ScratchSize: 0
; MemoryBound: 0
; FloatMode: 240
; IeeeMode: 1
; LDSByteSize: 16448 bytes/workgroup (compile time only)
; SGPRBlocks: 2
; VGPRBlocks: 3
; NumSGPRsForWavesPerEU: 22
; NumVGPRsForWavesPerEU: 25
; Occupancy: 16
; WaveLimiterHint : 0
; COMPUTE_PGM_RSRC2:SCRATCH_EN: 0
; COMPUTE_PGM_RSRC2:USER_SGPR: 15
; COMPUTE_PGM_RSRC2:TRAP_HANDLER: 0
; COMPUTE_PGM_RSRC2:TGID_X_EN: 1
; COMPUTE_PGM_RSRC2:TGID_Y_EN: 0
; COMPUTE_PGM_RSRC2:TGID_Z_EN: 0
; COMPUTE_PGM_RSRC2:TIDIG_COMP_CNT: 2
	.section	.text._Z17sort_pairs_kernelI22helper_blocked_stripedaLj512ELj1ELj10EEvPKT0_PS1_,"axG",@progbits,_Z17sort_pairs_kernelI22helper_blocked_stripedaLj512ELj1ELj10EEvPKT0_PS1_,comdat
	.protected	_Z17sort_pairs_kernelI22helper_blocked_stripedaLj512ELj1ELj10EEvPKT0_PS1_ ; -- Begin function _Z17sort_pairs_kernelI22helper_blocked_stripedaLj512ELj1ELj10EEvPKT0_PS1_
	.globl	_Z17sort_pairs_kernelI22helper_blocked_stripedaLj512ELj1ELj10EEvPKT0_PS1_
	.p2align	8
	.type	_Z17sort_pairs_kernelI22helper_blocked_stripedaLj512ELj1ELj10EEvPKT0_PS1_,@function
_Z17sort_pairs_kernelI22helper_blocked_stripedaLj512ELj1ELj10EEvPKT0_PS1_: ; @_Z17sort_pairs_kernelI22helper_blocked_stripedaLj512ELj1ELj10EEvPKT0_PS1_
; %bb.0:
	s_clause 0x1
	s_load_b128 s[16:19], s[0:1], 0x0
	s_load_b32 s8, s[0:1], 0x1c
	s_lshl_b32 s12, s15, 9
	v_and_b32_e32 v8, 0x3ff, v0
	v_mbcnt_lo_u32_b32 v1, -1, 0
	v_bfe_u32 v3, v0, 10, 10
	v_bfe_u32 v0, v0, 20, 10
	s_mov_b32 s13, 10
	s_delay_alu instid0(VALU_DEP_3) | instskip(SKIP_3) | instid1(VALU_DEP_1)
	v_add_nc_u32_e32 v6, -1, v1
	v_and_b32_e32 v4, 15, v1
	v_cmp_eq_u32_e32 vcc_lo, 0, v1
	v_and_b32_e32 v5, 16, v1
	v_cmp_eq_u32_e64 s4, 0, v5
	s_waitcnt lgkmcnt(0)
	s_add_u32 s0, s16, s12
	s_addc_u32 s1, s17, 0
	s_lshr_b32 s7, s8, 16
	global_load_u8 v2, v8, s[0:1]
	s_mov_b32 s0, 0
	v_mad_u32_u24 v3, v0, s7, v3
	s_mov_b32 s3, s0
	s_mov_b32 s1, s0
	;; [unrolled: 1-line block ×3, first 2 shown]
	v_mov_b32_e32 v12, s3
	v_cmp_gt_i32_e64 s7, 0, v6
	v_dual_mov_b32 v10, s1 :: v_dual_mov_b32 v11, s2
	v_mov_b32_e32 v9, s0
	v_lshlrev_b32_e32 v13, 5, v8
	s_delay_alu instid0(VALU_DEP_4)
	v_cndmask_b32_e64 v5, v6, v1, s7
	v_lshrrev_b32_e32 v6, 3, v8
	s_and_b32 s7, s8, 0xffff
	v_cmp_eq_u32_e64 s0, 0, v4
	v_mad_u64_u32 v[0:1], null, v3, s7, v[8:9]
	v_cmp_lt_u32_e64 s1, 1, v4
	v_cmp_lt_u32_e64 s2, 3, v4
	;; [unrolled: 1-line block ×3, first 2 shown]
	v_or_b32_e32 v4, 31, v8
	v_and_b32_e32 v14, 60, v6
	v_mul_u32_u24_e32 v1, 3, v8
	v_cmp_gt_u32_e64 s5, 16, v8
	v_cmp_lt_u32_e64 s6, 31, v8
	v_cmp_eq_u32_e64 s7, 0, v8
	v_add_nc_u32_e32 v15, 64, v13
	v_cmp_eq_u32_e64 s8, v4, v8
	v_lshlrev_b32_e32 v16, 2, v5
	v_add_nc_u32_e32 v17, -4, v14
	v_lshrrev_b32_e32 v18, 5, v0
	v_add_nc_u32_e32 v19, v8, v1
	s_waitcnt vmcnt(0)
	v_add_nc_u16 v20, v2, 1
	v_xor_b32_e32 v21, 0xffffff80, v2
	s_branch .LBB281_2
.LBB281_1:                              ;   in Loop: Header=BB281_2 Depth=1
	s_or_b32 exec_lo, exec_lo, s9
	s_waitcnt lgkmcnt(0)
	v_add_nc_u32_e32 v3, v24, v3
	s_add_i32 s13, s13, -1
	s_delay_alu instid0(SALU_CYCLE_1) | instskip(SKIP_3) | instid1(VALU_DEP_1)
	s_cmp_lg_u32 s13, 0
	ds_bpermute_b32 v3, v16, v3
	s_waitcnt lgkmcnt(0)
	v_cndmask_b32_e32 v3, v3, v24, vcc_lo
	v_cndmask_b32_e64 v3, v3, 0, s7
	s_delay_alu instid0(VALU_DEP_1) | instskip(NEXT) | instid1(VALU_DEP_1)
	v_add_nc_u32_e32 v4, v3, v4
	v_add_nc_u32_e32 v5, v4, v5
	s_delay_alu instid0(VALU_DEP_1) | instskip(NEXT) | instid1(VALU_DEP_1)
	v_add_nc_u32_e32 v6, v5, v6
	v_add_nc_u32_e32 v24, v6, v7
	;; [unrolled: 3-line block ×3, first 2 shown]
	s_delay_alu instid0(VALU_DEP_1)
	v_add_nc_u32_e32 v1, v0, v2
	ds_store_2addr_b64 v13, v[3:4], v[5:6] offset0:8 offset1:9
	ds_store_2addr_b64 v15, v[24:25], v[0:1] offset0:2 offset1:3
	s_waitcnt lgkmcnt(0)
	s_barrier
	buffer_gl0_inv
	ds_load_b32 v0, v23
	s_waitcnt lgkmcnt(0)
	s_barrier
	buffer_gl0_inv
	v_add_nc_u32_e32 v0, v0, v22
	ds_store_b8 v0, v21
	s_waitcnt lgkmcnt(0)
	s_barrier
	buffer_gl0_inv
	ds_load_u8 v21, v8
	s_waitcnt lgkmcnt(0)
	s_barrier
	buffer_gl0_inv
	ds_store_b8 v0, v20
	s_waitcnt lgkmcnt(0)
	s_barrier
	buffer_gl0_inv
	ds_load_u8 v20, v8
	s_cbranch_scc0 .LBB281_10
.LBB281_2:                              ; =>This Inner Loop Header: Depth=1
	s_delay_alu instid0(VALU_DEP_1)
	v_and_b32_e32 v0, 1, v21
	v_lshlrev_b32_e32 v1, 30, v21
	v_lshlrev_b32_e32 v2, 29, v21
	;; [unrolled: 1-line block ×4, first 2 shown]
	v_add_co_u32 v0, s9, v0, -1
	s_delay_alu instid0(VALU_DEP_1)
	v_cndmask_b32_e64 v3, 0, 1, s9
	v_not_b32_e32 v7, v1
	v_cmp_gt_i32_e64 s10, 0, v1
	v_not_b32_e32 v1, v2
	v_lshlrev_b32_e32 v6, 26, v21
	v_cmp_ne_u32_e64 s9, 0, v3
	v_ashrrev_i32_e32 v7, 31, v7
	v_lshlrev_b32_e32 v3, 25, v21
	v_ashrrev_i32_e32 v1, 31, v1
	v_cmp_gt_i32_e64 s11, 0, v5
	v_xor_b32_e32 v0, s9, v0
	v_cmp_gt_i32_e64 s9, 0, v2
	v_not_b32_e32 v2, v4
	v_xor_b32_e32 v7, s10, v7
	v_cmp_gt_i32_e64 s10, 0, v4
	v_and_b32_e32 v0, exec_lo, v0
	v_xor_b32_e32 v1, s9, v1
	v_ashrrev_i32_e32 v2, 31, v2
	v_not_b32_e32 v4, v5
	v_not_b32_e32 v5, v6
	v_and_b32_e32 v0, v0, v7
	v_cmp_gt_i32_e64 s9, 0, v6
	v_xor_b32_e32 v2, s10, v2
	v_not_b32_e32 v6, v3
	ds_store_2addr_b64 v13, v[9:10], v[11:12] offset0:8 offset1:9
	ds_store_2addr_b64 v15, v[9:10], v[11:12] offset0:2 offset1:3
	v_and_b32_e32 v0, v0, v1
	v_ashrrev_i32_e32 v1, 31, v4
	v_ashrrev_i32_e32 v4, 31, v5
	v_lshlrev_b32_e32 v5, 24, v21
	s_waitcnt lgkmcnt(0)
	v_and_b32_e32 v0, v0, v2
	v_xor_b32_e32 v1, s11, v1
	v_xor_b32_e32 v2, s9, v4
	v_cmp_gt_i32_e64 s9, 0, v3
	v_not_b32_e32 v3, v5
	v_ashrrev_i32_e32 v4, 31, v6
	v_and_b32_e32 v0, v0, v1
	v_cmp_gt_i32_e64 s10, 0, v5
	s_barrier
	v_ashrrev_i32_e32 v1, 31, v3
	v_xor_b32_e32 v3, s9, v4
	v_and_b32_e32 v0, v0, v2
	buffer_gl0_inv
	v_xor_b32_e32 v1, s10, v1
	; wave barrier
	v_and_b32_e32 v0, v0, v3
	s_delay_alu instid0(VALU_DEP_1) | instskip(SKIP_1) | instid1(VALU_DEP_2)
	v_and_b32_e32 v0, v0, v1
	v_and_b32_e32 v1, 0xff, v21
	v_mbcnt_lo_u32_b32 v22, v0, 0
	s_delay_alu instid0(VALU_DEP_2) | instskip(SKIP_1) | instid1(VALU_DEP_3)
	v_lshl_add_u32 v1, v1, 4, v18
	v_cmp_ne_u32_e64 s10, 0, v0
	v_cmp_eq_u32_e64 s9, 0, v22
	s_delay_alu instid0(VALU_DEP_3) | instskip(NEXT) | instid1(VALU_DEP_2)
	v_lshl_add_u32 v23, v1, 2, 64
	s_and_b32 s10, s10, s9
	s_delay_alu instid0(SALU_CYCLE_1)
	s_and_saveexec_b32 s9, s10
	s_cbranch_execz .LBB281_4
; %bb.3:                                ;   in Loop: Header=BB281_2 Depth=1
	v_bcnt_u32_b32 v0, v0, 0
	ds_store_b32 v23, v0
.LBB281_4:                              ;   in Loop: Header=BB281_2 Depth=1
	s_or_b32 exec_lo, exec_lo, s9
	; wave barrier
	s_waitcnt lgkmcnt(0)
	s_barrier
	buffer_gl0_inv
	ds_load_2addr_b64 v[4:7], v13 offset0:8 offset1:9
	ds_load_2addr_b64 v[0:3], v15 offset0:2 offset1:3
	s_waitcnt lgkmcnt(1)
	v_add_nc_u32_e32 v24, v5, v4
	s_delay_alu instid0(VALU_DEP_1) | instskip(SKIP_1) | instid1(VALU_DEP_1)
	v_add3_u32 v24, v24, v6, v7
	s_waitcnt lgkmcnt(0)
	v_add3_u32 v24, v24, v0, v1
	s_delay_alu instid0(VALU_DEP_1) | instskip(NEXT) | instid1(VALU_DEP_1)
	v_add3_u32 v3, v24, v2, v3
	v_mov_b32_dpp v24, v3 row_shr:1 row_mask:0xf bank_mask:0xf
	s_delay_alu instid0(VALU_DEP_1) | instskip(NEXT) | instid1(VALU_DEP_1)
	v_cndmask_b32_e64 v24, v24, 0, s0
	v_add_nc_u32_e32 v3, v24, v3
	s_delay_alu instid0(VALU_DEP_1) | instskip(NEXT) | instid1(VALU_DEP_1)
	v_mov_b32_dpp v24, v3 row_shr:2 row_mask:0xf bank_mask:0xf
	v_cndmask_b32_e64 v24, 0, v24, s1
	s_delay_alu instid0(VALU_DEP_1) | instskip(NEXT) | instid1(VALU_DEP_1)
	v_add_nc_u32_e32 v3, v3, v24
	v_mov_b32_dpp v24, v3 row_shr:4 row_mask:0xf bank_mask:0xf
	s_delay_alu instid0(VALU_DEP_1) | instskip(NEXT) | instid1(VALU_DEP_1)
	v_cndmask_b32_e64 v24, 0, v24, s2
	v_add_nc_u32_e32 v3, v3, v24
	s_delay_alu instid0(VALU_DEP_1) | instskip(NEXT) | instid1(VALU_DEP_1)
	v_mov_b32_dpp v24, v3 row_shr:8 row_mask:0xf bank_mask:0xf
	v_cndmask_b32_e64 v24, 0, v24, s3
	s_delay_alu instid0(VALU_DEP_1) | instskip(SKIP_3) | instid1(VALU_DEP_1)
	v_add_nc_u32_e32 v3, v3, v24
	ds_swizzle_b32 v24, v3 offset:swizzle(BROADCAST,32,15)
	s_waitcnt lgkmcnt(0)
	v_cndmask_b32_e64 v24, v24, 0, s4
	v_add_nc_u32_e32 v3, v3, v24
	s_and_saveexec_b32 s9, s8
	s_cbranch_execz .LBB281_6
; %bb.5:                                ;   in Loop: Header=BB281_2 Depth=1
	ds_store_b32 v14, v3
.LBB281_6:                              ;   in Loop: Header=BB281_2 Depth=1
	s_or_b32 exec_lo, exec_lo, s9
	s_waitcnt lgkmcnt(0)
	s_barrier
	buffer_gl0_inv
	s_and_saveexec_b32 s9, s5
	s_cbranch_execz .LBB281_8
; %bb.7:                                ;   in Loop: Header=BB281_2 Depth=1
	ds_load_b32 v24, v19
	s_waitcnt lgkmcnt(0)
	v_mov_b32_dpp v25, v24 row_shr:1 row_mask:0xf bank_mask:0xf
	s_delay_alu instid0(VALU_DEP_1) | instskip(NEXT) | instid1(VALU_DEP_1)
	v_cndmask_b32_e64 v25, v25, 0, s0
	v_add_nc_u32_e32 v24, v25, v24
	s_delay_alu instid0(VALU_DEP_1) | instskip(NEXT) | instid1(VALU_DEP_1)
	v_mov_b32_dpp v25, v24 row_shr:2 row_mask:0xf bank_mask:0xf
	v_cndmask_b32_e64 v25, 0, v25, s1
	s_delay_alu instid0(VALU_DEP_1) | instskip(NEXT) | instid1(VALU_DEP_1)
	v_add_nc_u32_e32 v24, v24, v25
	v_mov_b32_dpp v25, v24 row_shr:4 row_mask:0xf bank_mask:0xf
	s_delay_alu instid0(VALU_DEP_1) | instskip(NEXT) | instid1(VALU_DEP_1)
	v_cndmask_b32_e64 v25, 0, v25, s2
	v_add_nc_u32_e32 v24, v24, v25
	s_delay_alu instid0(VALU_DEP_1) | instskip(NEXT) | instid1(VALU_DEP_1)
	v_mov_b32_dpp v25, v24 row_shr:8 row_mask:0xf bank_mask:0xf
	v_cndmask_b32_e64 v25, 0, v25, s3
	s_delay_alu instid0(VALU_DEP_1)
	v_add_nc_u32_e32 v24, v24, v25
	ds_store_b32 v19, v24
.LBB281_8:                              ;   in Loop: Header=BB281_2 Depth=1
	s_or_b32 exec_lo, exec_lo, s9
	v_mov_b32_e32 v24, 0
	s_waitcnt lgkmcnt(0)
	s_barrier
	buffer_gl0_inv
	s_and_saveexec_b32 s9, s6
	s_cbranch_execz .LBB281_1
; %bb.9:                                ;   in Loop: Header=BB281_2 Depth=1
	ds_load_b32 v24, v17
	s_branch .LBB281_1
.LBB281_10:
	s_waitcnt lgkmcnt(0)
	v_add_nc_u16 v0, v20, v21
	s_add_u32 s0, s18, s12
	s_addc_u32 s1, s19, 0
	s_delay_alu instid0(VALU_DEP_1) | instskip(SKIP_1) | instid1(VALU_DEP_1)
	v_add_nc_u16 v2, v0, 0xff80
	v_add_co_u32 v0, s0, s0, v8
	v_add_co_ci_u32_e64 v1, null, s1, 0, s0
	global_store_b8 v[0:1], v2, off
	s_nop 0
	s_sendmsg sendmsg(MSG_DEALLOC_VGPRS)
	s_endpgm
	.section	.rodata,"a",@progbits
	.p2align	6, 0x0
	.amdhsa_kernel _Z17sort_pairs_kernelI22helper_blocked_stripedaLj512ELj1ELj10EEvPKT0_PS1_
		.amdhsa_group_segment_fixed_size 16448
		.amdhsa_private_segment_fixed_size 0
		.amdhsa_kernarg_size 272
		.amdhsa_user_sgpr_count 15
		.amdhsa_user_sgpr_dispatch_ptr 0
		.amdhsa_user_sgpr_queue_ptr 0
		.amdhsa_user_sgpr_kernarg_segment_ptr 1
		.amdhsa_user_sgpr_dispatch_id 0
		.amdhsa_user_sgpr_private_segment_size 0
		.amdhsa_wavefront_size32 1
		.amdhsa_uses_dynamic_stack 0
		.amdhsa_enable_private_segment 0
		.amdhsa_system_sgpr_workgroup_id_x 1
		.amdhsa_system_sgpr_workgroup_id_y 0
		.amdhsa_system_sgpr_workgroup_id_z 0
		.amdhsa_system_sgpr_workgroup_info 0
		.amdhsa_system_vgpr_workitem_id 2
		.amdhsa_next_free_vgpr 26
		.amdhsa_next_free_sgpr 20
		.amdhsa_reserve_vcc 1
		.amdhsa_float_round_mode_32 0
		.amdhsa_float_round_mode_16_64 0
		.amdhsa_float_denorm_mode_32 3
		.amdhsa_float_denorm_mode_16_64 3
		.amdhsa_dx10_clamp 1
		.amdhsa_ieee_mode 1
		.amdhsa_fp16_overflow 0
		.amdhsa_workgroup_processor_mode 1
		.amdhsa_memory_ordered 1
		.amdhsa_forward_progress 0
		.amdhsa_shared_vgpr_count 0
		.amdhsa_exception_fp_ieee_invalid_op 0
		.amdhsa_exception_fp_denorm_src 0
		.amdhsa_exception_fp_ieee_div_zero 0
		.amdhsa_exception_fp_ieee_overflow 0
		.amdhsa_exception_fp_ieee_underflow 0
		.amdhsa_exception_fp_ieee_inexact 0
		.amdhsa_exception_int_div_zero 0
	.end_amdhsa_kernel
	.section	.text._Z17sort_pairs_kernelI22helper_blocked_stripedaLj512ELj1ELj10EEvPKT0_PS1_,"axG",@progbits,_Z17sort_pairs_kernelI22helper_blocked_stripedaLj512ELj1ELj10EEvPKT0_PS1_,comdat
.Lfunc_end281:
	.size	_Z17sort_pairs_kernelI22helper_blocked_stripedaLj512ELj1ELj10EEvPKT0_PS1_, .Lfunc_end281-_Z17sort_pairs_kernelI22helper_blocked_stripedaLj512ELj1ELj10EEvPKT0_PS1_
                                        ; -- End function
	.section	.AMDGPU.csdata,"",@progbits
; Kernel info:
; codeLenInByte = 1408
; NumSgprs: 22
; NumVgprs: 26
; ScratchSize: 0
; MemoryBound: 0
; FloatMode: 240
; IeeeMode: 1
; LDSByteSize: 16448 bytes/workgroup (compile time only)
; SGPRBlocks: 2
; VGPRBlocks: 3
; NumSGPRsForWavesPerEU: 22
; NumVGPRsForWavesPerEU: 26
; Occupancy: 16
; WaveLimiterHint : 0
; COMPUTE_PGM_RSRC2:SCRATCH_EN: 0
; COMPUTE_PGM_RSRC2:USER_SGPR: 15
; COMPUTE_PGM_RSRC2:TRAP_HANDLER: 0
; COMPUTE_PGM_RSRC2:TGID_X_EN: 1
; COMPUTE_PGM_RSRC2:TGID_Y_EN: 0
; COMPUTE_PGM_RSRC2:TGID_Z_EN: 0
; COMPUTE_PGM_RSRC2:TIDIG_COMP_CNT: 2
	.section	.text._Z16sort_keys_kernelI22helper_blocked_stripedaLj512ELj3ELj10EEvPKT0_PS1_,"axG",@progbits,_Z16sort_keys_kernelI22helper_blocked_stripedaLj512ELj3ELj10EEvPKT0_PS1_,comdat
	.protected	_Z16sort_keys_kernelI22helper_blocked_stripedaLj512ELj3ELj10EEvPKT0_PS1_ ; -- Begin function _Z16sort_keys_kernelI22helper_blocked_stripedaLj512ELj3ELj10EEvPKT0_PS1_
	.globl	_Z16sort_keys_kernelI22helper_blocked_stripedaLj512ELj3ELj10EEvPKT0_PS1_
	.p2align	8
	.type	_Z16sort_keys_kernelI22helper_blocked_stripedaLj512ELj3ELj10EEvPKT0_PS1_,@function
_Z16sort_keys_kernelI22helper_blocked_stripedaLj512ELj3ELj10EEvPKT0_PS1_: ; @_Z16sort_keys_kernelI22helper_blocked_stripedaLj512ELj3ELj10EEvPKT0_PS1_
; %bb.0:
	s_clause 0x1
	s_load_b128 s[16:19], s[0:1], 0x0
	s_load_b32 s8, s[0:1], 0x1c
	v_and_b32_e32 v8, 0x3ff, v0
	s_mul_i32 s11, s15, 0x600
	v_mbcnt_lo_u32_b32 v4, -1, 0
	v_bfe_u32 v6, v0, 10, 10
	v_bfe_u32 v0, v0, 20, 10
	v_mul_u32_u24_e32 v2, 3, v8
	s_mov_b32 s12, 10
	v_and_b32_e32 v14, 16, v4
	v_add_nc_u32_e32 v15, -1, v4
	v_mul_u32_u24_e32 v5, 3, v4
	v_cmp_eq_u32_e32 vcc_lo, 0, v4
	v_and_b32_e32 v7, 15, v4
	v_cmp_eq_u32_e64 s4, 0, v14
	v_cmp_gt_i32_e64 s7, 0, v15
	s_waitcnt lgkmcnt(0)
	s_add_u32 s0, s16, s11
	s_addc_u32 s1, s17, 0
	s_clause 0x1
	global_load_u16 v1, v2, s[0:1]
	global_load_u8 v3, v2, s[0:1] offset:2
	s_mov_b32 s0, 0
	v_cndmask_b32_e64 v17, v15, v4, s7
	s_mov_b32 s1, s0
	s_lshr_b32 s9, s8, 16
	s_mov_b32 s2, s0
	s_mov_b32 s3, s0
	v_dual_mov_b32 v10, s1 :: v_dual_mov_b32 v9, s0
	v_mad_u32_u24 v6, v0, s9, v6
	v_mov_b32_e32 v12, s3
	v_lshrrev_b32_e32 v16, 5, v8
	s_and_b32 s8, s8, 0xffff
	v_mov_b32_e32 v11, s2
	v_lshlrev_b32_e32 v13, 5, v8
	v_cmp_eq_u32_e64 s0, 0, v7
	v_cmp_lt_u32_e64 s1, 1, v7
	v_cmp_lt_u32_e64 s2, 3, v7
	;; [unrolled: 1-line block ×3, first 2 shown]
	v_or_b32_e32 v7, 31, v8
	v_mul_u32_u24_e32 v19, 0x60, v16
	v_cmp_gt_u32_e64 s5, 16, v8
	v_cmp_lt_u32_e64 s6, 31, v8
	v_cmp_eq_u32_e64 s7, 0, v8
	v_add_nc_u32_e32 v21, v8, v2
	s_waitcnt vmcnt(1)
	v_lshrrev_b32_e32 v14, 8, v1
	v_and_b32_e32 v1, 0xff, v1
	s_delay_alu instid0(VALU_DEP_2) | instskip(SKIP_1) | instid1(VALU_DEP_2)
	v_lshlrev_b16 v15, 8, v14
	v_add_nc_u32_e32 v14, 64, v13
	v_or_b32_e32 v18, v1, v15
	v_mad_u64_u32 v[0:1], null, v6, s8, v[8:9]
	v_lshlrev_b32_e32 v15, 2, v16
	v_cmp_eq_u32_e64 s8, v7, v8
	s_delay_alu instid0(VALU_DEP_4)
	v_and_b32_e32 v1, 0xffff, v18
	v_lshlrev_b32_e32 v16, 2, v17
	v_or_b32_e32 v17, v4, v19
	v_add_nc_u32_e32 v18, -4, v15
	v_add_nc_u32_e32 v19, v5, v19
	v_lshrrev_b32_e32 v20, 5, v0
	s_waitcnt vmcnt(0)
	v_lshl_or_b32 v3, v3, 16, v1
	s_branch .LBB282_2
.LBB282_1:                              ;   in Loop: Header=BB282_2 Depth=1
	s_or_b32 exec_lo, exec_lo, s9
	s_waitcnt lgkmcnt(0)
	v_add_nc_u32_e32 v3, v33, v3
	s_add_i32 s12, s12, -1
	s_delay_alu instid0(SALU_CYCLE_1) | instskip(SKIP_3) | instid1(VALU_DEP_1)
	s_cmp_eq_u32 s12, 0
	ds_bpermute_b32 v3, v16, v3
	s_waitcnt lgkmcnt(0)
	v_cndmask_b32_e32 v3, v3, v33, vcc_lo
	v_cndmask_b32_e64 v3, v3, 0, s7
	s_delay_alu instid0(VALU_DEP_1) | instskip(NEXT) | instid1(VALU_DEP_1)
	v_add_nc_u32_e32 v4, v3, v4
	v_add_nc_u32_e32 v5, v4, v5
	s_delay_alu instid0(VALU_DEP_1) | instskip(NEXT) | instid1(VALU_DEP_1)
	v_add_nc_u32_e32 v6, v5, v6
	v_add_nc_u32_e32 v33, v6, v7
	s_delay_alu instid0(VALU_DEP_1) | instskip(NEXT) | instid1(VALU_DEP_1)
	v_add_nc_u32_e32 v34, v33, v0
	v_add_nc_u32_e32 v0, v34, v1
	s_delay_alu instid0(VALU_DEP_1)
	v_add_nc_u32_e32 v1, v0, v2
	ds_store_2addr_b64 v13, v[3:4], v[5:6] offset0:8 offset1:9
	ds_store_2addr_b64 v14, v[33:34], v[0:1] offset0:2 offset1:3
	s_waitcnt lgkmcnt(0)
	s_barrier
	buffer_gl0_inv
	ds_load_b32 v0, v26
	ds_load_b32 v1, v29
	;; [unrolled: 1-line block ×3, first 2 shown]
	s_waitcnt lgkmcnt(0)
	s_barrier
	buffer_gl0_inv
	v_add_nc_u32_e32 v0, v0, v25
	v_add3_u32 v1, v28, v27, v1
	v_add3_u32 v2, v31, v30, v2
	ds_store_b8 v0, v22
	ds_store_b8 v1, v23
	;; [unrolled: 1-line block ×3, first 2 shown]
	s_waitcnt lgkmcnt(0)
	s_barrier
	buffer_gl0_inv
	ds_load_u8 v0, v8 offset:512
	ds_load_u8 v1, v8
	ds_load_u8 v3, v8 offset:1024
	s_waitcnt lgkmcnt(2)
	v_xor_b32_e32 v0, 0xffffff80, v0
	s_waitcnt lgkmcnt(1)
	v_xor_b32_e32 v2, 0xffffff80, v1
	;; [unrolled: 2-line block ×3, first 2 shown]
	v_lshlrev_b16 v3, 8, v0
	s_delay_alu instid0(VALU_DEP_3) | instskip(NEXT) | instid1(VALU_DEP_3)
	v_and_b32_e32 v4, 0xff, v2
	v_and_b32_e32 v5, 0xff, v1
	s_delay_alu instid0(VALU_DEP_2) | instskip(NEXT) | instid1(VALU_DEP_2)
	v_or_b32_e32 v3, v4, v3
	v_lshlrev_b32_e32 v4, 16, v5
	s_delay_alu instid0(VALU_DEP_2) | instskip(NEXT) | instid1(VALU_DEP_1)
	v_and_b32_e32 v3, 0xffff, v3
	v_or_b32_e32 v3, v3, v4
	s_cbranch_scc1 .LBB282_14
.LBB282_2:                              ; =>This Inner Loop Header: Depth=1
	s_delay_alu instid0(VALU_DEP_1) | instskip(SKIP_2) | instid1(VALU_DEP_3)
	v_lshrrev_b32_e32 v0, 8, v3
	v_lshrrev_b32_e32 v1, 16, v3
	v_xor_b32_e32 v2, 0x80, v3
	v_xor_b32_e32 v0, 0x80, v0
	s_delay_alu instid0(VALU_DEP_3)
	v_xor_b32_e32 v1, 0x80, v1
	ds_store_b8 v19, v2
	ds_store_b8 v19, v0 offset:1
	ds_store_b8 v19, v1 offset:2
	; wave barrier
	ds_load_u8 v22, v17
	ds_load_u8 v23, v17 offset:32
	ds_load_u8 v24, v17 offset:64
	; wave barrier
	; wave barrier
	s_waitcnt lgkmcnt(0)
	s_barrier
	buffer_gl0_inv
	ds_store_2addr_b64 v13, v[9:10], v[11:12] offset0:8 offset1:9
	ds_store_2addr_b64 v14, v[9:10], v[11:12] offset0:2 offset1:3
	s_waitcnt lgkmcnt(0)
	s_barrier
	buffer_gl0_inv
	; wave barrier
	v_and_b32_e32 v0, 1, v22
	v_lshlrev_b32_e32 v1, 30, v22
	v_lshlrev_b32_e32 v2, 29, v22
	;; [unrolled: 1-line block ×4, first 2 shown]
	v_add_co_u32 v0, s9, v0, -1
	s_delay_alu instid0(VALU_DEP_1)
	v_cndmask_b32_e64 v4, 0, 1, s9
	v_not_b32_e32 v25, v1
	v_cmp_gt_i32_e64 s10, 0, v1
	v_not_b32_e32 v1, v2
	v_lshlrev_b32_e32 v6, 26, v22
	v_cmp_ne_u32_e64 s9, 0, v4
	v_ashrrev_i32_e32 v25, 31, v25
	v_lshlrev_b32_e32 v7, 25, v22
	v_ashrrev_i32_e32 v1, 31, v1
	v_lshlrev_b32_e32 v4, 24, v22
	v_xor_b32_e32 v0, s9, v0
	v_cmp_gt_i32_e64 s9, 0, v2
	v_not_b32_e32 v2, v3
	v_xor_b32_e32 v25, s10, v25
	v_cmp_gt_i32_e64 s10, 0, v3
	v_and_b32_e32 v0, exec_lo, v0
	v_not_b32_e32 v3, v5
	v_ashrrev_i32_e32 v2, 31, v2
	v_xor_b32_e32 v1, s9, v1
	v_cmp_gt_i32_e64 s9, 0, v5
	v_and_b32_e32 v0, v0, v25
	v_not_b32_e32 v5, v6
	v_ashrrev_i32_e32 v3, 31, v3
	v_xor_b32_e32 v2, s10, v2
	v_cmp_gt_i32_e64 s10, 0, v6
	v_and_b32_e32 v0, v0, v1
	;; [unrolled: 5-line block ×4, first 2 shown]
	v_ashrrev_i32_e32 v2, 31, v2
	v_xor_b32_e32 v1, s9, v1
	s_delay_alu instid0(VALU_DEP_3) | instskip(NEXT) | instid1(VALU_DEP_3)
	v_and_b32_e32 v0, v0, v5
	v_xor_b32_e32 v2, s10, v2
	s_delay_alu instid0(VALU_DEP_2) | instskip(SKIP_1) | instid1(VALU_DEP_2)
	v_and_b32_e32 v0, v0, v1
	v_and_b32_e32 v1, 0xff, v22
	;; [unrolled: 1-line block ×3, first 2 shown]
	s_delay_alu instid0(VALU_DEP_2) | instskip(NEXT) | instid1(VALU_DEP_2)
	v_lshl_add_u32 v1, v1, 4, v20
	v_mbcnt_lo_u32_b32 v25, v0, 0
	v_cmp_ne_u32_e64 s10, 0, v0
	s_delay_alu instid0(VALU_DEP_3) | instskip(NEXT) | instid1(VALU_DEP_3)
	v_lshl_add_u32 v26, v1, 2, 64
	v_cmp_eq_u32_e64 s9, 0, v25
	s_delay_alu instid0(VALU_DEP_1) | instskip(NEXT) | instid1(SALU_CYCLE_1)
	s_and_b32 s10, s10, s9
	s_and_saveexec_b32 s9, s10
	s_cbranch_execz .LBB282_4
; %bb.3:                                ;   in Loop: Header=BB282_2 Depth=1
	v_bcnt_u32_b32 v0, v0, 0
	ds_store_b32 v26, v0
.LBB282_4:                              ;   in Loop: Header=BB282_2 Depth=1
	s_or_b32 exec_lo, exec_lo, s9
	v_and_b32_e32 v0, 1, v23
	v_lshlrev_b32_e32 v2, 30, v23
	v_lshlrev_b32_e32 v4, 29, v23
	;; [unrolled: 1-line block ×4, first 2 shown]
	v_add_co_u32 v0, s9, v0, -1
	s_delay_alu instid0(VALU_DEP_1)
	v_cndmask_b32_e64 v3, 0, 1, s9
	v_not_b32_e32 v7, v2
	v_cmp_gt_i32_e64 s10, 0, v2
	v_not_b32_e32 v2, v4
	v_and_b32_e32 v1, 0xff, v23
	v_cmp_ne_u32_e64 s9, 0, v3
	v_ashrrev_i32_e32 v7, 31, v7
	v_lshlrev_b32_e32 v3, 26, v23
	v_ashrrev_i32_e32 v2, 31, v2
	v_lshlrev_b32_e32 v1, 4, v1
	v_xor_b32_e32 v0, s9, v0
	v_cmp_gt_i32_e64 s9, 0, v4
	v_not_b32_e32 v4, v5
	v_xor_b32_e32 v7, s10, v7
	v_cmp_gt_i32_e64 s10, 0, v5
	v_and_b32_e32 v0, exec_lo, v0
	v_not_b32_e32 v5, v6
	v_ashrrev_i32_e32 v4, 31, v4
	v_xor_b32_e32 v2, s9, v2
	v_cmp_gt_i32_e64 s9, 0, v6
	v_and_b32_e32 v0, v0, v7
	v_lshlrev_b32_e32 v7, 25, v23
	v_ashrrev_i32_e32 v5, 31, v5
	v_xor_b32_e32 v4, s10, v4
	v_not_b32_e32 v6, v3
	v_and_b32_e32 v0, v0, v2
	v_lshlrev_b32_e32 v2, 24, v23
	v_not_b32_e32 v27, v7
	v_xor_b32_e32 v5, s9, v5
	v_cmp_gt_i32_e64 s9, 0, v3
	v_and_b32_e32 v0, v0, v4
	v_ashrrev_i32_e32 v3, 31, v6
	v_cmp_gt_i32_e64 s10, 0, v7
	v_ashrrev_i32_e32 v4, 31, v27
	v_add_lshl_u32 v1, v20, v1, 2
	v_and_b32_e32 v0, v0, v5
	v_not_b32_e32 v5, v2
	v_xor_b32_e32 v3, s9, v3
	v_xor_b32_e32 v4, s10, v4
	v_cmp_gt_i32_e64 s9, 0, v2
	s_delay_alu instid0(VALU_DEP_4) | instskip(NEXT) | instid1(VALU_DEP_4)
	v_ashrrev_i32_e32 v2, 31, v5
	v_and_b32_e32 v0, v0, v3
	; wave barrier
	ds_load_b32 v27, v1 offset:64
	v_add_nc_u32_e32 v29, 64, v1
	v_xor_b32_e32 v2, s9, v2
	v_and_b32_e32 v0, v0, v4
	; wave barrier
	s_delay_alu instid0(VALU_DEP_1) | instskip(NEXT) | instid1(VALU_DEP_1)
	v_and_b32_e32 v0, v0, v2
	v_mbcnt_lo_u32_b32 v28, v0, 0
	v_cmp_ne_u32_e64 s10, 0, v0
	s_delay_alu instid0(VALU_DEP_2) | instskip(NEXT) | instid1(VALU_DEP_1)
	v_cmp_eq_u32_e64 s9, 0, v28
	s_and_b32 s10, s10, s9
	s_delay_alu instid0(SALU_CYCLE_1)
	s_and_saveexec_b32 s9, s10
	s_cbranch_execz .LBB282_6
; %bb.5:                                ;   in Loop: Header=BB282_2 Depth=1
	s_waitcnt lgkmcnt(0)
	v_bcnt_u32_b32 v0, v0, v27
	ds_store_b32 v29, v0
.LBB282_6:                              ;   in Loop: Header=BB282_2 Depth=1
	s_or_b32 exec_lo, exec_lo, s9
	v_and_b32_e32 v0, 1, v24
	v_lshlrev_b32_e32 v2, 30, v24
	v_lshlrev_b32_e32 v4, 29, v24
	;; [unrolled: 1-line block ×4, first 2 shown]
	v_add_co_u32 v0, s9, v0, -1
	s_delay_alu instid0(VALU_DEP_1)
	v_cndmask_b32_e64 v3, 0, 1, s9
	v_not_b32_e32 v7, v2
	v_cmp_gt_i32_e64 s10, 0, v2
	v_not_b32_e32 v2, v4
	v_and_b32_e32 v1, 0xff, v24
	v_cmp_ne_u32_e64 s9, 0, v3
	v_ashrrev_i32_e32 v7, 31, v7
	v_lshlrev_b32_e32 v3, 26, v24
	v_ashrrev_i32_e32 v2, 31, v2
	v_lshlrev_b32_e32 v1, 4, v1
	v_xor_b32_e32 v0, s9, v0
	v_cmp_gt_i32_e64 s9, 0, v4
	v_not_b32_e32 v4, v5
	v_xor_b32_e32 v7, s10, v7
	v_cmp_gt_i32_e64 s10, 0, v5
	v_and_b32_e32 v0, exec_lo, v0
	v_not_b32_e32 v5, v6
	v_ashrrev_i32_e32 v4, 31, v4
	v_xor_b32_e32 v2, s9, v2
	v_cmp_gt_i32_e64 s9, 0, v6
	v_and_b32_e32 v0, v0, v7
	v_lshlrev_b32_e32 v7, 25, v24
	v_ashrrev_i32_e32 v5, 31, v5
	v_xor_b32_e32 v4, s10, v4
	v_not_b32_e32 v6, v3
	v_and_b32_e32 v0, v0, v2
	v_lshlrev_b32_e32 v2, 24, v24
	v_not_b32_e32 v30, v7
	v_xor_b32_e32 v5, s9, v5
	v_cmp_gt_i32_e64 s9, 0, v3
	v_and_b32_e32 v0, v0, v4
	v_ashrrev_i32_e32 v3, 31, v6
	v_cmp_gt_i32_e64 s10, 0, v7
	v_ashrrev_i32_e32 v4, 31, v30
	v_add_lshl_u32 v1, v20, v1, 2
	v_and_b32_e32 v0, v0, v5
	v_not_b32_e32 v5, v2
	v_xor_b32_e32 v3, s9, v3
	v_xor_b32_e32 v4, s10, v4
	v_cmp_gt_i32_e64 s9, 0, v2
	s_delay_alu instid0(VALU_DEP_4) | instskip(NEXT) | instid1(VALU_DEP_4)
	v_ashrrev_i32_e32 v2, 31, v5
	v_and_b32_e32 v0, v0, v3
	; wave barrier
	ds_load_b32 v30, v1 offset:64
	v_add_nc_u32_e32 v32, 64, v1
	v_xor_b32_e32 v2, s9, v2
	v_and_b32_e32 v0, v0, v4
	; wave barrier
	s_delay_alu instid0(VALU_DEP_1) | instskip(NEXT) | instid1(VALU_DEP_1)
	v_and_b32_e32 v0, v0, v2
	v_mbcnt_lo_u32_b32 v31, v0, 0
	v_cmp_ne_u32_e64 s10, 0, v0
	s_delay_alu instid0(VALU_DEP_2) | instskip(NEXT) | instid1(VALU_DEP_1)
	v_cmp_eq_u32_e64 s9, 0, v31
	s_and_b32 s10, s10, s9
	s_delay_alu instid0(SALU_CYCLE_1)
	s_and_saveexec_b32 s9, s10
	s_cbranch_execz .LBB282_8
; %bb.7:                                ;   in Loop: Header=BB282_2 Depth=1
	s_waitcnt lgkmcnt(0)
	v_bcnt_u32_b32 v0, v0, v30
	ds_store_b32 v32, v0
.LBB282_8:                              ;   in Loop: Header=BB282_2 Depth=1
	s_or_b32 exec_lo, exec_lo, s9
	; wave barrier
	s_waitcnt lgkmcnt(0)
	s_barrier
	buffer_gl0_inv
	ds_load_2addr_b64 v[4:7], v13 offset0:8 offset1:9
	ds_load_2addr_b64 v[0:3], v14 offset0:2 offset1:3
	s_waitcnt lgkmcnt(1)
	v_add_nc_u32_e32 v33, v5, v4
	s_delay_alu instid0(VALU_DEP_1) | instskip(SKIP_1) | instid1(VALU_DEP_1)
	v_add3_u32 v33, v33, v6, v7
	s_waitcnt lgkmcnt(0)
	v_add3_u32 v33, v33, v0, v1
	s_delay_alu instid0(VALU_DEP_1) | instskip(NEXT) | instid1(VALU_DEP_1)
	v_add3_u32 v3, v33, v2, v3
	v_mov_b32_dpp v33, v3 row_shr:1 row_mask:0xf bank_mask:0xf
	s_delay_alu instid0(VALU_DEP_1) | instskip(NEXT) | instid1(VALU_DEP_1)
	v_cndmask_b32_e64 v33, v33, 0, s0
	v_add_nc_u32_e32 v3, v33, v3
	s_delay_alu instid0(VALU_DEP_1) | instskip(NEXT) | instid1(VALU_DEP_1)
	v_mov_b32_dpp v33, v3 row_shr:2 row_mask:0xf bank_mask:0xf
	v_cndmask_b32_e64 v33, 0, v33, s1
	s_delay_alu instid0(VALU_DEP_1) | instskip(NEXT) | instid1(VALU_DEP_1)
	v_add_nc_u32_e32 v3, v3, v33
	v_mov_b32_dpp v33, v3 row_shr:4 row_mask:0xf bank_mask:0xf
	s_delay_alu instid0(VALU_DEP_1) | instskip(NEXT) | instid1(VALU_DEP_1)
	v_cndmask_b32_e64 v33, 0, v33, s2
	v_add_nc_u32_e32 v3, v3, v33
	s_delay_alu instid0(VALU_DEP_1) | instskip(NEXT) | instid1(VALU_DEP_1)
	v_mov_b32_dpp v33, v3 row_shr:8 row_mask:0xf bank_mask:0xf
	v_cndmask_b32_e64 v33, 0, v33, s3
	s_delay_alu instid0(VALU_DEP_1) | instskip(SKIP_3) | instid1(VALU_DEP_1)
	v_add_nc_u32_e32 v3, v3, v33
	ds_swizzle_b32 v33, v3 offset:swizzle(BROADCAST,32,15)
	s_waitcnt lgkmcnt(0)
	v_cndmask_b32_e64 v33, v33, 0, s4
	v_add_nc_u32_e32 v3, v3, v33
	s_and_saveexec_b32 s9, s8
	s_cbranch_execz .LBB282_10
; %bb.9:                                ;   in Loop: Header=BB282_2 Depth=1
	ds_store_b32 v15, v3
.LBB282_10:                             ;   in Loop: Header=BB282_2 Depth=1
	s_or_b32 exec_lo, exec_lo, s9
	s_waitcnt lgkmcnt(0)
	s_barrier
	buffer_gl0_inv
	s_and_saveexec_b32 s9, s5
	s_cbranch_execz .LBB282_12
; %bb.11:                               ;   in Loop: Header=BB282_2 Depth=1
	ds_load_b32 v33, v21
	s_waitcnt lgkmcnt(0)
	v_mov_b32_dpp v34, v33 row_shr:1 row_mask:0xf bank_mask:0xf
	s_delay_alu instid0(VALU_DEP_1) | instskip(NEXT) | instid1(VALU_DEP_1)
	v_cndmask_b32_e64 v34, v34, 0, s0
	v_add_nc_u32_e32 v33, v34, v33
	s_delay_alu instid0(VALU_DEP_1) | instskip(NEXT) | instid1(VALU_DEP_1)
	v_mov_b32_dpp v34, v33 row_shr:2 row_mask:0xf bank_mask:0xf
	v_cndmask_b32_e64 v34, 0, v34, s1
	s_delay_alu instid0(VALU_DEP_1) | instskip(NEXT) | instid1(VALU_DEP_1)
	v_add_nc_u32_e32 v33, v33, v34
	v_mov_b32_dpp v34, v33 row_shr:4 row_mask:0xf bank_mask:0xf
	s_delay_alu instid0(VALU_DEP_1) | instskip(NEXT) | instid1(VALU_DEP_1)
	v_cndmask_b32_e64 v34, 0, v34, s2
	v_add_nc_u32_e32 v33, v33, v34
	s_delay_alu instid0(VALU_DEP_1) | instskip(NEXT) | instid1(VALU_DEP_1)
	v_mov_b32_dpp v34, v33 row_shr:8 row_mask:0xf bank_mask:0xf
	v_cndmask_b32_e64 v34, 0, v34, s3
	s_delay_alu instid0(VALU_DEP_1)
	v_add_nc_u32_e32 v33, v33, v34
	ds_store_b32 v21, v33
.LBB282_12:                             ;   in Loop: Header=BB282_2 Depth=1
	s_or_b32 exec_lo, exec_lo, s9
	v_mov_b32_e32 v33, 0
	s_waitcnt lgkmcnt(0)
	s_barrier
	buffer_gl0_inv
	s_and_saveexec_b32 s9, s6
	s_cbranch_execz .LBB282_1
; %bb.13:                               ;   in Loop: Header=BB282_2 Depth=1
	ds_load_b32 v33, v18
	s_branch .LBB282_1
.LBB282_14:
	s_add_u32 s0, s18, s11
	s_addc_u32 s1, s19, 0
	s_clause 0x2
	global_store_b8 v8, v2, s[0:1]
	global_store_b8 v8, v0, s[0:1] offset:512
	global_store_b8 v8, v1, s[0:1] offset:1024
	s_nop 0
	s_sendmsg sendmsg(MSG_DEALLOC_VGPRS)
	s_endpgm
	.section	.rodata,"a",@progbits
	.p2align	6, 0x0
	.amdhsa_kernel _Z16sort_keys_kernelI22helper_blocked_stripedaLj512ELj3ELj10EEvPKT0_PS1_
		.amdhsa_group_segment_fixed_size 16448
		.amdhsa_private_segment_fixed_size 0
		.amdhsa_kernarg_size 272
		.amdhsa_user_sgpr_count 15
		.amdhsa_user_sgpr_dispatch_ptr 0
		.amdhsa_user_sgpr_queue_ptr 0
		.amdhsa_user_sgpr_kernarg_segment_ptr 1
		.amdhsa_user_sgpr_dispatch_id 0
		.amdhsa_user_sgpr_private_segment_size 0
		.amdhsa_wavefront_size32 1
		.amdhsa_uses_dynamic_stack 0
		.amdhsa_enable_private_segment 0
		.amdhsa_system_sgpr_workgroup_id_x 1
		.amdhsa_system_sgpr_workgroup_id_y 0
		.amdhsa_system_sgpr_workgroup_id_z 0
		.amdhsa_system_sgpr_workgroup_info 0
		.amdhsa_system_vgpr_workitem_id 2
		.amdhsa_next_free_vgpr 35
		.amdhsa_next_free_sgpr 20
		.amdhsa_reserve_vcc 1
		.amdhsa_float_round_mode_32 0
		.amdhsa_float_round_mode_16_64 0
		.amdhsa_float_denorm_mode_32 3
		.amdhsa_float_denorm_mode_16_64 3
		.amdhsa_dx10_clamp 1
		.amdhsa_ieee_mode 1
		.amdhsa_fp16_overflow 0
		.amdhsa_workgroup_processor_mode 1
		.amdhsa_memory_ordered 1
		.amdhsa_forward_progress 0
		.amdhsa_shared_vgpr_count 0
		.amdhsa_exception_fp_ieee_invalid_op 0
		.amdhsa_exception_fp_denorm_src 0
		.amdhsa_exception_fp_ieee_div_zero 0
		.amdhsa_exception_fp_ieee_overflow 0
		.amdhsa_exception_fp_ieee_underflow 0
		.amdhsa_exception_fp_ieee_inexact 0
		.amdhsa_exception_int_div_zero 0
	.end_amdhsa_kernel
	.section	.text._Z16sort_keys_kernelI22helper_blocked_stripedaLj512ELj3ELj10EEvPKT0_PS1_,"axG",@progbits,_Z16sort_keys_kernelI22helper_blocked_stripedaLj512ELj3ELj10EEvPKT0_PS1_,comdat
.Lfunc_end282:
	.size	_Z16sort_keys_kernelI22helper_blocked_stripedaLj512ELj3ELj10EEvPKT0_PS1_, .Lfunc_end282-_Z16sort_keys_kernelI22helper_blocked_stripedaLj512ELj3ELj10EEvPKT0_PS1_
                                        ; -- End function
	.section	.AMDGPU.csdata,"",@progbits
; Kernel info:
; codeLenInByte = 2348
; NumSgprs: 22
; NumVgprs: 35
; ScratchSize: 0
; MemoryBound: 0
; FloatMode: 240
; IeeeMode: 1
; LDSByteSize: 16448 bytes/workgroup (compile time only)
; SGPRBlocks: 2
; VGPRBlocks: 4
; NumSGPRsForWavesPerEU: 22
; NumVGPRsForWavesPerEU: 35
; Occupancy: 16
; WaveLimiterHint : 1
; COMPUTE_PGM_RSRC2:SCRATCH_EN: 0
; COMPUTE_PGM_RSRC2:USER_SGPR: 15
; COMPUTE_PGM_RSRC2:TRAP_HANDLER: 0
; COMPUTE_PGM_RSRC2:TGID_X_EN: 1
; COMPUTE_PGM_RSRC2:TGID_Y_EN: 0
; COMPUTE_PGM_RSRC2:TGID_Z_EN: 0
; COMPUTE_PGM_RSRC2:TIDIG_COMP_CNT: 2
	.section	.text._Z17sort_pairs_kernelI22helper_blocked_stripedaLj512ELj3ELj10EEvPKT0_PS1_,"axG",@progbits,_Z17sort_pairs_kernelI22helper_blocked_stripedaLj512ELj3ELj10EEvPKT0_PS1_,comdat
	.protected	_Z17sort_pairs_kernelI22helper_blocked_stripedaLj512ELj3ELj10EEvPKT0_PS1_ ; -- Begin function _Z17sort_pairs_kernelI22helper_blocked_stripedaLj512ELj3ELj10EEvPKT0_PS1_
	.globl	_Z17sort_pairs_kernelI22helper_blocked_stripedaLj512ELj3ELj10EEvPKT0_PS1_
	.p2align	8
	.type	_Z17sort_pairs_kernelI22helper_blocked_stripedaLj512ELj3ELj10EEvPKT0_PS1_,@function
_Z17sort_pairs_kernelI22helper_blocked_stripedaLj512ELj3ELj10EEvPKT0_PS1_: ; @_Z17sort_pairs_kernelI22helper_blocked_stripedaLj512ELj3ELj10EEvPKT0_PS1_
; %bb.0:
	s_clause 0x1
	s_load_b128 s[16:19], s[0:1], 0x0
	s_load_b32 s9, s[0:1], 0x1c
	v_and_b32_e32 v8, 0x3ff, v0
	s_mul_i32 s11, s15, 0x600
	v_mbcnt_lo_u32_b32 v4, -1, 0
	v_bfe_u32 v6, v0, 10, 10
	v_bfe_u32 v0, v0, 20, 10
	v_mul_u32_u24_e32 v2, 3, v8
	s_mov_b32 s12, 10
	v_add_nc_u32_e32 v15, -1, v4
	v_mul_u32_u24_e32 v5, 3, v4
	v_and_b32_e32 v14, 16, v4
	v_cmp_eq_u32_e32 vcc_lo, 0, v4
	v_and_b32_e32 v7, 15, v4
	v_cmp_gt_i32_e64 s7, 0, v15
	s_delay_alu instid0(VALU_DEP_4) | instskip(NEXT) | instid1(VALU_DEP_2)
	v_cmp_eq_u32_e64 s4, 0, v14
	v_cndmask_b32_e64 v15, v15, v4, s7
	s_waitcnt lgkmcnt(0)
	s_add_u32 s0, s16, s11
	s_addc_u32 s1, s17, 0
	s_clause 0x1
	global_load_u16 v1, v2, s[0:1]
	global_load_i8 v3, v2, s[0:1] offset:2
	s_mov_b32 s0, 0
	s_lshr_b32 s10, s9, 16
	s_mov_b32 s3, s0
	s_mov_b32 s2, s0
	v_mov_b32_e32 v12, s3
	s_mov_b32 s1, s0
	s_delay_alu instid0(SALU_CYCLE_1)
	v_dual_mov_b32 v11, s2 :: v_dual_mov_b32 v10, s1
	v_mov_b32_e32 v9, s0
	v_cmp_eq_u32_e64 s0, 0, v7
	v_cmp_lt_u32_e64 s1, 1, v7
	v_cmp_lt_u32_e64 s2, 3, v7
	;; [unrolled: 1-line block ×3, first 2 shown]
	v_or_b32_e32 v7, 31, v8
	v_mad_u32_u24 v6, v0, s10, v6
	v_lshrrev_b32_e32 v16, 5, v8
	s_and_b32 s9, s9, 0xffff
	v_lshlrev_b32_e32 v13, 5, v8
	v_cmp_eq_u32_e64 s8, v7, v8
	v_cmp_gt_u32_e64 s5, 16, v8
	v_mul_u32_u24_e32 v19, 0x60, v16
	v_lshlrev_b32_e32 v16, 2, v16
	v_cmp_lt_u32_e64 s6, 31, v8
	v_cmp_eq_u32_e64 s7, 0, v8
	v_add_nc_u32_e32 v14, 64, v13
	v_lshlrev_b32_e32 v15, 2, v15
	v_add_nc_u32_e32 v21, v8, v2
	s_waitcnt vmcnt(1)
	v_lshrrev_b32_e32 v7, 8, v1
	v_add_nc_u16 v17, v1, 1
	v_and_b32_e32 v18, 0xff, v1
	s_waitcnt vmcnt(0)
	v_add_nc_u16 v20, v3, 1
	v_mad_u64_u32 v[0:1], null, v6, s9, v[8:9]
	v_lshlrev_b16 v7, 8, v7
	v_and_b32_e32 v17, 0xff, v17
	v_and_b32_e32 v1, 0xff, v3
	;; [unrolled: 1-line block ×3, first 2 shown]
	s_delay_alu instid0(VALU_DEP_4) | instskip(NEXT) | instid1(VALU_DEP_4)
	v_or_b32_e32 v6, v18, v7
	v_or_b32_e32 v17, v7, v17
	s_delay_alu instid0(VALU_DEP_4) | instskip(NEXT) | instid1(VALU_DEP_4)
	v_lshlrev_b32_e32 v1, 16, v1
	v_lshlrev_b32_e32 v3, 16, v3
	v_add_nc_u32_e32 v18, -4, v16
	v_lshrrev_b32_e32 v20, 5, v0
	v_add_nc_u16 v7, v17, 0x100
	v_or_b32_e32 v17, v4, v19
	v_and_b32_e32 v4, 0xffff, v6
	v_add_nc_u32_e32 v19, v5, v19
	s_delay_alu instid0(VALU_DEP_4) | instskip(NEXT) | instid1(VALU_DEP_3)
	v_and_b32_e32 v6, 0xffff, v7
	v_or_b32_e32 v7, v4, v1
	s_delay_alu instid0(VALU_DEP_2)
	v_or_b32_e32 v0, v6, v3
	s_branch .LBB283_2
.LBB283_1:                              ;   in Loop: Header=BB283_2 Depth=1
	s_or_b32 exec_lo, exec_lo, s9
	s_waitcnt lgkmcnt(0)
	v_add_nc_u32_e32 v3, v36, v3
	s_add_i32 s12, s12, -1
	s_delay_alu instid0(SALU_CYCLE_1) | instskip(SKIP_3) | instid1(VALU_DEP_1)
	s_cmp_eq_u32 s12, 0
	ds_bpermute_b32 v3, v15, v3
	s_waitcnt lgkmcnt(0)
	v_cndmask_b32_e32 v3, v3, v36, vcc_lo
	v_cndmask_b32_e64 v3, v3, 0, s7
	s_delay_alu instid0(VALU_DEP_1) | instskip(NEXT) | instid1(VALU_DEP_1)
	v_add_nc_u32_e32 v4, v3, v4
	v_add_nc_u32_e32 v5, v4, v5
	s_delay_alu instid0(VALU_DEP_1) | instskip(NEXT) | instid1(VALU_DEP_1)
	v_add_nc_u32_e32 v6, v5, v6
	v_add_nc_u32_e32 v36, v6, v7
	;; [unrolled: 3-line block ×3, first 2 shown]
	s_delay_alu instid0(VALU_DEP_1)
	v_add_nc_u32_e32 v1, v0, v2
	ds_store_2addr_b64 v13, v[3:4], v[5:6] offset0:8 offset1:9
	ds_store_2addr_b64 v14, v[36:37], v[0:1] offset0:2 offset1:3
	s_waitcnt lgkmcnt(0)
	s_barrier
	buffer_gl0_inv
	ds_load_b32 v0, v29
	ds_load_b32 v1, v32
	;; [unrolled: 1-line block ×3, first 2 shown]
	s_waitcnt lgkmcnt(0)
	s_barrier
	buffer_gl0_inv
	v_add_nc_u32_e32 v0, v0, v28
	v_add3_u32 v1, v31, v30, v1
	v_add3_u32 v2, v34, v33, v2
	ds_store_b8 v0, v22
	ds_store_b8 v1, v23
	;; [unrolled: 1-line block ×3, first 2 shown]
	s_waitcnt lgkmcnt(0)
	s_barrier
	buffer_gl0_inv
	ds_load_u8 v5, v8
	ds_load_u8 v4, v8 offset:512
	ds_load_u8 v6, v8 offset:1024
	s_waitcnt lgkmcnt(0)
	s_barrier
	buffer_gl0_inv
	ds_store_b8 v0, v25
	ds_store_b8 v1, v26
	ds_store_b8 v2, v27
	s_waitcnt lgkmcnt(0)
	s_barrier
	buffer_gl0_inv
	ds_load_u8 v1, v8 offset:512
	ds_load_u8 v3, v8
	ds_load_u8 v2, v8 offset:1024
	v_xor_b32_e32 v5, 0xffffff80, v5
	v_xor_b32_e32 v4, 0xffffff80, v4
	v_xor_b32_e32 v6, 0xffffff80, v6
	s_delay_alu instid0(VALU_DEP_3) | instskip(NEXT) | instid1(VALU_DEP_3)
	v_and_b32_e32 v22, 0xff, v5
	v_lshlrev_b16 v7, 8, v4
	s_delay_alu instid0(VALU_DEP_3) | instskip(SKIP_2) | instid1(VALU_DEP_3)
	v_and_b32_e32 v23, 0xff, v6
	s_waitcnt lgkmcnt(2)
	v_lshlrev_b16 v0, 8, v1
	v_or_b32_e32 v7, v22, v7
	s_waitcnt lgkmcnt(0)
	v_lshlrev_b32_e32 v22, 16, v2
	s_delay_alu instid0(VALU_DEP_3) | instskip(SKIP_2) | instid1(VALU_DEP_3)
	v_or_b32_e32 v0, v3, v0
	v_lshlrev_b32_e32 v23, 16, v23
	v_and_b32_e32 v7, 0xffff, v7
	v_and_b32_e32 v0, 0xffff, v0
	s_delay_alu instid0(VALU_DEP_2) | instskip(NEXT) | instid1(VALU_DEP_2)
	v_or_b32_e32 v7, v7, v23
	v_or_b32_e32 v0, v0, v22
	s_cbranch_scc1 .LBB283_14
.LBB283_2:                              ; =>This Inner Loop Header: Depth=1
	s_delay_alu instid0(VALU_DEP_2) | instskip(SKIP_2) | instid1(VALU_DEP_3)
	v_lshrrev_b32_e32 v1, 8, v7
	v_lshrrev_b32_e32 v2, 16, v7
	v_xor_b32_e32 v3, 0x80, v7
	v_xor_b32_e32 v1, 0x80, v1
	s_delay_alu instid0(VALU_DEP_3)
	v_xor_b32_e32 v2, 0x80, v2
	ds_store_b8 v19, v3
	ds_store_b8 v19, v1 offset:1
	ds_store_b8 v19, v2 offset:2
	; wave barrier
	ds_load_u8 v22, v17
	v_lshrrev_b32_e32 v1, 8, v0
	ds_load_u8 v23, v17 offset:32
	ds_load_u8 v24, v17 offset:64
	; wave barrier
	ds_store_b8 v19, v0
	ds_store_b8 v19, v1 offset:1
	ds_store_b8_d16_hi v19, v0 offset:2
	; wave barrier
	s_waitcnt lgkmcnt(5)
	v_and_b32_e32 v2, 1, v22
	v_lshlrev_b32_e32 v3, 30, v22
	v_lshlrev_b32_e32 v4, 29, v22
	v_lshlrev_b32_e32 v5, 28, v22
	v_lshlrev_b32_e32 v7, 27, v22
	v_add_co_u32 v2, s9, v2, -1
	s_delay_alu instid0(VALU_DEP_1)
	v_cndmask_b32_e64 v6, 0, 1, s9
	v_not_b32_e32 v27, v3
	v_cmp_gt_i32_e64 s10, 0, v3
	v_not_b32_e32 v3, v4
	v_lshlrev_b32_e32 v25, 26, v22
	v_cmp_ne_u32_e64 s9, 0, v6
	v_ashrrev_i32_e32 v27, 31, v27
	v_lshlrev_b32_e32 v26, 25, v22
	v_ashrrev_i32_e32 v3, 31, v3
	v_lshlrev_b32_e32 v6, 24, v22
	v_xor_b32_e32 v2, s9, v2
	v_cmp_gt_i32_e64 s9, 0, v4
	v_not_b32_e32 v4, v5
	v_xor_b32_e32 v27, s10, v27
	v_cmp_gt_i32_e64 s10, 0, v5
	v_and_b32_e32 v2, exec_lo, v2
	v_not_b32_e32 v5, v7
	v_ashrrev_i32_e32 v4, 31, v4
	v_xor_b32_e32 v3, s9, v3
	v_cmp_gt_i32_e64 s9, 0, v7
	v_and_b32_e32 v2, v2, v27
	v_not_b32_e32 v7, v25
	v_ashrrev_i32_e32 v5, 31, v5
	v_xor_b32_e32 v4, s10, v4
	v_cmp_gt_i32_e64 s10, 0, v25
	v_and_b32_e32 v2, v2, v3
	;; [unrolled: 5-line block ×4, first 2 shown]
	v_ashrrev_i32_e32 v4, 31, v4
	v_xor_b32_e32 v3, s9, v3
	ds_load_u8 v25, v17
	ds_load_u8 v26, v17 offset:32
	ds_load_u8 v27, v17 offset:64
	s_waitcnt lgkmcnt(0)
	v_and_b32_e32 v2, v2, v7
	v_xor_b32_e32 v0, s10, v4
	s_barrier
	buffer_gl0_inv
	ds_store_2addr_b64 v13, v[9:10], v[11:12] offset0:8 offset1:9
	ds_store_2addr_b64 v14, v[9:10], v[11:12] offset0:2 offset1:3
	v_and_b32_e32 v1, v2, v3
	s_waitcnt lgkmcnt(0)
	s_barrier
	buffer_gl0_inv
	v_and_b32_e32 v0, v1, v0
	v_and_b32_e32 v1, 0xff, v22
	; wave barrier
	s_delay_alu instid0(VALU_DEP_2) | instskip(NEXT) | instid1(VALU_DEP_2)
	v_mbcnt_lo_u32_b32 v28, v0, 0
	v_lshl_add_u32 v1, v1, 4, v20
	v_cmp_ne_u32_e64 s10, 0, v0
	s_delay_alu instid0(VALU_DEP_3) | instskip(NEXT) | instid1(VALU_DEP_3)
	v_cmp_eq_u32_e64 s9, 0, v28
	v_lshl_add_u32 v29, v1, 2, 64
	s_delay_alu instid0(VALU_DEP_2) | instskip(NEXT) | instid1(SALU_CYCLE_1)
	s_and_b32 s10, s10, s9
	s_and_saveexec_b32 s9, s10
	s_cbranch_execz .LBB283_4
; %bb.3:                                ;   in Loop: Header=BB283_2 Depth=1
	v_bcnt_u32_b32 v0, v0, 0
	ds_store_b32 v29, v0
.LBB283_4:                              ;   in Loop: Header=BB283_2 Depth=1
	s_or_b32 exec_lo, exec_lo, s9
	v_and_b32_e32 v0, 1, v23
	v_lshlrev_b32_e32 v2, 30, v23
	v_lshlrev_b32_e32 v4, 29, v23
	;; [unrolled: 1-line block ×4, first 2 shown]
	v_add_co_u32 v0, s9, v0, -1
	s_delay_alu instid0(VALU_DEP_1)
	v_cndmask_b32_e64 v3, 0, 1, s9
	v_not_b32_e32 v7, v2
	v_cmp_gt_i32_e64 s10, 0, v2
	v_not_b32_e32 v2, v4
	v_and_b32_e32 v1, 0xff, v23
	v_cmp_ne_u32_e64 s9, 0, v3
	v_ashrrev_i32_e32 v7, 31, v7
	v_lshlrev_b32_e32 v3, 26, v23
	v_ashrrev_i32_e32 v2, 31, v2
	v_lshlrev_b32_e32 v1, 4, v1
	v_xor_b32_e32 v0, s9, v0
	v_cmp_gt_i32_e64 s9, 0, v4
	v_not_b32_e32 v4, v5
	v_xor_b32_e32 v7, s10, v7
	v_cmp_gt_i32_e64 s10, 0, v5
	v_and_b32_e32 v0, exec_lo, v0
	v_not_b32_e32 v5, v6
	v_ashrrev_i32_e32 v4, 31, v4
	v_xor_b32_e32 v2, s9, v2
	v_cmp_gt_i32_e64 s9, 0, v6
	v_and_b32_e32 v0, v0, v7
	v_lshlrev_b32_e32 v7, 25, v23
	v_ashrrev_i32_e32 v5, 31, v5
	v_xor_b32_e32 v4, s10, v4
	v_not_b32_e32 v6, v3
	v_and_b32_e32 v0, v0, v2
	v_lshlrev_b32_e32 v2, 24, v23
	v_not_b32_e32 v30, v7
	v_xor_b32_e32 v5, s9, v5
	v_cmp_gt_i32_e64 s9, 0, v3
	v_and_b32_e32 v0, v0, v4
	v_ashrrev_i32_e32 v3, 31, v6
	v_cmp_gt_i32_e64 s10, 0, v7
	v_ashrrev_i32_e32 v4, 31, v30
	v_add_lshl_u32 v1, v20, v1, 2
	v_and_b32_e32 v0, v0, v5
	v_not_b32_e32 v5, v2
	v_xor_b32_e32 v3, s9, v3
	v_xor_b32_e32 v4, s10, v4
	v_cmp_gt_i32_e64 s9, 0, v2
	s_delay_alu instid0(VALU_DEP_4) | instskip(NEXT) | instid1(VALU_DEP_4)
	v_ashrrev_i32_e32 v2, 31, v5
	v_and_b32_e32 v0, v0, v3
	; wave barrier
	ds_load_b32 v30, v1 offset:64
	v_add_nc_u32_e32 v32, 64, v1
	v_xor_b32_e32 v2, s9, v2
	v_and_b32_e32 v0, v0, v4
	; wave barrier
	s_delay_alu instid0(VALU_DEP_1) | instskip(NEXT) | instid1(VALU_DEP_1)
	v_and_b32_e32 v0, v0, v2
	v_mbcnt_lo_u32_b32 v31, v0, 0
	v_cmp_ne_u32_e64 s10, 0, v0
	s_delay_alu instid0(VALU_DEP_2) | instskip(NEXT) | instid1(VALU_DEP_1)
	v_cmp_eq_u32_e64 s9, 0, v31
	s_and_b32 s10, s10, s9
	s_delay_alu instid0(SALU_CYCLE_1)
	s_and_saveexec_b32 s9, s10
	s_cbranch_execz .LBB283_6
; %bb.5:                                ;   in Loop: Header=BB283_2 Depth=1
	s_waitcnt lgkmcnt(0)
	v_bcnt_u32_b32 v0, v0, v30
	ds_store_b32 v32, v0
.LBB283_6:                              ;   in Loop: Header=BB283_2 Depth=1
	s_or_b32 exec_lo, exec_lo, s9
	v_and_b32_e32 v0, 1, v24
	v_lshlrev_b32_e32 v2, 30, v24
	v_lshlrev_b32_e32 v4, 29, v24
	;; [unrolled: 1-line block ×4, first 2 shown]
	v_add_co_u32 v0, s9, v0, -1
	s_delay_alu instid0(VALU_DEP_1)
	v_cndmask_b32_e64 v3, 0, 1, s9
	v_not_b32_e32 v7, v2
	v_cmp_gt_i32_e64 s10, 0, v2
	v_not_b32_e32 v2, v4
	v_and_b32_e32 v1, 0xff, v24
	v_cmp_ne_u32_e64 s9, 0, v3
	v_ashrrev_i32_e32 v7, 31, v7
	v_lshlrev_b32_e32 v3, 26, v24
	v_ashrrev_i32_e32 v2, 31, v2
	v_lshlrev_b32_e32 v1, 4, v1
	v_xor_b32_e32 v0, s9, v0
	v_cmp_gt_i32_e64 s9, 0, v4
	v_not_b32_e32 v4, v5
	v_xor_b32_e32 v7, s10, v7
	v_cmp_gt_i32_e64 s10, 0, v5
	v_and_b32_e32 v0, exec_lo, v0
	v_not_b32_e32 v5, v6
	v_ashrrev_i32_e32 v4, 31, v4
	v_xor_b32_e32 v2, s9, v2
	v_cmp_gt_i32_e64 s9, 0, v6
	v_and_b32_e32 v0, v0, v7
	v_lshlrev_b32_e32 v7, 25, v24
	v_ashrrev_i32_e32 v5, 31, v5
	v_xor_b32_e32 v4, s10, v4
	v_not_b32_e32 v6, v3
	v_and_b32_e32 v0, v0, v2
	v_lshlrev_b32_e32 v2, 24, v24
	v_not_b32_e32 v33, v7
	v_xor_b32_e32 v5, s9, v5
	v_cmp_gt_i32_e64 s9, 0, v3
	v_and_b32_e32 v0, v0, v4
	v_ashrrev_i32_e32 v3, 31, v6
	v_cmp_gt_i32_e64 s10, 0, v7
	v_ashrrev_i32_e32 v4, 31, v33
	v_add_lshl_u32 v1, v20, v1, 2
	v_and_b32_e32 v0, v0, v5
	v_not_b32_e32 v5, v2
	v_xor_b32_e32 v3, s9, v3
	v_xor_b32_e32 v4, s10, v4
	v_cmp_gt_i32_e64 s9, 0, v2
	s_delay_alu instid0(VALU_DEP_4) | instskip(NEXT) | instid1(VALU_DEP_4)
	v_ashrrev_i32_e32 v2, 31, v5
	v_and_b32_e32 v0, v0, v3
	; wave barrier
	ds_load_b32 v33, v1 offset:64
	v_add_nc_u32_e32 v35, 64, v1
	v_xor_b32_e32 v2, s9, v2
	v_and_b32_e32 v0, v0, v4
	; wave barrier
	s_delay_alu instid0(VALU_DEP_1) | instskip(NEXT) | instid1(VALU_DEP_1)
	v_and_b32_e32 v0, v0, v2
	v_mbcnt_lo_u32_b32 v34, v0, 0
	v_cmp_ne_u32_e64 s10, 0, v0
	s_delay_alu instid0(VALU_DEP_2) | instskip(NEXT) | instid1(VALU_DEP_1)
	v_cmp_eq_u32_e64 s9, 0, v34
	s_and_b32 s10, s10, s9
	s_delay_alu instid0(SALU_CYCLE_1)
	s_and_saveexec_b32 s9, s10
	s_cbranch_execz .LBB283_8
; %bb.7:                                ;   in Loop: Header=BB283_2 Depth=1
	s_waitcnt lgkmcnt(0)
	v_bcnt_u32_b32 v0, v0, v33
	ds_store_b32 v35, v0
.LBB283_8:                              ;   in Loop: Header=BB283_2 Depth=1
	s_or_b32 exec_lo, exec_lo, s9
	; wave barrier
	s_waitcnt lgkmcnt(0)
	s_barrier
	buffer_gl0_inv
	ds_load_2addr_b64 v[4:7], v13 offset0:8 offset1:9
	ds_load_2addr_b64 v[0:3], v14 offset0:2 offset1:3
	s_waitcnt lgkmcnt(1)
	v_add_nc_u32_e32 v36, v5, v4
	s_delay_alu instid0(VALU_DEP_1) | instskip(SKIP_1) | instid1(VALU_DEP_1)
	v_add3_u32 v36, v36, v6, v7
	s_waitcnt lgkmcnt(0)
	v_add3_u32 v36, v36, v0, v1
	s_delay_alu instid0(VALU_DEP_1) | instskip(NEXT) | instid1(VALU_DEP_1)
	v_add3_u32 v3, v36, v2, v3
	v_mov_b32_dpp v36, v3 row_shr:1 row_mask:0xf bank_mask:0xf
	s_delay_alu instid0(VALU_DEP_1) | instskip(NEXT) | instid1(VALU_DEP_1)
	v_cndmask_b32_e64 v36, v36, 0, s0
	v_add_nc_u32_e32 v3, v36, v3
	s_delay_alu instid0(VALU_DEP_1) | instskip(NEXT) | instid1(VALU_DEP_1)
	v_mov_b32_dpp v36, v3 row_shr:2 row_mask:0xf bank_mask:0xf
	v_cndmask_b32_e64 v36, 0, v36, s1
	s_delay_alu instid0(VALU_DEP_1) | instskip(NEXT) | instid1(VALU_DEP_1)
	v_add_nc_u32_e32 v3, v3, v36
	v_mov_b32_dpp v36, v3 row_shr:4 row_mask:0xf bank_mask:0xf
	s_delay_alu instid0(VALU_DEP_1) | instskip(NEXT) | instid1(VALU_DEP_1)
	v_cndmask_b32_e64 v36, 0, v36, s2
	v_add_nc_u32_e32 v3, v3, v36
	s_delay_alu instid0(VALU_DEP_1) | instskip(NEXT) | instid1(VALU_DEP_1)
	v_mov_b32_dpp v36, v3 row_shr:8 row_mask:0xf bank_mask:0xf
	v_cndmask_b32_e64 v36, 0, v36, s3
	s_delay_alu instid0(VALU_DEP_1) | instskip(SKIP_3) | instid1(VALU_DEP_1)
	v_add_nc_u32_e32 v3, v3, v36
	ds_swizzle_b32 v36, v3 offset:swizzle(BROADCAST,32,15)
	s_waitcnt lgkmcnt(0)
	v_cndmask_b32_e64 v36, v36, 0, s4
	v_add_nc_u32_e32 v3, v3, v36
	s_and_saveexec_b32 s9, s8
	s_cbranch_execz .LBB283_10
; %bb.9:                                ;   in Loop: Header=BB283_2 Depth=1
	ds_store_b32 v16, v3
.LBB283_10:                             ;   in Loop: Header=BB283_2 Depth=1
	s_or_b32 exec_lo, exec_lo, s9
	s_waitcnt lgkmcnt(0)
	s_barrier
	buffer_gl0_inv
	s_and_saveexec_b32 s9, s5
	s_cbranch_execz .LBB283_12
; %bb.11:                               ;   in Loop: Header=BB283_2 Depth=1
	ds_load_b32 v36, v21
	s_waitcnt lgkmcnt(0)
	v_mov_b32_dpp v37, v36 row_shr:1 row_mask:0xf bank_mask:0xf
	s_delay_alu instid0(VALU_DEP_1) | instskip(NEXT) | instid1(VALU_DEP_1)
	v_cndmask_b32_e64 v37, v37, 0, s0
	v_add_nc_u32_e32 v36, v37, v36
	s_delay_alu instid0(VALU_DEP_1) | instskip(NEXT) | instid1(VALU_DEP_1)
	v_mov_b32_dpp v37, v36 row_shr:2 row_mask:0xf bank_mask:0xf
	v_cndmask_b32_e64 v37, 0, v37, s1
	s_delay_alu instid0(VALU_DEP_1) | instskip(NEXT) | instid1(VALU_DEP_1)
	v_add_nc_u32_e32 v36, v36, v37
	v_mov_b32_dpp v37, v36 row_shr:4 row_mask:0xf bank_mask:0xf
	s_delay_alu instid0(VALU_DEP_1) | instskip(NEXT) | instid1(VALU_DEP_1)
	v_cndmask_b32_e64 v37, 0, v37, s2
	v_add_nc_u32_e32 v36, v36, v37
	s_delay_alu instid0(VALU_DEP_1) | instskip(NEXT) | instid1(VALU_DEP_1)
	v_mov_b32_dpp v37, v36 row_shr:8 row_mask:0xf bank_mask:0xf
	v_cndmask_b32_e64 v37, 0, v37, s3
	s_delay_alu instid0(VALU_DEP_1)
	v_add_nc_u32_e32 v36, v36, v37
	ds_store_b32 v21, v36
.LBB283_12:                             ;   in Loop: Header=BB283_2 Depth=1
	s_or_b32 exec_lo, exec_lo, s9
	v_mov_b32_e32 v36, 0
	s_waitcnt lgkmcnt(0)
	s_barrier
	buffer_gl0_inv
	s_and_saveexec_b32 s9, s6
	s_cbranch_execz .LBB283_1
; %bb.13:                               ;   in Loop: Header=BB283_2 Depth=1
	ds_load_b32 v36, v18
	s_branch .LBB283_1
.LBB283_14:
	v_add_nc_u16 v0, v5, v3
	v_add_nc_u16 v1, v4, v1
	;; [unrolled: 1-line block ×3, first 2 shown]
	s_add_u32 s0, s18, s11
	s_addc_u32 s1, s19, 0
	s_clause 0x2
	global_store_b8 v8, v0, s[0:1]
	global_store_b8 v8, v1, s[0:1] offset:512
	global_store_b8 v8, v2, s[0:1] offset:1024
	s_nop 0
	s_sendmsg sendmsg(MSG_DEALLOC_VGPRS)
	s_endpgm
	.section	.rodata,"a",@progbits
	.p2align	6, 0x0
	.amdhsa_kernel _Z17sort_pairs_kernelI22helper_blocked_stripedaLj512ELj3ELj10EEvPKT0_PS1_
		.amdhsa_group_segment_fixed_size 16448
		.amdhsa_private_segment_fixed_size 0
		.amdhsa_kernarg_size 272
		.amdhsa_user_sgpr_count 15
		.amdhsa_user_sgpr_dispatch_ptr 0
		.amdhsa_user_sgpr_queue_ptr 0
		.amdhsa_user_sgpr_kernarg_segment_ptr 1
		.amdhsa_user_sgpr_dispatch_id 0
		.amdhsa_user_sgpr_private_segment_size 0
		.amdhsa_wavefront_size32 1
		.amdhsa_uses_dynamic_stack 0
		.amdhsa_enable_private_segment 0
		.amdhsa_system_sgpr_workgroup_id_x 1
		.amdhsa_system_sgpr_workgroup_id_y 0
		.amdhsa_system_sgpr_workgroup_id_z 0
		.amdhsa_system_sgpr_workgroup_info 0
		.amdhsa_system_vgpr_workitem_id 2
		.amdhsa_next_free_vgpr 38
		.amdhsa_next_free_sgpr 20
		.amdhsa_reserve_vcc 1
		.amdhsa_float_round_mode_32 0
		.amdhsa_float_round_mode_16_64 0
		.amdhsa_float_denorm_mode_32 3
		.amdhsa_float_denorm_mode_16_64 3
		.amdhsa_dx10_clamp 1
		.amdhsa_ieee_mode 1
		.amdhsa_fp16_overflow 0
		.amdhsa_workgroup_processor_mode 1
		.amdhsa_memory_ordered 1
		.amdhsa_forward_progress 0
		.amdhsa_shared_vgpr_count 0
		.amdhsa_exception_fp_ieee_invalid_op 0
		.amdhsa_exception_fp_denorm_src 0
		.amdhsa_exception_fp_ieee_div_zero 0
		.amdhsa_exception_fp_ieee_overflow 0
		.amdhsa_exception_fp_ieee_underflow 0
		.amdhsa_exception_fp_ieee_inexact 0
		.amdhsa_exception_int_div_zero 0
	.end_amdhsa_kernel
	.section	.text._Z17sort_pairs_kernelI22helper_blocked_stripedaLj512ELj3ELj10EEvPKT0_PS1_,"axG",@progbits,_Z17sort_pairs_kernelI22helper_blocked_stripedaLj512ELj3ELj10EEvPKT0_PS1_,comdat
.Lfunc_end283:
	.size	_Z17sort_pairs_kernelI22helper_blocked_stripedaLj512ELj3ELj10EEvPKT0_PS1_, .Lfunc_end283-_Z17sort_pairs_kernelI22helper_blocked_stripedaLj512ELj3ELj10EEvPKT0_PS1_
                                        ; -- End function
	.section	.AMDGPU.csdata,"",@progbits
; Kernel info:
; codeLenInByte = 2616
; NumSgprs: 22
; NumVgprs: 38
; ScratchSize: 0
; MemoryBound: 0
; FloatMode: 240
; IeeeMode: 1
; LDSByteSize: 16448 bytes/workgroup (compile time only)
; SGPRBlocks: 2
; VGPRBlocks: 4
; NumSGPRsForWavesPerEU: 22
; NumVGPRsForWavesPerEU: 38
; Occupancy: 16
; WaveLimiterHint : 1
; COMPUTE_PGM_RSRC2:SCRATCH_EN: 0
; COMPUTE_PGM_RSRC2:USER_SGPR: 15
; COMPUTE_PGM_RSRC2:TRAP_HANDLER: 0
; COMPUTE_PGM_RSRC2:TGID_X_EN: 1
; COMPUTE_PGM_RSRC2:TGID_Y_EN: 0
; COMPUTE_PGM_RSRC2:TGID_Z_EN: 0
; COMPUTE_PGM_RSRC2:TIDIG_COMP_CNT: 2
	.section	.text._Z16sort_keys_kernelI22helper_blocked_stripedaLj512ELj4ELj10EEvPKT0_PS1_,"axG",@progbits,_Z16sort_keys_kernelI22helper_blocked_stripedaLj512ELj4ELj10EEvPKT0_PS1_,comdat
	.protected	_Z16sort_keys_kernelI22helper_blocked_stripedaLj512ELj4ELj10EEvPKT0_PS1_ ; -- Begin function _Z16sort_keys_kernelI22helper_blocked_stripedaLj512ELj4ELj10EEvPKT0_PS1_
	.globl	_Z16sort_keys_kernelI22helper_blocked_stripedaLj512ELj4ELj10EEvPKT0_PS1_
	.p2align	8
	.type	_Z16sort_keys_kernelI22helper_blocked_stripedaLj512ELj4ELj10EEvPKT0_PS1_,@function
_Z16sort_keys_kernelI22helper_blocked_stripedaLj512ELj4ELj10EEvPKT0_PS1_: ; @_Z16sort_keys_kernelI22helper_blocked_stripedaLj512ELj4ELj10EEvPKT0_PS1_
; %bb.0:
	s_clause 0x1
	s_load_b128 s[16:19], s[0:1], 0x0
	s_load_b32 s2, s[0:1], 0x1c
	s_lshl_b32 s15, s15, 11
	v_bfe_u32 v2, v0, 10, 10
	v_mbcnt_lo_u32_b32 v4, -1, 0
	s_delay_alu instid0(VALU_DEP_1) | instskip(SKIP_1) | instid1(VALU_DEP_2)
	v_and_b32_e32 v13, 28, v4
	v_cmp_eq_u32_e64 s11, 0, v4
	v_or_b32_e32 v15, 32, v13
	v_or_b32_e32 v16, 64, v13
	;; [unrolled: 1-line block ×3, first 2 shown]
	s_waitcnt lgkmcnt(0)
	s_add_u32 s0, s16, s15
	s_mov_b32 s16, 0
	s_addc_u32 s1, s17, 0
	s_mov_b32 s17, s16
	v_and_b32_e32 v8, 0x3ff, v0
	v_bfe_u32 v0, v0, 20, 10
	s_mov_b32 s20, s16
	s_mov_b32 s21, s16
	v_and_b32_e32 v5, 3, v4
	v_lshlrev_b32_e32 v1, 2, v8
	v_dual_mov_b32 v11, s20 :: v_dual_mov_b32 v12, s21
	s_delay_alu instid0(VALU_DEP_3)
	v_cmp_eq_u32_e32 vcc_lo, 3, v5
	global_load_b32 v1, v1, s[0:1]
	s_lshr_b32 s1, s2, 16
	s_and_b32 s2, s2, 0xffff
	v_mad_u32_u24 v0, v0, s1, v2
	v_cmp_eq_u32_e64 s0, 2, v5
	v_cmp_eq_u32_e64 s1, 1, v5
	s_delay_alu instid0(VALU_DEP_3) | instskip(SKIP_4) | instid1(VALU_DEP_4)
	v_mad_u64_u32 v[2:3], null, v0, s2, v[8:9]
	v_and_b32_e32 v0, 15, v4
	v_add_nc_u32_e32 v3, -1, v4
	v_dual_mov_b32 v9, s16 :: v_dual_mov_b32 v10, s17
	v_lshlrev_b32_e32 v14, 5, v8
	v_cmp_eq_u32_e64 s3, 0, v0
	v_lshrrev_b32_e32 v19, 5, v2
	v_and_b32_e32 v2, 16, v4
	v_cmp_lt_u32_e64 s4, 1, v0
	v_cmp_lt_u32_e64 s5, 3, v0
	v_cmp_lt_u32_e64 s6, 7, v0
	v_or_b32_e32 v0, 31, v8
	v_cmp_eq_u32_e64 s7, 0, v2
	v_lshrrev_b32_e32 v2, 3, v8
	v_cmp_gt_i32_e64 s8, 0, v3
	v_cmp_eq_u32_e64 s2, 0, v5
	v_add_nc_u32_e32 v18, 64, v14
	v_cmp_gt_u32_e64 s9, 16, v8
	v_and_b32_e32 v20, 60, v2
	v_cndmask_b32_e64 v3, v3, v4, s8
	v_cmp_eq_u32_e64 s8, v0, v8
	v_mul_u32_u24_e32 v0, 3, v8
	v_cmp_lt_u32_e64 s10, 31, v8
	v_cmp_eq_u32_e64 s12, 0, v8
	v_lshlrev_b32_e32 v21, 2, v3
	v_add_nc_u32_e32 v22, -4, v20
	v_add_nc_u32_e32 v23, v8, v0
	s_mov_b32 s16, 10
	s_branch .LBB284_2
.LBB284_1:                              ;   in Loop: Header=BB284_2 Depth=1
	s_or_b32 exec_lo, exec_lo, s13
	s_waitcnt lgkmcnt(0)
	v_add_nc_u32_e32 v3, v39, v3
	s_add_i32 s16, s16, -1
	s_delay_alu instid0(SALU_CYCLE_1) | instskip(SKIP_3) | instid1(VALU_DEP_1)
	s_cmp_eq_u32 s16, 0
	ds_bpermute_b32 v3, v21, v3
	s_waitcnt lgkmcnt(0)
	v_cndmask_b32_e64 v3, v3, v39, s11
	v_cndmask_b32_e64 v3, v3, 0, s12
	s_delay_alu instid0(VALU_DEP_1) | instskip(NEXT) | instid1(VALU_DEP_1)
	v_add_nc_u32_e32 v4, v3, v4
	v_add_nc_u32_e32 v5, v4, v5
	s_delay_alu instid0(VALU_DEP_1) | instskip(NEXT) | instid1(VALU_DEP_1)
	v_add_nc_u32_e32 v6, v5, v6
	v_add_nc_u32_e32 v39, v6, v7
	;; [unrolled: 3-line block ×3, first 2 shown]
	s_delay_alu instid0(VALU_DEP_1)
	v_add_nc_u32_e32 v1, v0, v2
	ds_store_2addr_b64 v14, v[3:4], v[5:6] offset0:8 offset1:9
	ds_store_2addr_b64 v18, v[39:40], v[0:1] offset0:2 offset1:3
	s_waitcnt lgkmcnt(0)
	s_barrier
	buffer_gl0_inv
	ds_load_b32 v0, v26
	ds_load_b32 v1, v30
	;; [unrolled: 1-line block ×4, first 2 shown]
	s_waitcnt lgkmcnt(0)
	s_barrier
	buffer_gl0_inv
	v_add_nc_u32_e32 v0, v0, v25
	v_add3_u32 v1, v29, v28, v1
	v_add3_u32 v2, v33, v32, v2
	;; [unrolled: 1-line block ×3, first 2 shown]
	ds_store_b8 v0, v24
	ds_store_b8 v1, v27
	;; [unrolled: 1-line block ×4, first 2 shown]
	s_waitcnt lgkmcnt(0)
	s_barrier
	buffer_gl0_inv
	ds_load_u8 v0, v8 offset:512
	ds_load_u8 v1, v8
	ds_load_u8 v2, v8 offset:1536
	ds_load_u8 v4, v8 offset:1024
	s_waitcnt lgkmcnt(3)
	v_xor_b32_e32 v0, 0xffffff80, v0
	s_waitcnt lgkmcnt(2)
	v_xor_b32_e32 v3, 0xffffff80, v1
	;; [unrolled: 2-line block ×4, first 2 shown]
	v_lshlrev_b16 v1, 8, v0
	v_and_b32_e32 v5, 0xff, v3
	v_lshlrev_b16 v6, 8, v2
	s_delay_alu instid0(VALU_DEP_4) | instskip(NEXT) | instid1(VALU_DEP_3)
	v_and_b32_e32 v7, 0xff, v4
	v_or_b32_e32 v1, v5, v1
	s_delay_alu instid0(VALU_DEP_2) | instskip(NEXT) | instid1(VALU_DEP_2)
	v_or_b32_e32 v5, v7, v6
	v_and_b32_e32 v1, 0xffff, v1
	s_delay_alu instid0(VALU_DEP_2) | instskip(NEXT) | instid1(VALU_DEP_1)
	v_lshlrev_b32_e32 v5, 16, v5
	v_or_b32_e32 v1, v1, v5
	s_cbranch_scc1 .LBB284_16
.LBB284_2:                              ; =>This Inner Loop Header: Depth=1
	s_waitcnt vmcnt(0)
	s_delay_alu instid0(VALU_DEP_1) | instskip(SKIP_3) | instid1(VALU_DEP_4)
	v_lshrrev_b32_e32 v0, 8, v1
	v_xor_b32_e32 v2, 0x80, v1
	v_lshrrev_b32_e32 v3, 16, v1
	v_lshrrev_b32_e32 v1, 24, v1
	v_xor_b32_e32 v0, 0x80, v0
	s_delay_alu instid0(VALU_DEP_4) | instskip(NEXT) | instid1(VALU_DEP_4)
	v_and_b32_e32 v2, 0xff, v2
	v_xor_b32_e32 v3, 0x80, v3
	s_delay_alu instid0(VALU_DEP_4)
	v_xor_b32_e32 v1, 0x80, v1
	s_barrier
	v_and_b32_e32 v0, 0xff, v0
	ds_bpermute_b32 v4, v13, v2
	v_and_b32_e32 v3, 0xff, v3
	v_and_b32_e32 v1, 0xffff, v1
	s_waitcnt lgkmcnt(0)
	buffer_gl0_inv
	ds_bpermute_b32 v5, v13, v0
	ds_store_2addr_b64 v14, v[9:10], v[11:12] offset0:8 offset1:9
	ds_store_2addr_b64 v18, v[9:10], v[11:12] offset0:2 offset1:3
	ds_bpermute_b32 v6, v13, v3
	ds_bpermute_b32 v7, v13, v1
	s_waitcnt lgkmcnt(0)
	s_barrier
	buffer_gl0_inv
	; wave barrier
	v_perm_b32 v5, v5, v4, 0x3020104
	s_delay_alu instid0(VALU_DEP_1) | instskip(SKIP_2) | instid1(VALU_DEP_1)
	v_cndmask_b32_e64 v4, v4, v5, s1
	ds_bpermute_b32 v5, v15, v2
	v_perm_b32 v6, v6, v4, 0x3020104
	v_cndmask_b32_e64 v4, v4, v6, s0
	s_delay_alu instid0(VALU_DEP_1) | instskip(SKIP_4) | instid1(VALU_DEP_2)
	v_perm_b32 v6, v7, v4, 0x3020104
	ds_bpermute_b32 v7, v15, v0
	v_cndmask_b32_e32 v4, v4, v6, vcc_lo
	s_waitcnt lgkmcnt(1)
	v_lshlrev_b16 v5, 8, v5
	v_and_b32_e32 v6, 0xff, v4
	s_delay_alu instid0(VALU_DEP_1) | instskip(NEXT) | instid1(VALU_DEP_1)
	v_or_b32_e32 v5, v6, v5
	v_and_b32_e32 v5, 0xffff, v5
	s_delay_alu instid0(VALU_DEP_1) | instskip(NEXT) | instid1(VALU_DEP_1)
	v_and_or_b32 v5, 0xffff0000, v4, v5
	v_cndmask_b32_e64 v4, v4, v5, s2
	s_waitcnt lgkmcnt(0)
	v_lshlrev_b16 v5, 8, v7
	ds_bpermute_b32 v7, v15, v3
	v_and_b32_e32 v6, 0xff, v4
	s_delay_alu instid0(VALU_DEP_1) | instskip(NEXT) | instid1(VALU_DEP_1)
	v_or_b32_e32 v5, v6, v5
	v_and_b32_e32 v5, 0xffff, v5
	s_delay_alu instid0(VALU_DEP_1) | instskip(NEXT) | instid1(VALU_DEP_1)
	v_and_or_b32 v5, 0xffff0000, v4, v5
	v_cndmask_b32_e64 v4, v4, v5, s1
	s_waitcnt lgkmcnt(0)
	v_lshlrev_b16 v5, 8, v7
	ds_bpermute_b32 v7, v15, v1
	v_and_b32_e32 v6, 0xff, v4
	s_delay_alu instid0(VALU_DEP_1) | instskip(NEXT) | instid1(VALU_DEP_1)
	v_or_b32_e32 v5, v6, v5
	v_and_b32_e32 v5, 0xffff, v5
	s_delay_alu instid0(VALU_DEP_1) | instskip(NEXT) | instid1(VALU_DEP_1)
	v_and_or_b32 v5, 0xffff0000, v4, v5
	v_cndmask_b32_e64 v4, v4, v5, s0
	s_waitcnt lgkmcnt(0)
	v_lshlrev_b16 v5, 8, v7
	s_delay_alu instid0(VALU_DEP_2) | instskip(NEXT) | instid1(VALU_DEP_1)
	v_and_b32_e32 v6, 0xff, v4
	v_or_b32_e32 v5, v6, v5
	ds_bpermute_b32 v6, v16, v2
	ds_bpermute_b32 v2, v17, v2
	v_and_b32_e32 v5, 0xffff, v5
	s_delay_alu instid0(VALU_DEP_1) | instskip(NEXT) | instid1(VALU_DEP_1)
	v_and_or_b32 v5, 0xffff0000, v4, v5
	v_cndmask_b32_e32 v4, v4, v5, vcc_lo
	s_delay_alu instid0(VALU_DEP_1)
	v_lshrrev_b32_e32 v5, 16, v4
	s_waitcnt lgkmcnt(1)
	v_and_b32_e32 v6, 0xff, v6
	s_waitcnt lgkmcnt(0)
	v_lshlrev_b16 v2, 8, v2
	v_and_b32_e32 v5, 0xffffff00, v5
	s_delay_alu instid0(VALU_DEP_1) | instskip(SKIP_3) | instid1(VALU_DEP_1)
	v_or_b32_e32 v5, v6, v5
	ds_bpermute_b32 v6, v16, v0
	ds_bpermute_b32 v0, v17, v0
	v_lshlrev_b32_e32 v5, 16, v5
	v_and_or_b32 v5, 0xffff, v4, v5
	s_delay_alu instid0(VALU_DEP_1) | instskip(NEXT) | instid1(VALU_DEP_1)
	v_cndmask_b32_e64 v4, v4, v5, s2
	v_lshrrev_b32_e32 v5, 16, v4
	s_waitcnt lgkmcnt(1)
	v_and_b32_e32 v6, 0xff, v6
	s_waitcnt lgkmcnt(0)
	v_lshlrev_b16 v0, 8, v0
	v_and_b32_e32 v5, 0xffffff00, v5
	s_delay_alu instid0(VALU_DEP_1) | instskip(SKIP_3) | instid1(VALU_DEP_1)
	v_or_b32_e32 v5, v6, v5
	ds_bpermute_b32 v6, v16, v3
	ds_bpermute_b32 v3, v17, v3
	v_lshlrev_b32_e32 v5, 16, v5
	v_and_or_b32 v5, 0xffff, v4, v5
	s_delay_alu instid0(VALU_DEP_1) | instskip(NEXT) | instid1(VALU_DEP_1)
	v_cndmask_b32_e64 v4, v4, v5, s1
	;; [unrolled: 14-line block ×3, first 2 shown]
	v_lshrrev_b32_e32 v5, 16, v4
	s_waitcnt lgkmcnt(1)
	v_and_b32_e32 v6, 0xff, v6
	s_waitcnt lgkmcnt(0)
	v_lshlrev_b16 v1, 8, v1
	v_and_b32_e32 v5, 0xffffff00, v5
	s_delay_alu instid0(VALU_DEP_1) | instskip(NEXT) | instid1(VALU_DEP_1)
	v_or_b32_e32 v5, v6, v5
	v_lshlrev_b32_e32 v5, 16, v5
	s_delay_alu instid0(VALU_DEP_1) | instskip(NEXT) | instid1(VALU_DEP_1)
	v_and_or_b32 v5, 0xffff, v4, v5
	v_cndmask_b32_e32 v4, v4, v5, vcc_lo
	s_delay_alu instid0(VALU_DEP_1) | instskip(NEXT) | instid1(VALU_DEP_1)
	v_lshrrev_b32_e32 v5, 16, v4
	v_and_b32_e32 v5, 0xff, v5
	s_delay_alu instid0(VALU_DEP_1) | instskip(NEXT) | instid1(VALU_DEP_1)
	v_or_b32_e32 v2, v5, v2
	v_lshlrev_b32_e32 v2, 16, v2
	s_delay_alu instid0(VALU_DEP_1) | instskip(NEXT) | instid1(VALU_DEP_1)
	v_and_or_b32 v2, 0xffff, v4, v2
	v_cndmask_b32_e64 v2, v4, v2, s2
	s_delay_alu instid0(VALU_DEP_1) | instskip(NEXT) | instid1(VALU_DEP_1)
	v_lshrrev_b32_e32 v4, 16, v2
	v_and_b32_e32 v4, 0xff, v4
	s_delay_alu instid0(VALU_DEP_1) | instskip(NEXT) | instid1(VALU_DEP_1)
	v_or_b32_e32 v0, v4, v0
	v_lshlrev_b32_e32 v0, 16, v0
	s_delay_alu instid0(VALU_DEP_1) | instskip(NEXT) | instid1(VALU_DEP_1)
	v_and_or_b32 v0, 0xffff, v2, v0
	v_cndmask_b32_e64 v0, v2, v0, s1
	;; [unrolled: 9-line block ×3, first 2 shown]
	s_delay_alu instid0(VALU_DEP_1) | instskip(NEXT) | instid1(VALU_DEP_1)
	v_lshrrev_b32_e32 v2, 16, v0
	v_and_b32_e32 v2, 0xff, v2
	s_delay_alu instid0(VALU_DEP_1) | instskip(NEXT) | instid1(VALU_DEP_1)
	v_or_b32_e32 v1, v2, v1
	v_lshlrev_b32_e32 v1, 16, v1
	s_delay_alu instid0(VALU_DEP_1) | instskip(NEXT) | instid1(VALU_DEP_1)
	v_and_or_b32 v1, 0xffff, v0, v1
	v_cndmask_b32_e32 v24, v0, v1, vcc_lo
	s_delay_alu instid0(VALU_DEP_1)
	v_lshlrev_b32_e32 v3, 28, v24
	v_and_b32_e32 v0, 1, v24
	v_lshlrev_b32_e32 v1, 30, v24
	v_lshlrev_b32_e32 v2, 29, v24
	;; [unrolled: 1-line block ×4, first 2 shown]
	v_add_co_u32 v0, s13, v0, -1
	s_delay_alu instid0(VALU_DEP_1)
	v_cndmask_b32_e64 v4, 0, 1, s13
	v_not_b32_e32 v25, v1
	v_cmp_gt_i32_e64 s14, 0, v1
	v_not_b32_e32 v1, v2
	v_lshlrev_b32_e32 v7, 25, v24
	v_cmp_ne_u32_e64 s13, 0, v4
	v_ashrrev_i32_e32 v25, 31, v25
	v_lshlrev_b32_e32 v4, 24, v24
	v_ashrrev_i32_e32 v1, 31, v1
	s_delay_alu instid0(VALU_DEP_4)
	v_xor_b32_e32 v0, s13, v0
	v_cmp_gt_i32_e64 s13, 0, v2
	v_not_b32_e32 v2, v3
	v_xor_b32_e32 v25, s14, v25
	v_cmp_gt_i32_e64 s14, 0, v3
	v_and_b32_e32 v0, exec_lo, v0
	v_not_b32_e32 v3, v5
	v_ashrrev_i32_e32 v2, 31, v2
	v_xor_b32_e32 v1, s13, v1
	v_cmp_gt_i32_e64 s13, 0, v5
	v_and_b32_e32 v0, v0, v25
	v_not_b32_e32 v5, v6
	v_ashrrev_i32_e32 v3, 31, v3
	v_xor_b32_e32 v2, s14, v2
	v_cmp_gt_i32_e64 s14, 0, v6
	v_and_b32_e32 v0, v0, v1
	;; [unrolled: 5-line block ×4, first 2 shown]
	v_ashrrev_i32_e32 v2, 31, v2
	v_xor_b32_e32 v1, s13, v1
	s_delay_alu instid0(VALU_DEP_3) | instskip(NEXT) | instid1(VALU_DEP_3)
	v_and_b32_e32 v0, v0, v5
	v_xor_b32_e32 v2, s14, v2
	s_delay_alu instid0(VALU_DEP_2) | instskip(SKIP_1) | instid1(VALU_DEP_2)
	v_and_b32_e32 v0, v0, v1
	v_and_b32_e32 v1, 0xff, v24
	;; [unrolled: 1-line block ×3, first 2 shown]
	s_delay_alu instid0(VALU_DEP_2) | instskip(NEXT) | instid1(VALU_DEP_2)
	v_lshl_add_u32 v1, v1, 4, v19
	v_mbcnt_lo_u32_b32 v25, v0, 0
	v_cmp_ne_u32_e64 s14, 0, v0
	s_delay_alu instid0(VALU_DEP_3) | instskip(NEXT) | instid1(VALU_DEP_3)
	v_lshl_add_u32 v26, v1, 2, 64
	v_cmp_eq_u32_e64 s13, 0, v25
	s_delay_alu instid0(VALU_DEP_1) | instskip(NEXT) | instid1(SALU_CYCLE_1)
	s_and_b32 s14, s13, s14
	s_and_saveexec_b32 s13, s14
	s_cbranch_execz .LBB284_4
; %bb.3:                                ;   in Loop: Header=BB284_2 Depth=1
	v_bcnt_u32_b32 v0, v0, 0
	ds_store_b32 v26, v0
.LBB284_4:                              ;   in Loop: Header=BB284_2 Depth=1
	s_or_b32 exec_lo, exec_lo, s13
	v_bfe_u32 v0, v24, 8, 1
	v_lshrrev_b32_e32 v27, 8, v24
	; wave barrier
	s_delay_alu instid0(VALU_DEP_2) | instskip(NEXT) | instid1(VALU_DEP_1)
	v_add_co_u32 v0, s13, v0, -1
	v_cndmask_b32_e64 v1, 0, 1, s13
	s_delay_alu instid0(VALU_DEP_3)
	v_lshlrev_b32_e32 v2, 30, v27
	v_lshlrev_b32_e32 v3, 29, v27
	;; [unrolled: 1-line block ×4, first 2 shown]
	v_cmp_ne_u32_e64 s13, 0, v1
	v_not_b32_e32 v1, v2
	v_cmp_gt_i32_e64 s14, 0, v2
	v_not_b32_e32 v2, v3
	v_lshlrev_b32_e32 v6, 26, v27
	v_xor_b32_e32 v0, s13, v0
	v_ashrrev_i32_e32 v1, 31, v1
	v_cmp_gt_i32_e64 s13, 0, v3
	v_not_b32_e32 v3, v4
	v_ashrrev_i32_e32 v2, 31, v2
	v_and_b32_e32 v0, exec_lo, v0
	v_xor_b32_e32 v1, s14, v1
	v_cmp_gt_i32_e64 s14, 0, v4
	v_not_b32_e32 v4, v5
	v_ashrrev_i32_e32 v3, 31, v3
	v_xor_b32_e32 v2, s13, v2
	v_and_b32_e32 v0, v0, v1
	v_cmp_gt_i32_e64 s13, 0, v5
	v_not_b32_e32 v1, v6
	v_ashrrev_i32_e32 v4, 31, v4
	v_xor_b32_e32 v3, s14, v3
	v_and_b32_e32 v0, v0, v2
	v_lshlrev_b32_e32 v2, 25, v27
	v_cmp_gt_i32_e64 s14, 0, v6
	v_ashrrev_i32_e32 v1, 31, v1
	v_xor_b32_e32 v4, s13, v4
	v_and_b32_e32 v0, v0, v3
	v_not_b32_e32 v5, v2
	v_lshlrev_b32_e32 v6, 24, v27
	v_lshrrev_b32_e32 v3, 4, v24
	v_xor_b32_e32 v1, s14, v1
	v_and_b32_e32 v0, v0, v4
	v_cmp_gt_i32_e64 s13, 0, v2
	v_ashrrev_i32_e32 v2, 31, v5
	v_not_b32_e32 v4, v6
	v_and_b32_e32 v3, 0xff0, v3
	v_and_b32_e32 v0, v0, v1
	s_delay_alu instid0(VALU_DEP_4) | instskip(SKIP_3) | instid1(VALU_DEP_4)
	v_xor_b32_e32 v1, s13, v2
	v_cmp_gt_i32_e64 s13, 0, v6
	v_ashrrev_i32_e32 v2, 31, v4
	v_add_lshl_u32 v3, v3, v19, 2
	v_and_b32_e32 v0, v0, v1
	s_delay_alu instid0(VALU_DEP_3) | instskip(SKIP_3) | instid1(VALU_DEP_1)
	v_xor_b32_e32 v1, s13, v2
	ds_load_b32 v28, v3 offset:64
	v_add_nc_u32_e32 v30, 64, v3
	; wave barrier
	v_and_b32_e32 v0, v0, v1
	v_mbcnt_lo_u32_b32 v29, v0, 0
	v_cmp_ne_u32_e64 s14, 0, v0
	s_delay_alu instid0(VALU_DEP_2) | instskip(NEXT) | instid1(VALU_DEP_1)
	v_cmp_eq_u32_e64 s13, 0, v29
	s_and_b32 s14, s14, s13
	s_delay_alu instid0(SALU_CYCLE_1)
	s_and_saveexec_b32 s13, s14
	s_cbranch_execz .LBB284_6
; %bb.5:                                ;   in Loop: Header=BB284_2 Depth=1
	s_waitcnt lgkmcnt(0)
	v_bcnt_u32_b32 v0, v0, v28
	ds_store_b32 v30, v0
.LBB284_6:                              ;   in Loop: Header=BB284_2 Depth=1
	s_or_b32 exec_lo, exec_lo, s13
	v_bfe_u32 v0, v24, 16, 1
	v_lshrrev_b32_e32 v31, 16, v24
	; wave barrier
	s_delay_alu instid0(VALU_DEP_2) | instskip(NEXT) | instid1(VALU_DEP_1)
	v_add_co_u32 v0, s13, v0, -1
	v_cndmask_b32_e64 v1, 0, 1, s13
	s_delay_alu instid0(VALU_DEP_3)
	v_lshlrev_b32_e32 v2, 30, v31
	v_lshlrev_b32_e32 v3, 29, v31
	;; [unrolled: 1-line block ×4, first 2 shown]
	v_cmp_ne_u32_e64 s13, 0, v1
	v_not_b32_e32 v1, v2
	v_cmp_gt_i32_e64 s14, 0, v2
	v_not_b32_e32 v2, v3
	v_lshlrev_b32_e32 v6, 26, v31
	v_xor_b32_e32 v0, s13, v0
	v_ashrrev_i32_e32 v1, 31, v1
	v_cmp_gt_i32_e64 s13, 0, v3
	v_not_b32_e32 v3, v4
	v_ashrrev_i32_e32 v2, 31, v2
	v_and_b32_e32 v0, exec_lo, v0
	v_xor_b32_e32 v1, s14, v1
	v_cmp_gt_i32_e64 s14, 0, v4
	v_not_b32_e32 v4, v5
	v_ashrrev_i32_e32 v3, 31, v3
	v_xor_b32_e32 v2, s13, v2
	v_and_b32_e32 v0, v0, v1
	v_cmp_gt_i32_e64 s13, 0, v5
	v_not_b32_e32 v1, v6
	v_ashrrev_i32_e32 v4, 31, v4
	v_xor_b32_e32 v3, s14, v3
	v_and_b32_e32 v0, v0, v2
	v_lshlrev_b32_e32 v2, 25, v31
	v_cmp_gt_i32_e64 s14, 0, v6
	v_ashrrev_i32_e32 v1, 31, v1
	v_xor_b32_e32 v4, s13, v4
	v_and_b32_e32 v0, v0, v3
	v_not_b32_e32 v5, v2
	v_lshlrev_b32_e32 v6, 24, v31
	v_lshrrev_b32_e32 v3, 12, v24
	v_xor_b32_e32 v1, s14, v1
	v_and_b32_e32 v0, v0, v4
	v_cmp_gt_i32_e64 s13, 0, v2
	v_ashrrev_i32_e32 v2, 31, v5
	v_not_b32_e32 v4, v6
	v_and_b32_e32 v3, 0xff0, v3
	v_and_b32_e32 v0, v0, v1
	s_delay_alu instid0(VALU_DEP_4) | instskip(SKIP_3) | instid1(VALU_DEP_4)
	v_xor_b32_e32 v1, s13, v2
	v_cmp_gt_i32_e64 s13, 0, v6
	v_ashrrev_i32_e32 v2, 31, v4
	v_add_lshl_u32 v3, v3, v19, 2
	v_and_b32_e32 v0, v0, v1
	s_delay_alu instid0(VALU_DEP_3) | instskip(SKIP_3) | instid1(VALU_DEP_1)
	v_xor_b32_e32 v1, s13, v2
	ds_load_b32 v32, v3 offset:64
	v_add_nc_u32_e32 v34, 64, v3
	; wave barrier
	v_and_b32_e32 v0, v0, v1
	v_mbcnt_lo_u32_b32 v33, v0, 0
	v_cmp_ne_u32_e64 s14, 0, v0
	s_delay_alu instid0(VALU_DEP_2) | instskip(NEXT) | instid1(VALU_DEP_1)
	v_cmp_eq_u32_e64 s13, 0, v33
	s_and_b32 s14, s14, s13
	s_delay_alu instid0(SALU_CYCLE_1)
	s_and_saveexec_b32 s13, s14
	s_cbranch_execz .LBB284_8
; %bb.7:                                ;   in Loop: Header=BB284_2 Depth=1
	s_waitcnt lgkmcnt(0)
	v_bcnt_u32_b32 v0, v0, v32
	ds_store_b32 v34, v0
.LBB284_8:                              ;   in Loop: Header=BB284_2 Depth=1
	s_or_b32 exec_lo, exec_lo, s13
	v_bfe_u32 v0, v24, 24, 1
	v_lshrrev_b32_e32 v35, 24, v24
	; wave barrier
	s_delay_alu instid0(VALU_DEP_2) | instskip(NEXT) | instid1(VALU_DEP_1)
	v_add_co_u32 v0, s13, v0, -1
	v_cndmask_b32_e64 v1, 0, 1, s13
	s_delay_alu instid0(VALU_DEP_3)
	v_lshlrev_b32_e32 v2, 30, v35
	v_lshlrev_b32_e32 v3, 29, v35
	;; [unrolled: 1-line block ×4, first 2 shown]
	v_cmp_ne_u32_e64 s13, 0, v1
	v_not_b32_e32 v1, v2
	v_cmp_gt_i32_e64 s14, 0, v2
	v_not_b32_e32 v2, v3
	v_lshlrev_b32_e32 v6, 26, v35
	v_xor_b32_e32 v0, s13, v0
	v_ashrrev_i32_e32 v1, 31, v1
	v_cmp_gt_i32_e64 s13, 0, v3
	v_not_b32_e32 v3, v4
	v_ashrrev_i32_e32 v2, 31, v2
	v_and_b32_e32 v0, exec_lo, v0
	v_xor_b32_e32 v1, s14, v1
	v_cmp_gt_i32_e64 s14, 0, v4
	v_not_b32_e32 v4, v5
	v_ashrrev_i32_e32 v3, 31, v3
	v_xor_b32_e32 v2, s13, v2
	v_and_b32_e32 v0, v0, v1
	v_lshlrev_b32_e32 v1, 25, v35
	v_cmp_gt_i32_e64 s13, 0, v5
	v_ashrrev_i32_e32 v4, 31, v4
	v_xor_b32_e32 v3, s14, v3
	v_and_b32_e32 v0, v0, v2
	v_not_b32_e32 v5, v6
	v_not_b32_e32 v7, v1
	v_xor_b32_e32 v4, s13, v4
	v_cmp_gt_i32_e64 s13, 0, v6
	v_and_b32_e32 v0, v0, v3
	v_ashrrev_i32_e32 v3, 31, v5
	v_and_b32_e32 v2, 0xff000000, v24
	v_cmp_gt_i32_e64 s14, 0, v1
	v_ashrrev_i32_e32 v1, 31, v7
	v_and_b32_e32 v0, v0, v4
	v_not_b32_e32 v4, v24
	v_xor_b32_e32 v3, s13, v3
	v_lshlrev_b32_e32 v5, 4, v35
	v_xor_b32_e32 v1, s14, v1
	v_cmp_gt_i32_e64 s13, 0, v2
	v_ashrrev_i32_e32 v2, 31, v4
	v_and_b32_e32 v0, v0, v3
	v_add_lshl_u32 v3, v5, v19, 2
	s_delay_alu instid0(VALU_DEP_3) | instskip(NEXT) | instid1(VALU_DEP_3)
	v_xor_b32_e32 v2, s13, v2
	v_and_b32_e32 v0, v0, v1
	ds_load_b32 v36, v3 offset:64
	v_add_nc_u32_e32 v38, 64, v3
	; wave barrier
	v_and_b32_e32 v0, v0, v2
	s_delay_alu instid0(VALU_DEP_1) | instskip(SKIP_1) | instid1(VALU_DEP_2)
	v_mbcnt_lo_u32_b32 v37, v0, 0
	v_cmp_ne_u32_e64 s14, 0, v0
	v_cmp_eq_u32_e64 s13, 0, v37
	s_delay_alu instid0(VALU_DEP_1) | instskip(NEXT) | instid1(SALU_CYCLE_1)
	s_and_b32 s14, s14, s13
	s_and_saveexec_b32 s13, s14
	s_cbranch_execz .LBB284_10
; %bb.9:                                ;   in Loop: Header=BB284_2 Depth=1
	s_waitcnt lgkmcnt(0)
	v_bcnt_u32_b32 v0, v0, v36
	ds_store_b32 v38, v0
.LBB284_10:                             ;   in Loop: Header=BB284_2 Depth=1
	s_or_b32 exec_lo, exec_lo, s13
	; wave barrier
	s_waitcnt lgkmcnt(0)
	s_barrier
	buffer_gl0_inv
	ds_load_2addr_b64 v[4:7], v14 offset0:8 offset1:9
	ds_load_2addr_b64 v[0:3], v18 offset0:2 offset1:3
	s_waitcnt lgkmcnt(1)
	v_add_nc_u32_e32 v39, v5, v4
	s_delay_alu instid0(VALU_DEP_1) | instskip(SKIP_1) | instid1(VALU_DEP_1)
	v_add3_u32 v39, v39, v6, v7
	s_waitcnt lgkmcnt(0)
	v_add3_u32 v39, v39, v0, v1
	s_delay_alu instid0(VALU_DEP_1) | instskip(NEXT) | instid1(VALU_DEP_1)
	v_add3_u32 v3, v39, v2, v3
	v_mov_b32_dpp v39, v3 row_shr:1 row_mask:0xf bank_mask:0xf
	s_delay_alu instid0(VALU_DEP_1) | instskip(NEXT) | instid1(VALU_DEP_1)
	v_cndmask_b32_e64 v39, v39, 0, s3
	v_add_nc_u32_e32 v3, v39, v3
	s_delay_alu instid0(VALU_DEP_1) | instskip(NEXT) | instid1(VALU_DEP_1)
	v_mov_b32_dpp v39, v3 row_shr:2 row_mask:0xf bank_mask:0xf
	v_cndmask_b32_e64 v39, 0, v39, s4
	s_delay_alu instid0(VALU_DEP_1) | instskip(NEXT) | instid1(VALU_DEP_1)
	v_add_nc_u32_e32 v3, v3, v39
	v_mov_b32_dpp v39, v3 row_shr:4 row_mask:0xf bank_mask:0xf
	s_delay_alu instid0(VALU_DEP_1) | instskip(NEXT) | instid1(VALU_DEP_1)
	v_cndmask_b32_e64 v39, 0, v39, s5
	v_add_nc_u32_e32 v3, v3, v39
	s_delay_alu instid0(VALU_DEP_1) | instskip(NEXT) | instid1(VALU_DEP_1)
	v_mov_b32_dpp v39, v3 row_shr:8 row_mask:0xf bank_mask:0xf
	v_cndmask_b32_e64 v39, 0, v39, s6
	s_delay_alu instid0(VALU_DEP_1) | instskip(SKIP_3) | instid1(VALU_DEP_1)
	v_add_nc_u32_e32 v3, v3, v39
	ds_swizzle_b32 v39, v3 offset:swizzle(BROADCAST,32,15)
	s_waitcnt lgkmcnt(0)
	v_cndmask_b32_e64 v39, v39, 0, s7
	v_add_nc_u32_e32 v3, v3, v39
	s_and_saveexec_b32 s13, s8
	s_cbranch_execz .LBB284_12
; %bb.11:                               ;   in Loop: Header=BB284_2 Depth=1
	ds_store_b32 v20, v3
.LBB284_12:                             ;   in Loop: Header=BB284_2 Depth=1
	s_or_b32 exec_lo, exec_lo, s13
	s_waitcnt lgkmcnt(0)
	s_barrier
	buffer_gl0_inv
	s_and_saveexec_b32 s13, s9
	s_cbranch_execz .LBB284_14
; %bb.13:                               ;   in Loop: Header=BB284_2 Depth=1
	ds_load_b32 v39, v23
	s_waitcnt lgkmcnt(0)
	v_mov_b32_dpp v40, v39 row_shr:1 row_mask:0xf bank_mask:0xf
	s_delay_alu instid0(VALU_DEP_1) | instskip(NEXT) | instid1(VALU_DEP_1)
	v_cndmask_b32_e64 v40, v40, 0, s3
	v_add_nc_u32_e32 v39, v40, v39
	s_delay_alu instid0(VALU_DEP_1) | instskip(NEXT) | instid1(VALU_DEP_1)
	v_mov_b32_dpp v40, v39 row_shr:2 row_mask:0xf bank_mask:0xf
	v_cndmask_b32_e64 v40, 0, v40, s4
	s_delay_alu instid0(VALU_DEP_1) | instskip(NEXT) | instid1(VALU_DEP_1)
	v_add_nc_u32_e32 v39, v39, v40
	v_mov_b32_dpp v40, v39 row_shr:4 row_mask:0xf bank_mask:0xf
	s_delay_alu instid0(VALU_DEP_1) | instskip(NEXT) | instid1(VALU_DEP_1)
	v_cndmask_b32_e64 v40, 0, v40, s5
	v_add_nc_u32_e32 v39, v39, v40
	s_delay_alu instid0(VALU_DEP_1) | instskip(NEXT) | instid1(VALU_DEP_1)
	v_mov_b32_dpp v40, v39 row_shr:8 row_mask:0xf bank_mask:0xf
	v_cndmask_b32_e64 v40, 0, v40, s6
	s_delay_alu instid0(VALU_DEP_1)
	v_add_nc_u32_e32 v39, v39, v40
	ds_store_b32 v23, v39
.LBB284_14:                             ;   in Loop: Header=BB284_2 Depth=1
	s_or_b32 exec_lo, exec_lo, s13
	v_mov_b32_e32 v39, 0
	s_waitcnt lgkmcnt(0)
	s_barrier
	buffer_gl0_inv
	s_and_saveexec_b32 s13, s10
	s_cbranch_execz .LBB284_1
; %bb.15:                               ;   in Loop: Header=BB284_2 Depth=1
	ds_load_b32 v39, v22
	s_branch .LBB284_1
.LBB284_16:
	s_add_u32 s0, s18, s15
	s_addc_u32 s1, s19, 0
	s_clause 0x3
	global_store_b8 v8, v3, s[0:1]
	global_store_b8 v8, v0, s[0:1] offset:512
	global_store_b8 v8, v4, s[0:1] offset:1024
	;; [unrolled: 1-line block ×3, first 2 shown]
	s_nop 0
	s_sendmsg sendmsg(MSG_DEALLOC_VGPRS)
	s_endpgm
	.section	.rodata,"a",@progbits
	.p2align	6, 0x0
	.amdhsa_kernel _Z16sort_keys_kernelI22helper_blocked_stripedaLj512ELj4ELj10EEvPKT0_PS1_
		.amdhsa_group_segment_fixed_size 16448
		.amdhsa_private_segment_fixed_size 0
		.amdhsa_kernarg_size 272
		.amdhsa_user_sgpr_count 15
		.amdhsa_user_sgpr_dispatch_ptr 0
		.amdhsa_user_sgpr_queue_ptr 0
		.amdhsa_user_sgpr_kernarg_segment_ptr 1
		.amdhsa_user_sgpr_dispatch_id 0
		.amdhsa_user_sgpr_private_segment_size 0
		.amdhsa_wavefront_size32 1
		.amdhsa_uses_dynamic_stack 0
		.amdhsa_enable_private_segment 0
		.amdhsa_system_sgpr_workgroup_id_x 1
		.amdhsa_system_sgpr_workgroup_id_y 0
		.amdhsa_system_sgpr_workgroup_id_z 0
		.amdhsa_system_sgpr_workgroup_info 0
		.amdhsa_system_vgpr_workitem_id 2
		.amdhsa_next_free_vgpr 41
		.amdhsa_next_free_sgpr 22
		.amdhsa_reserve_vcc 1
		.amdhsa_float_round_mode_32 0
		.amdhsa_float_round_mode_16_64 0
		.amdhsa_float_denorm_mode_32 3
		.amdhsa_float_denorm_mode_16_64 3
		.amdhsa_dx10_clamp 1
		.amdhsa_ieee_mode 1
		.amdhsa_fp16_overflow 0
		.amdhsa_workgroup_processor_mode 1
		.amdhsa_memory_ordered 1
		.amdhsa_forward_progress 0
		.amdhsa_shared_vgpr_count 0
		.amdhsa_exception_fp_ieee_invalid_op 0
		.amdhsa_exception_fp_denorm_src 0
		.amdhsa_exception_fp_ieee_div_zero 0
		.amdhsa_exception_fp_ieee_overflow 0
		.amdhsa_exception_fp_ieee_underflow 0
		.amdhsa_exception_fp_ieee_inexact 0
		.amdhsa_exception_int_div_zero 0
	.end_amdhsa_kernel
	.section	.text._Z16sort_keys_kernelI22helper_blocked_stripedaLj512ELj4ELj10EEvPKT0_PS1_,"axG",@progbits,_Z16sort_keys_kernelI22helper_blocked_stripedaLj512ELj4ELj10EEvPKT0_PS1_,comdat
.Lfunc_end284:
	.size	_Z16sort_keys_kernelI22helper_blocked_stripedaLj512ELj4ELj10EEvPKT0_PS1_, .Lfunc_end284-_Z16sort_keys_kernelI22helper_blocked_stripedaLj512ELj4ELj10EEvPKT0_PS1_
                                        ; -- End function
	.section	.AMDGPU.csdata,"",@progbits
; Kernel info:
; codeLenInByte = 3700
; NumSgprs: 24
; NumVgprs: 41
; ScratchSize: 0
; MemoryBound: 0
; FloatMode: 240
; IeeeMode: 1
; LDSByteSize: 16448 bytes/workgroup (compile time only)
; SGPRBlocks: 2
; VGPRBlocks: 5
; NumSGPRsForWavesPerEU: 24
; NumVGPRsForWavesPerEU: 41
; Occupancy: 16
; WaveLimiterHint : 1
; COMPUTE_PGM_RSRC2:SCRATCH_EN: 0
; COMPUTE_PGM_RSRC2:USER_SGPR: 15
; COMPUTE_PGM_RSRC2:TRAP_HANDLER: 0
; COMPUTE_PGM_RSRC2:TGID_X_EN: 1
; COMPUTE_PGM_RSRC2:TGID_Y_EN: 0
; COMPUTE_PGM_RSRC2:TGID_Z_EN: 0
; COMPUTE_PGM_RSRC2:TIDIG_COMP_CNT: 2
	.section	.text._Z17sort_pairs_kernelI22helper_blocked_stripedaLj512ELj4ELj10EEvPKT0_PS1_,"axG",@progbits,_Z17sort_pairs_kernelI22helper_blocked_stripedaLj512ELj4ELj10EEvPKT0_PS1_,comdat
	.protected	_Z17sort_pairs_kernelI22helper_blocked_stripedaLj512ELj4ELj10EEvPKT0_PS1_ ; -- Begin function _Z17sort_pairs_kernelI22helper_blocked_stripedaLj512ELj4ELj10EEvPKT0_PS1_
	.globl	_Z17sort_pairs_kernelI22helper_blocked_stripedaLj512ELj4ELj10EEvPKT0_PS1_
	.p2align	8
	.type	_Z17sort_pairs_kernelI22helper_blocked_stripedaLj512ELj4ELj10EEvPKT0_PS1_,@function
_Z17sort_pairs_kernelI22helper_blocked_stripedaLj512ELj4ELj10EEvPKT0_PS1_: ; @_Z17sort_pairs_kernelI22helper_blocked_stripedaLj512ELj4ELj10EEvPKT0_PS1_
; %bb.0:
	s_clause 0x1
	s_load_b128 s[16:19], s[0:1], 0x0
	s_load_b32 s12, s[0:1], 0x1c
	v_and_b32_e32 v8, 0x3ff, v0
	s_lshl_b32 s15, s15, 11
	v_mbcnt_lo_u32_b32 v2, -1, 0
	v_bfe_u32 v4, v0, 10, 10
	v_bfe_u32 v0, v0, 20, 10
	v_lshlrev_b32_e32 v1, 2, v8
	s_delay_alu instid0(VALU_DEP_4)
	v_and_b32_e32 v3, 3, v2
	v_and_b32_e32 v6, 16, v2
	v_add_nc_u32_e32 v7, -1, v2
	v_and_b32_e32 v13, 28, v2
	v_and_b32_e32 v5, 15, v2
	v_cmp_eq_u32_e32 vcc_lo, 0, v2
	v_cmp_eq_u32_e64 s8, 0, v6
	v_cmp_gt_i32_e64 s11, 0, v7
	v_or_b32_e32 v14, 32, v13
	v_cmp_eq_u32_e64 s4, 0, v5
	v_cmp_lt_u32_e64 s5, 1, v5
	s_waitcnt lgkmcnt(0)
	s_add_u32 s0, s16, s15
	s_addc_u32 s1, s17, 0
	v_cndmask_b32_e64 v7, v7, v2, s11
	global_load_b32 v1, v1, s[0:1]
	s_mov_b32 s0, 0
	s_lshr_b32 s13, s12, 16
	s_mov_b32 s1, s0
	s_mov_b32 s2, s0
	v_mov_b32_e32 v10, s1
	s_mov_b32 s3, s0
	s_delay_alu instid0(SALU_CYCLE_1)
	v_dual_mov_b32 v9, s0 :: v_dual_mov_b32 v12, s3
	v_mov_b32_e32 v11, s2
	v_cmp_eq_u32_e64 s0, 3, v3
	v_cmp_eq_u32_e64 s1, 2, v3
	;; [unrolled: 1-line block ×4, first 2 shown]
	v_mad_u32_u24 v0, v0, s13, v4
	s_and_b32 s12, s12, 0xffff
	v_lshlrev_b32_e32 v17, 5, v8
	v_cmp_lt_u32_e64 s6, 3, v5
	v_cmp_lt_u32_e64 s7, 7, v5
	v_or_b32_e32 v5, 31, v8
	v_or_b32_e32 v15, 64, v13
	;; [unrolled: 1-line block ×3, first 2 shown]
	v_cmp_gt_u32_e64 s9, 16, v8
	v_cmp_lt_u32_e64 s10, 31, v8
	v_cmp_eq_u32_e64 s11, 0, v8
	s_mov_b32 s16, 10
	s_waitcnt vmcnt(0)
	v_lshrrev_b32_e32 v3, 16, v1
	v_lshrrev_b32_e32 v6, 8, v1
	v_lshrrev_b32_e32 v18, 24, v1
	v_add_nc_u16 v19, v1, 1
	s_delay_alu instid0(VALU_DEP_4) | instskip(NEXT) | instid1(VALU_DEP_4)
	v_add_nc_u16 v3, v3, 1
	v_lshlrev_b16 v2, 8, v6
	s_delay_alu instid0(VALU_DEP_4) | instskip(NEXT) | instid1(VALU_DEP_4)
	v_lshlrev_b16 v6, 8, v18
	v_and_b32_e32 v18, 0xff, v19
	v_lshrrev_b32_e32 v19, 3, v8
	v_and_b32_e32 v3, 0xff, v3
	s_delay_alu instid0(VALU_DEP_3) | instskip(NEXT) | instid1(VALU_DEP_3)
	v_or_b32_e32 v2, v2, v18
	v_and_b32_e32 v19, 60, v19
	s_delay_alu instid0(VALU_DEP_3)
	v_or_b32_e32 v3, v6, v3
	v_mul_u32_u24_e32 v6, 3, v8
	v_add_nc_u32_e32 v18, 64, v17
	v_add_nc_u16 v4, v2, 0x100
	v_add_nc_u32_e32 v21, -4, v19
	v_add_nc_u16 v20, v3, 0x100
	v_mad_u64_u32 v[2:3], null, v0, s12, v[8:9]
	s_delay_alu instid0(VALU_DEP_4) | instskip(SKIP_1) | instid1(VALU_DEP_4)
	v_and_b32_e32 v0, 0xffff, v4
	v_cmp_eq_u32_e64 s12, v5, v8
	v_lshlrev_b32_e32 v3, 16, v20
	v_lshlrev_b32_e32 v20, 2, v7
	v_add_nc_u32_e32 v23, v8, v6
	v_lshrrev_b32_e32 v22, 5, v2
	s_delay_alu instid0(VALU_DEP_4)
	v_or_b32_e32 v0, v0, v3
	s_branch .LBB285_2
.LBB285_1:                              ;   in Loop: Header=BB285_2 Depth=1
	s_or_b32 exec_lo, exec_lo, s13
	v_perm_b32 v35, v35, v30, 0x3020104
	s_waitcnt lgkmcnt(0)
	v_add_nc_u32_e32 v3, v55, v3
	v_and_b32_e32 v25, 0xff, v25
	s_add_i32 s16, s16, -1
	s_delay_alu instid0(SALU_CYCLE_1) | instskip(SKIP_3) | instid1(VALU_DEP_1)
	s_cmp_eq_u32 s16, 0
	v_cndmask_b32_e64 v30, v30, v35, s2
	ds_bpermute_b32 v3, v20, v3
	v_perm_b32 v34, v34, v30, 0x3020104
	v_cndmask_b32_e64 v30, v30, v34, s1
	s_delay_alu instid0(VALU_DEP_1) | instskip(NEXT) | instid1(VALU_DEP_1)
	v_perm_b32 v33, v33, v30, 0x3020104
	v_cndmask_b32_e64 v30, v30, v33, s0
	s_waitcnt lgkmcnt(0)
	v_cndmask_b32_e32 v3, v3, v55, vcc_lo
	s_delay_alu instid0(VALU_DEP_2) | instskip(NEXT) | instid1(VALU_DEP_2)
	v_perm_b32 v31, v30, v31, 0x7060004
	v_cndmask_b32_e64 v3, v3, 0, s11
	s_delay_alu instid0(VALU_DEP_2) | instskip(NEXT) | instid1(VALU_DEP_2)
	v_cndmask_b32_e64 v30, v30, v31, s3
	v_add_nc_u32_e32 v4, v3, v4
	s_delay_alu instid0(VALU_DEP_2) | instskip(NEXT) | instid1(VALU_DEP_2)
	v_perm_b32 v31, v30, v32, 0x7060004
	v_add_nc_u32_e32 v5, v4, v5
	s_delay_alu instid0(VALU_DEP_2) | instskip(NEXT) | instid1(VALU_DEP_2)
	v_cndmask_b32_e64 v30, v30, v31, s2
	v_add_nc_u32_e32 v6, v5, v6
	s_delay_alu instid0(VALU_DEP_2) | instskip(NEXT) | instid1(VALU_DEP_1)
	v_perm_b32 v28, v30, v28, 0x7060004
	v_cndmask_b32_e64 v28, v30, v28, s1
	v_lshlrev_b16 v30, 8, v37
	s_delay_alu instid0(VALU_DEP_2) | instskip(NEXT) | instid1(VALU_DEP_1)
	v_perm_b32 v27, v28, v27, 0x7060004
	v_cndmask_b32_e64 v27, v28, v27, s0
	s_delay_alu instid0(VALU_DEP_1) | instskip(NEXT) | instid1(VALU_DEP_1)
	v_lshrrev_b32_e32 v28, 16, v27
	v_and_b32_e32 v28, 0xffffff00, v28
	s_delay_alu instid0(VALU_DEP_1) | instskip(SKIP_1) | instid1(VALU_DEP_2)
	v_or_b32_e32 v25, v25, v28
	v_and_b32_e32 v28, 0xff, v43
	v_lshlrev_b32_e32 v25, 16, v25
	s_delay_alu instid0(VALU_DEP_1) | instskip(NEXT) | instid1(VALU_DEP_1)
	v_and_or_b32 v25, 0xffff, v27, v25
	v_cndmask_b32_e64 v25, v27, v25, s3
	s_delay_alu instid0(VALU_DEP_1) | instskip(NEXT) | instid1(VALU_DEP_1)
	v_lshrrev_b32_e32 v27, 16, v25
	v_and_b32_e32 v27, 0xffffff00, v27
	s_delay_alu instid0(VALU_DEP_1) | instskip(SKIP_1) | instid1(VALU_DEP_2)
	v_or_b32_e32 v27, v28, v27
	v_and_b32_e32 v28, 0xff, v42
	v_lshlrev_b32_e32 v27, 16, v27
	s_delay_alu instid0(VALU_DEP_1) | instskip(NEXT) | instid1(VALU_DEP_1)
	v_and_or_b32 v27, 0xffff, v25, v27
	;; [unrolled: 10-line block ×3, first 2 shown]
	v_cndmask_b32_e64 v25, v25, v27, s1
	s_delay_alu instid0(VALU_DEP_1) | instskip(NEXT) | instid1(VALU_DEP_1)
	v_lshrrev_b32_e32 v27, 16, v25
	v_and_b32_e32 v27, 0xffffff00, v27
	s_delay_alu instid0(VALU_DEP_1) | instskip(SKIP_1) | instid1(VALU_DEP_2)
	v_or_b32_e32 v27, v28, v27
	v_lshlrev_b16 v28, 8, v40
	v_lshlrev_b32_e32 v27, 16, v27
	s_delay_alu instid0(VALU_DEP_1) | instskip(NEXT) | instid1(VALU_DEP_1)
	v_and_or_b32 v27, 0xffff, v25, v27
	v_cndmask_b32_e64 v25, v25, v27, s0
	s_delay_alu instid0(VALU_DEP_1) | instskip(NEXT) | instid1(VALU_DEP_1)
	v_lshrrev_b32_e32 v27, 16, v25
	v_and_b32_e32 v27, 0xff, v27
	s_delay_alu instid0(VALU_DEP_1) | instskip(SKIP_1) | instid1(VALU_DEP_2)
	v_or_b32_e32 v27, v27, v28
	v_lshlrev_b16 v28, 8, v39
	v_lshlrev_b32_e32 v27, 16, v27
	s_delay_alu instid0(VALU_DEP_1) | instskip(NEXT) | instid1(VALU_DEP_1)
	v_and_or_b32 v27, 0xffff, v25, v27
	v_cndmask_b32_e64 v25, v25, v27, s3
	s_delay_alu instid0(VALU_DEP_1) | instskip(NEXT) | instid1(VALU_DEP_1)
	v_lshrrev_b32_e32 v27, 16, v25
	v_and_b32_e32 v27, 0xff, v27
	s_delay_alu instid0(VALU_DEP_1) | instskip(NEXT) | instid1(VALU_DEP_1)
	v_or_b32_e32 v27, v27, v28
	v_lshlrev_b32_e32 v27, 16, v27
	s_delay_alu instid0(VALU_DEP_1) | instskip(NEXT) | instid1(VALU_DEP_1)
	v_and_or_b32 v27, 0xffff, v25, v27
	v_cndmask_b32_e64 v25, v25, v27, s2
	v_add_nc_u32_e32 v27, v6, v7
	s_delay_alu instid0(VALU_DEP_2) | instskip(NEXT) | instid1(VALU_DEP_2)
	v_lshrrev_b32_e32 v7, 16, v25
	v_add_nc_u32_e32 v28, v27, v0
	s_delay_alu instid0(VALU_DEP_2) | instskip(NEXT) | instid1(VALU_DEP_2)
	v_and_b32_e32 v7, 0xff, v7
	v_add_nc_u32_e32 v0, v28, v1
	s_delay_alu instid0(VALU_DEP_2) | instskip(NEXT) | instid1(VALU_DEP_2)
	v_or_b32_e32 v7, v7, v30
	v_add_nc_u32_e32 v1, v0, v2
	ds_store_2addr_b64 v17, v[3:4], v[5:6] offset0:8 offset1:9
	ds_store_2addr_b64 v18, v[27:28], v[0:1] offset0:2 offset1:3
	v_lshlrev_b32_e32 v2, 16, v7
	s_waitcnt lgkmcnt(0)
	s_barrier
	buffer_gl0_inv
	v_lshlrev_b16 v6, 8, v26
	v_and_or_b32 v0, 0xffff, v25, v2
	ds_load_b32 v1, v36
	ds_load_b32 v2, v46
	;; [unrolled: 1-line block ×4, first 2 shown]
	s_waitcnt lgkmcnt(0)
	s_barrier
	v_cndmask_b32_e64 v0, v25, v0, s1
	buffer_gl0_inv
	v_lshrrev_b32_e32 v5, 16, v0
	s_delay_alu instid0(VALU_DEP_1) | instskip(SKIP_1) | instid1(VALU_DEP_2)
	v_and_b32_e32 v5, 0xff, v5
	v_add_nc_u32_e32 v1, v1, v29
	v_or_b32_e32 v5, v5, v6
	v_add3_u32 v2, v45, v44, v2
	v_add3_u32 v4, v53, v52, v4
	;; [unrolled: 1-line block ×3, first 2 shown]
	ds_store_b8 v1, v24
	ds_store_b8 v2, v38
	;; [unrolled: 1-line block ×3, first 2 shown]
	v_lshlrev_b32_e32 v5, 16, v5
	ds_store_b8 v4, v51
	s_waitcnt lgkmcnt(0)
	s_barrier
	buffer_gl0_inv
	v_and_or_b32 v5, 0xffff, v0, v5
	ds_load_u8 v7, v8
	ds_load_u8 v6, v8 offset:512
	ds_load_u8 v25, v8 offset:1024
	;; [unrolled: 1-line block ×3, first 2 shown]
	s_waitcnt lgkmcnt(0)
	s_barrier
	buffer_gl0_inv
	v_cndmask_b32_e64 v0, v0, v5, s0
	s_delay_alu instid0(VALU_DEP_1)
	v_lshrrev_b32_e32 v5, 8, v0
	v_lshrrev_b32_e32 v24, 24, v0
	ds_store_b8 v1, v0
	ds_store_b8 v2, v5
	ds_store_b8_d16_hi v3, v0
	ds_store_b8 v4, v24
	s_waitcnt lgkmcnt(0)
	s_barrier
	buffer_gl0_inv
	ds_load_u8 v2, v8 offset:512
	ds_load_u8 v3, v8 offset:1536
	ds_load_u8 v5, v8
	ds_load_u8 v4, v8 offset:1024
	v_xor_b32_e32 v6, 0xffffff80, v6
	v_xor_b32_e32 v24, 0xffffff80, v7
	;; [unrolled: 1-line block ×4, first 2 shown]
	s_delay_alu instid0(VALU_DEP_4) | instskip(NEXT) | instid1(VALU_DEP_4)
	v_lshlrev_b16 v0, 8, v6
	v_and_b32_e32 v1, 0xff, v24
	s_delay_alu instid0(VALU_DEP_4) | instskip(NEXT) | instid1(VALU_DEP_4)
	v_lshlrev_b16 v26, 8, v7
	v_and_b32_e32 v27, 0xff, v25
	s_delay_alu instid0(VALU_DEP_3) | instskip(NEXT) | instid1(VALU_DEP_2)
	v_or_b32_e32 v0, v1, v0
	v_or_b32_e32 v1, v27, v26
	s_waitcnt lgkmcnt(3)
	v_lshlrev_b16 v28, 8, v2
	s_waitcnt lgkmcnt(2)
	v_lshlrev_b16 v29, 8, v3
	v_and_b32_e32 v0, 0xffff, v0
	v_lshlrev_b32_e32 v1, 16, v1
	s_waitcnt lgkmcnt(1)
	v_or_b32_e32 v26, v5, v28
	s_waitcnt lgkmcnt(0)
	v_or_b32_e32 v27, v4, v29
	v_or_b32_e32 v1, v0, v1
	s_delay_alu instid0(VALU_DEP_3) | instskip(NEXT) | instid1(VALU_DEP_3)
	v_and_b32_e32 v26, 0xffff, v26
	v_lshlrev_b32_e32 v27, 16, v27
	s_delay_alu instid0(VALU_DEP_1)
	v_or_b32_e32 v0, v26, v27
	s_cbranch_scc1 .LBB285_16
.LBB285_2:                              ; =>This Inner Loop Header: Depth=1
	v_lshrrev_b32_e32 v2, 8, v1
	v_xor_b32_e32 v3, 0x80, v1
	v_lshrrev_b32_e32 v4, 16, v1
	v_lshrrev_b32_e32 v1, 24, v1
	s_delay_alu instid0(VALU_DEP_4) | instskip(NEXT) | instid1(VALU_DEP_4)
	v_xor_b32_e32 v2, 0x80, v2
	v_and_b32_e32 v3, 0xff, v3
	s_delay_alu instid0(VALU_DEP_4) | instskip(NEXT) | instid1(VALU_DEP_4)
	v_xor_b32_e32 v4, 0x80, v4
	v_xor_b32_e32 v1, 0x80, v1
	s_barrier
	v_and_b32_e32 v2, 0xff, v2
	ds_bpermute_b32 v5, v13, v3
	v_and_b32_e32 v4, 0xff, v4
	v_and_b32_e32 v1, 0xffff, v1
	s_waitcnt lgkmcnt(0)
	buffer_gl0_inv
	ds_bpermute_b32 v6, v13, v2
	ds_store_2addr_b64 v17, v[9:10], v[11:12] offset0:8 offset1:9
	ds_store_2addr_b64 v18, v[9:10], v[11:12] offset0:2 offset1:3
	ds_bpermute_b32 v7, v13, v4
	ds_bpermute_b32 v24, v13, v1
	s_waitcnt lgkmcnt(0)
	s_barrier
	buffer_gl0_inv
	; wave barrier
	v_perm_b32 v6, v6, v5, 0x3020104
	s_delay_alu instid0(VALU_DEP_1) | instskip(SKIP_2) | instid1(VALU_DEP_1)
	v_cndmask_b32_e64 v5, v5, v6, s2
	ds_bpermute_b32 v6, v14, v3
	v_perm_b32 v7, v7, v5, 0x3020104
	v_cndmask_b32_e64 v5, v5, v7, s1
	s_delay_alu instid0(VALU_DEP_1) | instskip(SKIP_4) | instid1(VALU_DEP_2)
	v_perm_b32 v7, v24, v5, 0x3020104
	ds_bpermute_b32 v24, v14, v2
	v_cndmask_b32_e64 v5, v5, v7, s0
	s_waitcnt lgkmcnt(1)
	v_lshlrev_b16 v6, 8, v6
	v_and_b32_e32 v7, 0xff, v5
	s_delay_alu instid0(VALU_DEP_1) | instskip(NEXT) | instid1(VALU_DEP_1)
	v_or_b32_e32 v6, v7, v6
	v_and_b32_e32 v6, 0xffff, v6
	s_delay_alu instid0(VALU_DEP_1) | instskip(NEXT) | instid1(VALU_DEP_1)
	v_and_or_b32 v6, 0xffff0000, v5, v6
	v_cndmask_b32_e64 v5, v5, v6, s3
	s_waitcnt lgkmcnt(0)
	v_lshlrev_b16 v6, 8, v24
	ds_bpermute_b32 v24, v14, v4
	v_and_b32_e32 v7, 0xff, v5
	s_delay_alu instid0(VALU_DEP_1) | instskip(NEXT) | instid1(VALU_DEP_1)
	v_or_b32_e32 v6, v7, v6
	v_and_b32_e32 v6, 0xffff, v6
	s_delay_alu instid0(VALU_DEP_1) | instskip(NEXT) | instid1(VALU_DEP_1)
	v_and_or_b32 v6, 0xffff0000, v5, v6
	v_cndmask_b32_e64 v5, v5, v6, s2
	s_waitcnt lgkmcnt(0)
	v_lshlrev_b16 v6, 8, v24
	ds_bpermute_b32 v24, v14, v1
	v_and_b32_e32 v7, 0xff, v5
	s_delay_alu instid0(VALU_DEP_1) | instskip(NEXT) | instid1(VALU_DEP_1)
	v_or_b32_e32 v6, v7, v6
	v_and_b32_e32 v6, 0xffff, v6
	s_delay_alu instid0(VALU_DEP_1) | instskip(NEXT) | instid1(VALU_DEP_1)
	v_and_or_b32 v6, 0xffff0000, v5, v6
	v_cndmask_b32_e64 v5, v5, v6, s1
	s_waitcnt lgkmcnt(0)
	v_lshlrev_b16 v6, 8, v24
	s_delay_alu instid0(VALU_DEP_2) | instskip(NEXT) | instid1(VALU_DEP_1)
	v_and_b32_e32 v7, 0xff, v5
	v_or_b32_e32 v6, v7, v6
	ds_bpermute_b32 v7, v15, v3
	ds_bpermute_b32 v3, v16, v3
	v_and_b32_e32 v6, 0xffff, v6
	s_delay_alu instid0(VALU_DEP_1) | instskip(NEXT) | instid1(VALU_DEP_1)
	v_and_or_b32 v6, 0xffff0000, v5, v6
	v_cndmask_b32_e64 v5, v5, v6, s0
	s_delay_alu instid0(VALU_DEP_1)
	v_lshrrev_b32_e32 v6, 16, v5
	s_waitcnt lgkmcnt(1)
	v_and_b32_e32 v7, 0xff, v7
	s_waitcnt lgkmcnt(0)
	v_lshlrev_b16 v3, 8, v3
	v_and_b32_e32 v6, 0xffffff00, v6
	s_delay_alu instid0(VALU_DEP_1) | instskip(SKIP_3) | instid1(VALU_DEP_1)
	v_or_b32_e32 v6, v7, v6
	ds_bpermute_b32 v7, v15, v2
	ds_bpermute_b32 v2, v16, v2
	v_lshlrev_b32_e32 v6, 16, v6
	v_and_or_b32 v6, 0xffff, v5, v6
	s_delay_alu instid0(VALU_DEP_1) | instskip(NEXT) | instid1(VALU_DEP_1)
	v_cndmask_b32_e64 v5, v5, v6, s3
	v_lshrrev_b32_e32 v6, 16, v5
	s_waitcnt lgkmcnt(1)
	v_and_b32_e32 v7, 0xff, v7
	s_waitcnt lgkmcnt(0)
	v_lshlrev_b16 v2, 8, v2
	v_and_b32_e32 v6, 0xffffff00, v6
	s_delay_alu instid0(VALU_DEP_1) | instskip(SKIP_3) | instid1(VALU_DEP_1)
	v_or_b32_e32 v6, v7, v6
	ds_bpermute_b32 v7, v15, v4
	ds_bpermute_b32 v4, v16, v4
	v_lshlrev_b32_e32 v6, 16, v6
	v_and_or_b32 v6, 0xffff, v5, v6
	s_delay_alu instid0(VALU_DEP_1) | instskip(NEXT) | instid1(VALU_DEP_1)
	v_cndmask_b32_e64 v5, v5, v6, s2
	;; [unrolled: 14-line block ×3, first 2 shown]
	v_lshrrev_b32_e32 v6, 16, v5
	s_waitcnt lgkmcnt(1)
	v_and_b32_e32 v7, 0xff, v7
	s_waitcnt lgkmcnt(0)
	v_lshlrev_b16 v1, 8, v1
	v_and_b32_e32 v6, 0xffffff00, v6
	s_delay_alu instid0(VALU_DEP_1) | instskip(NEXT) | instid1(VALU_DEP_1)
	v_or_b32_e32 v6, v7, v6
	v_lshlrev_b32_e32 v6, 16, v6
	s_delay_alu instid0(VALU_DEP_1) | instskip(NEXT) | instid1(VALU_DEP_1)
	v_and_or_b32 v6, 0xffff, v5, v6
	v_cndmask_b32_e64 v5, v5, v6, s0
	s_delay_alu instid0(VALU_DEP_1) | instskip(NEXT) | instid1(VALU_DEP_1)
	v_lshrrev_b32_e32 v6, 16, v5
	v_and_b32_e32 v6, 0xff, v6
	s_delay_alu instid0(VALU_DEP_1) | instskip(NEXT) | instid1(VALU_DEP_1)
	v_or_b32_e32 v3, v6, v3
	v_lshlrev_b32_e32 v3, 16, v3
	s_delay_alu instid0(VALU_DEP_1) | instskip(NEXT) | instid1(VALU_DEP_1)
	v_and_or_b32 v3, 0xffff, v5, v3
	v_cndmask_b32_e64 v3, v5, v3, s3
	s_delay_alu instid0(VALU_DEP_1) | instskip(NEXT) | instid1(VALU_DEP_1)
	v_lshrrev_b32_e32 v5, 16, v3
	v_and_b32_e32 v5, 0xff, v5
	s_delay_alu instid0(VALU_DEP_1) | instskip(SKIP_1) | instid1(VALU_DEP_2)
	v_or_b32_e32 v2, v5, v2
	v_bfe_u32 v5, v0, 16, 8
	v_lshlrev_b32_e32 v2, 16, v2
	ds_bpermute_b32 v34, v13, v5
	ds_bpermute_b32 v28, v14, v5
	;; [unrolled: 1-line block ×3, first 2 shown]
	v_and_or_b32 v2, 0xffff, v3, v2
	s_delay_alu instid0(VALU_DEP_1) | instskip(NEXT) | instid1(VALU_DEP_1)
	v_cndmask_b32_e64 v2, v3, v2, s2
	v_lshrrev_b32_e32 v3, 16, v2
	s_delay_alu instid0(VALU_DEP_1) | instskip(NEXT) | instid1(VALU_DEP_1)
	v_and_b32_e32 v3, 0xff, v3
	v_or_b32_e32 v3, v3, v4
	v_bfe_u32 v4, v0, 8, 8
	s_delay_alu instid0(VALU_DEP_2)
	v_lshlrev_b32_e32 v3, 16, v3
	ds_bpermute_b32 v35, v13, v4
	ds_bpermute_b32 v32, v14, v4
	ds_bpermute_b32 v43, v15, v4
	ds_bpermute_b32 v39, v16, v4
	v_and_or_b32 v3, 0xffff, v2, v3
	s_delay_alu instid0(VALU_DEP_1) | instskip(NEXT) | instid1(VALU_DEP_1)
	v_cndmask_b32_e64 v2, v2, v3, s1
	v_lshrrev_b32_e32 v3, 16, v2
	s_delay_alu instid0(VALU_DEP_1) | instskip(NEXT) | instid1(VALU_DEP_1)
	v_and_b32_e32 v3, 0xff, v3
	v_or_b32_e32 v1, v3, v1
	v_and_b32_e32 v3, 0xff, v0
	v_lshrrev_b32_e32 v0, 24, v0
	s_delay_alu instid0(VALU_DEP_3)
	v_lshlrev_b32_e32 v1, 16, v1
	ds_bpermute_b32 v30, v13, v3
	ds_bpermute_b32 v31, v14, v3
	ds_bpermute_b32 v25, v15, v3
	ds_bpermute_b32 v40, v16, v3
	v_and_or_b32 v1, 0xffff, v2, v1
	ds_bpermute_b32 v33, v13, v0
	ds_bpermute_b32 v27, v14, v0
	ds_bpermute_b32 v41, v15, v0
	v_cndmask_b32_e64 v24, v2, v1, s0
	s_delay_alu instid0(VALU_DEP_1)
	v_and_b32_e32 v1, 1, v24
	v_lshlrev_b32_e32 v2, 30, v24
	v_lshlrev_b32_e32 v6, 29, v24
	;; [unrolled: 1-line block ×4, first 2 shown]
	v_add_co_u32 v1, s13, v1, -1
	s_delay_alu instid0(VALU_DEP_1)
	v_cndmask_b32_e64 v26, 0, 1, s13
	v_not_b32_e32 v38, v2
	v_cmp_gt_i32_e64 s14, 0, v2
	v_not_b32_e32 v2, v6
	v_lshlrev_b32_e32 v36, 26, v24
	v_cmp_ne_u32_e64 s13, 0, v26
	v_ashrrev_i32_e32 v38, 31, v38
	v_lshlrev_b32_e32 v37, 25, v24
	v_ashrrev_i32_e32 v2, 31, v2
	v_lshlrev_b32_e32 v26, 24, v24
	v_xor_b32_e32 v1, s13, v1
	v_cmp_gt_i32_e64 s13, 0, v6
	v_not_b32_e32 v6, v7
	v_xor_b32_e32 v38, s14, v38
	v_cmp_gt_i32_e64 s14, 0, v7
	v_and_b32_e32 v1, exec_lo, v1
	v_not_b32_e32 v7, v29
	v_ashrrev_i32_e32 v6, 31, v6
	v_xor_b32_e32 v2, s13, v2
	v_cmp_gt_i32_e64 s13, 0, v29
	v_and_b32_e32 v1, v1, v38
	v_not_b32_e32 v29, v36
	v_ashrrev_i32_e32 v7, 31, v7
	v_xor_b32_e32 v6, s14, v6
	v_cmp_gt_i32_e64 s14, 0, v36
	v_and_b32_e32 v1, v1, v2
	;; [unrolled: 5-line block ×4, first 2 shown]
	v_ashrrev_i32_e32 v6, 31, v6
	v_xor_b32_e32 v2, s13, v2
	ds_bpermute_b32 v37, v16, v5
	ds_bpermute_b32 v26, v16, v0
	v_and_b32_e32 v1, v1, v29
	v_xor_b32_e32 v3, s14, v6
	s_delay_alu instid0(VALU_DEP_2) | instskip(NEXT) | instid1(VALU_DEP_1)
	v_and_b32_e32 v1, v1, v2
	v_and_b32_e32 v0, v1, v3
	;; [unrolled: 1-line block ×3, first 2 shown]
	s_delay_alu instid0(VALU_DEP_2) | instskip(NEXT) | instid1(VALU_DEP_2)
	v_mbcnt_lo_u32_b32 v29, v0, 0
	v_lshl_add_u32 v1, v1, 4, v22
	v_cmp_ne_u32_e64 s14, 0, v0
	s_delay_alu instid0(VALU_DEP_3) | instskip(NEXT) | instid1(VALU_DEP_3)
	v_cmp_eq_u32_e64 s13, 0, v29
	v_lshl_add_u32 v36, v1, 2, 64
	s_delay_alu instid0(VALU_DEP_2) | instskip(NEXT) | instid1(SALU_CYCLE_1)
	s_and_b32 s14, s14, s13
	s_and_saveexec_b32 s13, s14
	s_cbranch_execz .LBB285_4
; %bb.3:                                ;   in Loop: Header=BB285_2 Depth=1
	v_bcnt_u32_b32 v0, v0, 0
	ds_store_b32 v36, v0
.LBB285_4:                              ;   in Loop: Header=BB285_2 Depth=1
	s_or_b32 exec_lo, exec_lo, s13
	v_bfe_u32 v0, v24, 8, 1
	v_lshrrev_b32_e32 v38, 8, v24
	; wave barrier
	s_delay_alu instid0(VALU_DEP_2) | instskip(NEXT) | instid1(VALU_DEP_1)
	v_add_co_u32 v0, s13, v0, -1
	v_cndmask_b32_e64 v1, 0, 1, s13
	s_delay_alu instid0(VALU_DEP_3)
	v_lshlrev_b32_e32 v2, 30, v38
	v_lshlrev_b32_e32 v3, 29, v38
	;; [unrolled: 1-line block ×4, first 2 shown]
	v_cmp_ne_u32_e64 s13, 0, v1
	v_not_b32_e32 v1, v2
	v_cmp_gt_i32_e64 s14, 0, v2
	v_not_b32_e32 v2, v3
	v_lshlrev_b32_e32 v6, 26, v38
	v_xor_b32_e32 v0, s13, v0
	v_ashrrev_i32_e32 v1, 31, v1
	v_cmp_gt_i32_e64 s13, 0, v3
	v_not_b32_e32 v3, v4
	v_ashrrev_i32_e32 v2, 31, v2
	v_and_b32_e32 v0, exec_lo, v0
	v_xor_b32_e32 v1, s14, v1
	v_cmp_gt_i32_e64 s14, 0, v4
	v_not_b32_e32 v4, v5
	v_ashrrev_i32_e32 v3, 31, v3
	v_xor_b32_e32 v2, s13, v2
	v_and_b32_e32 v0, v0, v1
	v_cmp_gt_i32_e64 s13, 0, v5
	v_not_b32_e32 v1, v6
	v_ashrrev_i32_e32 v4, 31, v4
	v_xor_b32_e32 v3, s14, v3
	v_and_b32_e32 v0, v0, v2
	v_lshlrev_b32_e32 v2, 25, v38
	v_cmp_gt_i32_e64 s14, 0, v6
	v_ashrrev_i32_e32 v1, 31, v1
	v_xor_b32_e32 v4, s13, v4
	v_and_b32_e32 v0, v0, v3
	v_not_b32_e32 v5, v2
	v_lshlrev_b32_e32 v6, 24, v38
	v_lshrrev_b32_e32 v3, 4, v24
	v_xor_b32_e32 v1, s14, v1
	v_and_b32_e32 v0, v0, v4
	v_cmp_gt_i32_e64 s13, 0, v2
	v_ashrrev_i32_e32 v2, 31, v5
	v_not_b32_e32 v4, v6
	v_and_b32_e32 v3, 0xff0, v3
	v_and_b32_e32 v0, v0, v1
	s_delay_alu instid0(VALU_DEP_4) | instskip(SKIP_3) | instid1(VALU_DEP_4)
	v_xor_b32_e32 v1, s13, v2
	v_cmp_gt_i32_e64 s13, 0, v6
	v_ashrrev_i32_e32 v2, 31, v4
	v_add_lshl_u32 v3, v22, v3, 2
	v_and_b32_e32 v0, v0, v1
	s_delay_alu instid0(VALU_DEP_3) | instskip(SKIP_3) | instid1(VALU_DEP_1)
	v_xor_b32_e32 v1, s13, v2
	ds_load_b32 v44, v3 offset:64
	v_add_nc_u32_e32 v46, 64, v3
	; wave barrier
	v_and_b32_e32 v0, v0, v1
	v_mbcnt_lo_u32_b32 v45, v0, 0
	v_cmp_ne_u32_e64 s14, 0, v0
	s_delay_alu instid0(VALU_DEP_2) | instskip(NEXT) | instid1(VALU_DEP_1)
	v_cmp_eq_u32_e64 s13, 0, v45
	s_and_b32 s14, s14, s13
	s_delay_alu instid0(SALU_CYCLE_1)
	s_and_saveexec_b32 s13, s14
	s_cbranch_execz .LBB285_6
; %bb.5:                                ;   in Loop: Header=BB285_2 Depth=1
	s_waitcnt lgkmcnt(0)
	v_bcnt_u32_b32 v0, v0, v44
	ds_store_b32 v46, v0
.LBB285_6:                              ;   in Loop: Header=BB285_2 Depth=1
	s_or_b32 exec_lo, exec_lo, s13
	v_bfe_u32 v0, v24, 16, 1
	v_lshrrev_b32_e32 v47, 16, v24
	; wave barrier
	s_delay_alu instid0(VALU_DEP_2) | instskip(NEXT) | instid1(VALU_DEP_1)
	v_add_co_u32 v0, s13, v0, -1
	v_cndmask_b32_e64 v1, 0, 1, s13
	s_delay_alu instid0(VALU_DEP_3)
	v_lshlrev_b32_e32 v2, 30, v47
	v_lshlrev_b32_e32 v3, 29, v47
	;; [unrolled: 1-line block ×4, first 2 shown]
	v_cmp_ne_u32_e64 s13, 0, v1
	v_not_b32_e32 v1, v2
	v_cmp_gt_i32_e64 s14, 0, v2
	v_not_b32_e32 v2, v3
	v_lshlrev_b32_e32 v6, 26, v47
	v_xor_b32_e32 v0, s13, v0
	v_ashrrev_i32_e32 v1, 31, v1
	v_cmp_gt_i32_e64 s13, 0, v3
	v_not_b32_e32 v3, v4
	v_ashrrev_i32_e32 v2, 31, v2
	v_and_b32_e32 v0, exec_lo, v0
	v_xor_b32_e32 v1, s14, v1
	v_cmp_gt_i32_e64 s14, 0, v4
	v_not_b32_e32 v4, v5
	v_ashrrev_i32_e32 v3, 31, v3
	v_xor_b32_e32 v2, s13, v2
	v_and_b32_e32 v0, v0, v1
	v_cmp_gt_i32_e64 s13, 0, v5
	v_not_b32_e32 v1, v6
	v_ashrrev_i32_e32 v4, 31, v4
	v_xor_b32_e32 v3, s14, v3
	v_and_b32_e32 v0, v0, v2
	v_lshlrev_b32_e32 v2, 25, v47
	v_cmp_gt_i32_e64 s14, 0, v6
	v_ashrrev_i32_e32 v1, 31, v1
	v_xor_b32_e32 v4, s13, v4
	v_and_b32_e32 v0, v0, v3
	v_not_b32_e32 v5, v2
	v_lshlrev_b32_e32 v6, 24, v47
	v_lshrrev_b32_e32 v3, 12, v24
	v_xor_b32_e32 v1, s14, v1
	v_and_b32_e32 v0, v0, v4
	v_cmp_gt_i32_e64 s13, 0, v2
	v_ashrrev_i32_e32 v2, 31, v5
	v_not_b32_e32 v4, v6
	v_and_b32_e32 v3, 0xff0, v3
	v_and_b32_e32 v0, v0, v1
	s_delay_alu instid0(VALU_DEP_4) | instskip(SKIP_3) | instid1(VALU_DEP_4)
	v_xor_b32_e32 v1, s13, v2
	v_cmp_gt_i32_e64 s13, 0, v6
	v_ashrrev_i32_e32 v2, 31, v4
	v_add_lshl_u32 v3, v22, v3, 2
	v_and_b32_e32 v0, v0, v1
	s_delay_alu instid0(VALU_DEP_3) | instskip(SKIP_3) | instid1(VALU_DEP_1)
	v_xor_b32_e32 v1, s13, v2
	ds_load_b32 v48, v3 offset:64
	v_add_nc_u32_e32 v50, 64, v3
	; wave barrier
	v_and_b32_e32 v0, v0, v1
	v_mbcnt_lo_u32_b32 v49, v0, 0
	v_cmp_ne_u32_e64 s14, 0, v0
	s_delay_alu instid0(VALU_DEP_2) | instskip(NEXT) | instid1(VALU_DEP_1)
	v_cmp_eq_u32_e64 s13, 0, v49
	s_and_b32 s14, s14, s13
	s_delay_alu instid0(SALU_CYCLE_1)
	s_and_saveexec_b32 s13, s14
	s_cbranch_execz .LBB285_8
; %bb.7:                                ;   in Loop: Header=BB285_2 Depth=1
	s_waitcnt lgkmcnt(0)
	v_bcnt_u32_b32 v0, v0, v48
	ds_store_b32 v50, v0
.LBB285_8:                              ;   in Loop: Header=BB285_2 Depth=1
	s_or_b32 exec_lo, exec_lo, s13
	v_bfe_u32 v0, v24, 24, 1
	v_lshrrev_b32_e32 v51, 24, v24
	; wave barrier
	s_delay_alu instid0(VALU_DEP_2) | instskip(NEXT) | instid1(VALU_DEP_1)
	v_add_co_u32 v0, s13, v0, -1
	v_cndmask_b32_e64 v1, 0, 1, s13
	s_delay_alu instid0(VALU_DEP_3)
	v_lshlrev_b32_e32 v2, 30, v51
	v_lshlrev_b32_e32 v3, 29, v51
	;; [unrolled: 1-line block ×4, first 2 shown]
	v_cmp_ne_u32_e64 s13, 0, v1
	v_not_b32_e32 v1, v2
	v_cmp_gt_i32_e64 s14, 0, v2
	v_not_b32_e32 v2, v3
	v_lshlrev_b32_e32 v6, 26, v51
	v_xor_b32_e32 v0, s13, v0
	v_ashrrev_i32_e32 v1, 31, v1
	v_cmp_gt_i32_e64 s13, 0, v3
	v_not_b32_e32 v3, v4
	v_ashrrev_i32_e32 v2, 31, v2
	v_and_b32_e32 v0, exec_lo, v0
	v_xor_b32_e32 v1, s14, v1
	v_cmp_gt_i32_e64 s14, 0, v4
	v_not_b32_e32 v4, v5
	v_ashrrev_i32_e32 v3, 31, v3
	v_xor_b32_e32 v2, s13, v2
	v_and_b32_e32 v0, v0, v1
	v_lshlrev_b32_e32 v1, 25, v51
	v_cmp_gt_i32_e64 s13, 0, v5
	v_ashrrev_i32_e32 v4, 31, v4
	v_xor_b32_e32 v3, s14, v3
	v_and_b32_e32 v0, v0, v2
	v_not_b32_e32 v5, v6
	v_not_b32_e32 v7, v1
	v_xor_b32_e32 v4, s13, v4
	v_cmp_gt_i32_e64 s13, 0, v6
	v_and_b32_e32 v0, v0, v3
	v_ashrrev_i32_e32 v3, 31, v5
	v_and_b32_e32 v2, 0xff000000, v24
	v_cmp_gt_i32_e64 s14, 0, v1
	v_ashrrev_i32_e32 v1, 31, v7
	v_and_b32_e32 v0, v0, v4
	v_not_b32_e32 v4, v24
	v_xor_b32_e32 v3, s13, v3
	v_lshlrev_b32_e32 v5, 4, v51
	v_xor_b32_e32 v1, s14, v1
	v_cmp_gt_i32_e64 s13, 0, v2
	v_ashrrev_i32_e32 v2, 31, v4
	v_and_b32_e32 v0, v0, v3
	v_add_lshl_u32 v3, v22, v5, 2
	s_delay_alu instid0(VALU_DEP_3) | instskip(NEXT) | instid1(VALU_DEP_3)
	v_xor_b32_e32 v2, s13, v2
	v_and_b32_e32 v0, v0, v1
	ds_load_b32 v52, v3 offset:64
	v_add_nc_u32_e32 v54, 64, v3
	; wave barrier
	v_and_b32_e32 v0, v0, v2
	s_delay_alu instid0(VALU_DEP_1) | instskip(SKIP_1) | instid1(VALU_DEP_2)
	v_mbcnt_lo_u32_b32 v53, v0, 0
	v_cmp_ne_u32_e64 s14, 0, v0
	v_cmp_eq_u32_e64 s13, 0, v53
	s_delay_alu instid0(VALU_DEP_1) | instskip(NEXT) | instid1(SALU_CYCLE_1)
	s_and_b32 s14, s14, s13
	s_and_saveexec_b32 s13, s14
	s_cbranch_execz .LBB285_10
; %bb.9:                                ;   in Loop: Header=BB285_2 Depth=1
	s_waitcnt lgkmcnt(0)
	v_bcnt_u32_b32 v0, v0, v52
	ds_store_b32 v54, v0
.LBB285_10:                             ;   in Loop: Header=BB285_2 Depth=1
	s_or_b32 exec_lo, exec_lo, s13
	; wave barrier
	s_waitcnt lgkmcnt(0)
	s_barrier
	buffer_gl0_inv
	ds_load_2addr_b64 v[4:7], v17 offset0:8 offset1:9
	ds_load_2addr_b64 v[0:3], v18 offset0:2 offset1:3
	s_waitcnt lgkmcnt(1)
	v_add_nc_u32_e32 v55, v5, v4
	s_delay_alu instid0(VALU_DEP_1) | instskip(SKIP_1) | instid1(VALU_DEP_1)
	v_add3_u32 v55, v55, v6, v7
	s_waitcnt lgkmcnt(0)
	v_add3_u32 v55, v55, v0, v1
	s_delay_alu instid0(VALU_DEP_1) | instskip(NEXT) | instid1(VALU_DEP_1)
	v_add3_u32 v3, v55, v2, v3
	v_mov_b32_dpp v55, v3 row_shr:1 row_mask:0xf bank_mask:0xf
	s_delay_alu instid0(VALU_DEP_1) | instskip(NEXT) | instid1(VALU_DEP_1)
	v_cndmask_b32_e64 v55, v55, 0, s4
	v_add_nc_u32_e32 v3, v55, v3
	s_delay_alu instid0(VALU_DEP_1) | instskip(NEXT) | instid1(VALU_DEP_1)
	v_mov_b32_dpp v55, v3 row_shr:2 row_mask:0xf bank_mask:0xf
	v_cndmask_b32_e64 v55, 0, v55, s5
	s_delay_alu instid0(VALU_DEP_1) | instskip(NEXT) | instid1(VALU_DEP_1)
	v_add_nc_u32_e32 v3, v3, v55
	v_mov_b32_dpp v55, v3 row_shr:4 row_mask:0xf bank_mask:0xf
	s_delay_alu instid0(VALU_DEP_1) | instskip(NEXT) | instid1(VALU_DEP_1)
	v_cndmask_b32_e64 v55, 0, v55, s6
	v_add_nc_u32_e32 v3, v3, v55
	s_delay_alu instid0(VALU_DEP_1) | instskip(NEXT) | instid1(VALU_DEP_1)
	v_mov_b32_dpp v55, v3 row_shr:8 row_mask:0xf bank_mask:0xf
	v_cndmask_b32_e64 v55, 0, v55, s7
	s_delay_alu instid0(VALU_DEP_1) | instskip(SKIP_3) | instid1(VALU_DEP_1)
	v_add_nc_u32_e32 v3, v3, v55
	ds_swizzle_b32 v55, v3 offset:swizzle(BROADCAST,32,15)
	s_waitcnt lgkmcnt(0)
	v_cndmask_b32_e64 v55, v55, 0, s8
	v_add_nc_u32_e32 v3, v3, v55
	s_and_saveexec_b32 s13, s12
	s_cbranch_execz .LBB285_12
; %bb.11:                               ;   in Loop: Header=BB285_2 Depth=1
	ds_store_b32 v19, v3
.LBB285_12:                             ;   in Loop: Header=BB285_2 Depth=1
	s_or_b32 exec_lo, exec_lo, s13
	s_waitcnt lgkmcnt(0)
	s_barrier
	buffer_gl0_inv
	s_and_saveexec_b32 s13, s9
	s_cbranch_execz .LBB285_14
; %bb.13:                               ;   in Loop: Header=BB285_2 Depth=1
	ds_load_b32 v55, v23
	s_waitcnt lgkmcnt(0)
	v_mov_b32_dpp v56, v55 row_shr:1 row_mask:0xf bank_mask:0xf
	s_delay_alu instid0(VALU_DEP_1) | instskip(NEXT) | instid1(VALU_DEP_1)
	v_cndmask_b32_e64 v56, v56, 0, s4
	v_add_nc_u32_e32 v55, v56, v55
	s_delay_alu instid0(VALU_DEP_1) | instskip(NEXT) | instid1(VALU_DEP_1)
	v_mov_b32_dpp v56, v55 row_shr:2 row_mask:0xf bank_mask:0xf
	v_cndmask_b32_e64 v56, 0, v56, s5
	s_delay_alu instid0(VALU_DEP_1) | instskip(NEXT) | instid1(VALU_DEP_1)
	v_add_nc_u32_e32 v55, v55, v56
	v_mov_b32_dpp v56, v55 row_shr:4 row_mask:0xf bank_mask:0xf
	s_delay_alu instid0(VALU_DEP_1) | instskip(NEXT) | instid1(VALU_DEP_1)
	v_cndmask_b32_e64 v56, 0, v56, s6
	v_add_nc_u32_e32 v55, v55, v56
	s_delay_alu instid0(VALU_DEP_1) | instskip(NEXT) | instid1(VALU_DEP_1)
	v_mov_b32_dpp v56, v55 row_shr:8 row_mask:0xf bank_mask:0xf
	v_cndmask_b32_e64 v56, 0, v56, s7
	s_delay_alu instid0(VALU_DEP_1)
	v_add_nc_u32_e32 v55, v55, v56
	ds_store_b32 v23, v55
.LBB285_14:                             ;   in Loop: Header=BB285_2 Depth=1
	s_or_b32 exec_lo, exec_lo, s13
	v_mov_b32_e32 v55, 0
	s_waitcnt lgkmcnt(0)
	s_barrier
	buffer_gl0_inv
	s_and_saveexec_b32 s13, s10
	s_cbranch_execz .LBB285_1
; %bb.15:                               ;   in Loop: Header=BB285_2 Depth=1
	ds_load_b32 v55, v21
	s_branch .LBB285_1
.LBB285_16:
	v_add_nc_u16 v0, v24, v5
	v_add_nc_u16 v1, v6, v2
	;; [unrolled: 1-line block ×3, first 2 shown]
	s_add_u32 s0, s18, s15
	v_add_nc_u16 v3, v7, v3
	s_addc_u32 s1, s19, 0
	s_clause 0x3
	global_store_b8 v8, v0, s[0:1]
	global_store_b8 v8, v1, s[0:1] offset:512
	global_store_b8 v8, v2, s[0:1] offset:1024
	;; [unrolled: 1-line block ×3, first 2 shown]
	s_nop 0
	s_sendmsg sendmsg(MSG_DEALLOC_VGPRS)
	s_endpgm
	.section	.rodata,"a",@progbits
	.p2align	6, 0x0
	.amdhsa_kernel _Z17sort_pairs_kernelI22helper_blocked_stripedaLj512ELj4ELj10EEvPKT0_PS1_
		.amdhsa_group_segment_fixed_size 16448
		.amdhsa_private_segment_fixed_size 0
		.amdhsa_kernarg_size 272
		.amdhsa_user_sgpr_count 15
		.amdhsa_user_sgpr_dispatch_ptr 0
		.amdhsa_user_sgpr_queue_ptr 0
		.amdhsa_user_sgpr_kernarg_segment_ptr 1
		.amdhsa_user_sgpr_dispatch_id 0
		.amdhsa_user_sgpr_private_segment_size 0
		.amdhsa_wavefront_size32 1
		.amdhsa_uses_dynamic_stack 0
		.amdhsa_enable_private_segment 0
		.amdhsa_system_sgpr_workgroup_id_x 1
		.amdhsa_system_sgpr_workgroup_id_y 0
		.amdhsa_system_sgpr_workgroup_id_z 0
		.amdhsa_system_sgpr_workgroup_info 0
		.amdhsa_system_vgpr_workitem_id 2
		.amdhsa_next_free_vgpr 57
		.amdhsa_next_free_sgpr 20
		.amdhsa_reserve_vcc 1
		.amdhsa_float_round_mode_32 0
		.amdhsa_float_round_mode_16_64 0
		.amdhsa_float_denorm_mode_32 3
		.amdhsa_float_denorm_mode_16_64 3
		.amdhsa_dx10_clamp 1
		.amdhsa_ieee_mode 1
		.amdhsa_fp16_overflow 0
		.amdhsa_workgroup_processor_mode 1
		.amdhsa_memory_ordered 1
		.amdhsa_forward_progress 0
		.amdhsa_shared_vgpr_count 0
		.amdhsa_exception_fp_ieee_invalid_op 0
		.amdhsa_exception_fp_denorm_src 0
		.amdhsa_exception_fp_ieee_div_zero 0
		.amdhsa_exception_fp_ieee_overflow 0
		.amdhsa_exception_fp_ieee_underflow 0
		.amdhsa_exception_fp_ieee_inexact 0
		.amdhsa_exception_int_div_zero 0
	.end_amdhsa_kernel
	.section	.text._Z17sort_pairs_kernelI22helper_blocked_stripedaLj512ELj4ELj10EEvPKT0_PS1_,"axG",@progbits,_Z17sort_pairs_kernelI22helper_blocked_stripedaLj512ELj4ELj10EEvPKT0_PS1_,comdat
.Lfunc_end285:
	.size	_Z17sort_pairs_kernelI22helper_blocked_stripedaLj512ELj4ELj10EEvPKT0_PS1_, .Lfunc_end285-_Z17sort_pairs_kernelI22helper_blocked_stripedaLj512ELj4ELj10EEvPKT0_PS1_
                                        ; -- End function
	.section	.AMDGPU.csdata,"",@progbits
; Kernel info:
; codeLenInByte = 4792
; NumSgprs: 22
; NumVgprs: 57
; ScratchSize: 0
; MemoryBound: 0
; FloatMode: 240
; IeeeMode: 1
; LDSByteSize: 16448 bytes/workgroup (compile time only)
; SGPRBlocks: 2
; VGPRBlocks: 7
; NumSGPRsForWavesPerEU: 22
; NumVGPRsForWavesPerEU: 57
; Occupancy: 16
; WaveLimiterHint : 1
; COMPUTE_PGM_RSRC2:SCRATCH_EN: 0
; COMPUTE_PGM_RSRC2:USER_SGPR: 15
; COMPUTE_PGM_RSRC2:TRAP_HANDLER: 0
; COMPUTE_PGM_RSRC2:TGID_X_EN: 1
; COMPUTE_PGM_RSRC2:TGID_Y_EN: 0
; COMPUTE_PGM_RSRC2:TGID_Z_EN: 0
; COMPUTE_PGM_RSRC2:TIDIG_COMP_CNT: 2
	.section	.text._Z16sort_keys_kernelI22helper_blocked_stripedaLj512ELj8ELj10EEvPKT0_PS1_,"axG",@progbits,_Z16sort_keys_kernelI22helper_blocked_stripedaLj512ELj8ELj10EEvPKT0_PS1_,comdat
	.protected	_Z16sort_keys_kernelI22helper_blocked_stripedaLj512ELj8ELj10EEvPKT0_PS1_ ; -- Begin function _Z16sort_keys_kernelI22helper_blocked_stripedaLj512ELj8ELj10EEvPKT0_PS1_
	.globl	_Z16sort_keys_kernelI22helper_blocked_stripedaLj512ELj8ELj10EEvPKT0_PS1_
	.p2align	8
	.type	_Z16sort_keys_kernelI22helper_blocked_stripedaLj512ELj8ELj10EEvPKT0_PS1_,@function
_Z16sort_keys_kernelI22helper_blocked_stripedaLj512ELj8ELj10EEvPKT0_PS1_: ; @_Z16sort_keys_kernelI22helper_blocked_stripedaLj512ELj8ELj10EEvPKT0_PS1_
; %bb.0:
	s_clause 0x1
	s_load_b128 s[16:19], s[0:1], 0x0
	s_load_b32 s2, s[0:1], 0x1c
	s_mov_b32 s12, 0
	s_lshl_b32 s11, s15, 12
	s_mov_b32 s13, s12
	v_and_b32_e32 v8, 0x3ff, v0
	v_bfe_u32 v3, v0, 10, 10
	v_bfe_u32 v0, v0, 20, 10
	v_mbcnt_lo_u32_b32 v6, -1, 0
	s_mov_b32 s14, s12
	v_lshlrev_b32_e32 v5, 3, v8
	s_mov_b32 s15, s12
	v_and_b32_e32 v7, 0x1e0, v8
	v_dual_mov_b32 v11, s14 :: v_dual_mov_b32 v12, s15
	v_cmp_eq_u32_e64 s7, 0, v6
	s_delay_alu instid0(VALU_DEP_3) | instskip(SKIP_3) | instid1(VALU_DEP_1)
	v_or_b32_e32 v9, v6, v7
	s_waitcnt lgkmcnt(0)
	s_add_u32 s0, s16, s11
	s_addc_u32 s1, s17, 0
	v_lshlrev_b32_e32 v14, 3, v9
	global_load_b64 v[1:2], v5, s[0:1]
	s_lshr_b32 s0, s2, 16
	s_delay_alu instid0(SALU_CYCLE_1)
	v_mad_u32_u24 v0, v0, s0, v3
	s_and_b32 s0, s2, 0xffff
	s_delay_alu instid0(VALU_DEP_1) | instid1(SALU_CYCLE_1)
	v_mad_u64_u32 v[3:4], null, v0, s0, v[8:9]
	v_and_b32_e32 v0, 15, v6
	v_dual_mov_b32 v9, s12 :: v_dual_add_nc_u32 v4, -1, v6
	v_lshlrev_b32_e32 v13, 5, v8
	v_cmp_gt_u32_e64 s5, 16, v8
	s_delay_alu instid0(VALU_DEP_4)
	v_cmp_eq_u32_e32 vcc_lo, 0, v0
	v_lshrrev_b32_e32 v17, 5, v3
	v_and_b32_e32 v3, 16, v6
	v_cmp_lt_u32_e64 s0, 1, v0
	v_cmp_lt_u32_e64 s1, 3, v0
	;; [unrolled: 1-line block ×3, first 2 shown]
	v_or_b32_e32 v0, 31, v7
	v_cmp_eq_u32_e64 s3, 0, v3
	v_lshrrev_b32_e32 v3, 3, v8
	v_cmp_gt_i32_e64 s4, 0, v4
	v_add_nc_u32_e32 v16, 64, v13
	v_cmp_lt_u32_e64 s6, 31, v8
	v_cmp_eq_u32_e64 s8, 0, v8
	v_and_b32_e32 v18, 60, v3
	v_cndmask_b32_e64 v4, v4, v6, s4
	v_cmp_eq_u32_e64 s4, v0, v8
	v_mul_u32_u24_e32 v0, 3, v8
	v_mov_b32_e32 v10, s13
	v_and_or_b32 v15, 0xf00, v5, v6
	v_lshlrev_b32_e32 v19, 2, v4
	v_add_nc_u32_e32 v20, -4, v18
	v_add_nc_u32_e32 v21, v8, v0
	s_mov_b32 s12, 10
	s_branch .LBB286_2
.LBB286_1:                              ;   in Loop: Header=BB286_2 Depth=1
	s_or_b32 exec_lo, exec_lo, s9
	s_waitcnt lgkmcnt(0)
	v_add_nc_u32_e32 v3, v53, v3
	s_add_i32 s12, s12, -1
	s_delay_alu instid0(SALU_CYCLE_1) | instskip(SKIP_3) | instid1(VALU_DEP_1)
	s_cmp_eq_u32 s12, 0
	ds_bpermute_b32 v3, v19, v3
	s_waitcnt lgkmcnt(0)
	v_cndmask_b32_e64 v3, v3, v53, s7
	v_cndmask_b32_e64 v3, v3, 0, s8
	s_delay_alu instid0(VALU_DEP_1) | instskip(NEXT) | instid1(VALU_DEP_1)
	v_add_nc_u32_e32 v4, v3, v4
	v_add_nc_u32_e32 v5, v4, v5
	s_delay_alu instid0(VALU_DEP_1) | instskip(NEXT) | instid1(VALU_DEP_1)
	v_add_nc_u32_e32 v6, v5, v6
	v_add_nc_u32_e32 v53, v6, v7
	;; [unrolled: 3-line block ×3, first 2 shown]
	s_delay_alu instid0(VALU_DEP_1)
	v_add_nc_u32_e32 v1, v0, v2
	ds_store_2addr_b64 v13, v[3:4], v[5:6] offset0:8 offset1:9
	ds_store_2addr_b64 v16, v[53:54], v[0:1] offset0:2 offset1:3
	s_waitcnt lgkmcnt(0)
	s_barrier
	buffer_gl0_inv
	ds_load_b32 v0, v31
	ds_load_b32 v1, v34
	ds_load_b32 v2, v37
	ds_load_b32 v3, v40
	ds_load_b32 v4, v43
	ds_load_b32 v5, v46
	ds_load_b32 v6, v49
	ds_load_b32 v7, v52
	s_waitcnt lgkmcnt(0)
	s_barrier
	buffer_gl0_inv
	v_add_nc_u32_e32 v0, v0, v30
	v_add3_u32 v1, v33, v32, v1
	v_add3_u32 v2, v36, v35, v2
	;; [unrolled: 1-line block ×7, first 2 shown]
	ds_store_b8 v0, v22
	ds_store_b8 v1, v23
	;; [unrolled: 1-line block ×8, first 2 shown]
	s_waitcnt lgkmcnt(0)
	s_barrier
	buffer_gl0_inv
	ds_load_u8 v0, v8
	ds_load_u8 v1, v8 offset:512
	ds_load_u8 v2, v8 offset:1024
	;; [unrolled: 1-line block ×7, first 2 shown]
	s_waitcnt lgkmcnt(7)
	v_xor_b32_e32 v0, 0xffffff80, v0
	s_waitcnt lgkmcnt(6)
	v_xor_b32_e32 v3, 0xffffff80, v1
	;; [unrolled: 2-line block ×8, first 2 shown]
	v_lshlrev_b16 v1, 8, v3
	v_and_b32_e32 v2, 0xff, v0
	v_lshlrev_b16 v24, 8, v5
	v_and_b32_e32 v25, 0xff, v4
	v_lshlrev_b16 v26, 8, v7
	v_and_b32_e32 v27, 0xff, v6
	v_lshlrev_b16 v28, 8, v23
	v_and_b32_e32 v29, 0xff, v22
	v_or_b32_e32 v1, v2, v1
	v_or_b32_e32 v2, v25, v24
	;; [unrolled: 1-line block ×3, first 2 shown]
	s_delay_alu instid0(VALU_DEP_4) | instskip(NEXT) | instid1(VALU_DEP_4)
	v_or_b32_e32 v25, v29, v28
	v_and_b32_e32 v1, 0xffff, v1
	s_delay_alu instid0(VALU_DEP_4) | instskip(NEXT) | instid1(VALU_DEP_4)
	v_lshlrev_b32_e32 v2, 16, v2
	v_and_b32_e32 v24, 0xffff, v24
	s_delay_alu instid0(VALU_DEP_4) | instskip(NEXT) | instid1(VALU_DEP_3)
	v_lshlrev_b32_e32 v25, 16, v25
	v_or_b32_e32 v1, v1, v2
	s_delay_alu instid0(VALU_DEP_2)
	v_or_b32_e32 v2, v24, v25
	s_cbranch_scc1 .LBB286_24
.LBB286_2:                              ; =>This Inner Loop Header: Depth=1
	s_waitcnt vmcnt(0)
	s_delay_alu instid0(VALU_DEP_1)
	v_lshrrev_b32_e32 v0, 16, v2
	v_lshrrev_b32_e32 v3, 16, v1
	v_xor_b32_e32 v4, 0x80, v2
	v_and_b32_e32 v5, 0xffffff00, v1
	v_xor_b32_e32 v1, 0x80, v1
	v_xor_b32_e32 v6, 0x80, v0
	;; [unrolled: 1-line block ×3, first 2 shown]
	v_and_b32_e32 v2, 0xffffff00, v2
	v_and_b32_e32 v4, 0xff, v4
	;; [unrolled: 1-line block ×7, first 2 shown]
	v_or_b32_e32 v2, v4, v2
	v_or_b32_e32 v0, v6, v0
	;; [unrolled: 1-line block ×3, first 2 shown]
	s_delay_alu instid0(VALU_DEP_4) | instskip(NEXT) | instid1(VALU_DEP_4)
	v_or_b32_e32 v3, v7, v3
	v_add_nc_u16 v2, v2, 0x8000
	s_delay_alu instid0(VALU_DEP_4) | instskip(NEXT) | instid1(VALU_DEP_4)
	v_add_nc_u16 v0, v0, 0x8000
	v_add_nc_u16 v1, v1, 0x8000
	s_delay_alu instid0(VALU_DEP_4) | instskip(NEXT) | instid1(VALU_DEP_4)
	v_add_nc_u16 v3, v3, 0x8000
	v_and_b32_e32 v2, 0xffff, v2
	s_delay_alu instid0(VALU_DEP_4) | instskip(NEXT) | instid1(VALU_DEP_4)
	v_lshlrev_b32_e32 v0, 16, v0
	v_and_b32_e32 v4, 0xffff, v1
	s_delay_alu instid0(VALU_DEP_4) | instskip(NEXT) | instid1(VALU_DEP_3)
	v_lshlrev_b32_e32 v3, 16, v3
	v_or_b32_e32 v1, v2, v0
	s_delay_alu instid0(VALU_DEP_2)
	v_or_b32_e32 v0, v4, v3
	ds_store_b64 v14, v[0:1]
	; wave barrier
	ds_load_u8 v22, v15
	ds_load_u8 v23, v15 offset:32
	ds_load_u8 v24, v15 offset:64
	;; [unrolled: 1-line block ×7, first 2 shown]
	; wave barrier
	; wave barrier
	s_waitcnt lgkmcnt(0)
	s_barrier
	buffer_gl0_inv
	ds_store_2addr_b64 v13, v[9:10], v[11:12] offset0:8 offset1:9
	ds_store_2addr_b64 v16, v[9:10], v[11:12] offset0:2 offset1:3
	s_waitcnt lgkmcnt(0)
	s_barrier
	buffer_gl0_inv
	v_and_b32_e32 v0, 1, v22
	v_lshlrev_b32_e32 v1, 30, v22
	v_lshlrev_b32_e32 v2, 29, v22
	;; [unrolled: 1-line block ×4, first 2 shown]
	v_add_co_u32 v0, s9, v0, -1
	s_delay_alu instid0(VALU_DEP_1)
	v_cndmask_b32_e64 v4, 0, 1, s9
	v_not_b32_e32 v30, v1
	v_cmp_gt_i32_e64 s10, 0, v1
	v_not_b32_e32 v1, v2
	v_lshlrev_b32_e32 v6, 26, v22
	v_cmp_ne_u32_e64 s9, 0, v4
	v_ashrrev_i32_e32 v30, 31, v30
	v_lshlrev_b32_e32 v7, 25, v22
	v_ashrrev_i32_e32 v1, 31, v1
	v_lshlrev_b32_e32 v4, 24, v22
	v_xor_b32_e32 v0, s9, v0
	v_cmp_gt_i32_e64 s9, 0, v2
	v_not_b32_e32 v2, v3
	v_xor_b32_e32 v30, s10, v30
	v_cmp_gt_i32_e64 s10, 0, v3
	v_and_b32_e32 v0, exec_lo, v0
	v_not_b32_e32 v3, v5
	v_ashrrev_i32_e32 v2, 31, v2
	v_xor_b32_e32 v1, s9, v1
	v_cmp_gt_i32_e64 s9, 0, v5
	v_and_b32_e32 v0, v0, v30
	v_not_b32_e32 v5, v6
	v_ashrrev_i32_e32 v3, 31, v3
	v_xor_b32_e32 v2, s10, v2
	v_cmp_gt_i32_e64 s10, 0, v6
	v_and_b32_e32 v0, v0, v1
	;; [unrolled: 5-line block ×4, first 2 shown]
	v_ashrrev_i32_e32 v2, 31, v2
	v_xor_b32_e32 v1, s9, v1
	; wave barrier
	s_delay_alu instid0(VALU_DEP_3) | instskip(NEXT) | instid1(VALU_DEP_3)
	v_and_b32_e32 v0, v0, v5
	v_xor_b32_e32 v2, s10, v2
	s_delay_alu instid0(VALU_DEP_2) | instskip(SKIP_1) | instid1(VALU_DEP_2)
	v_and_b32_e32 v0, v0, v1
	v_and_b32_e32 v1, 0xff, v22
	;; [unrolled: 1-line block ×3, first 2 shown]
	s_delay_alu instid0(VALU_DEP_2) | instskip(NEXT) | instid1(VALU_DEP_2)
	v_lshl_add_u32 v1, v1, 4, v17
	v_mbcnt_lo_u32_b32 v30, v0, 0
	v_cmp_ne_u32_e64 s10, 0, v0
	s_delay_alu instid0(VALU_DEP_3) | instskip(NEXT) | instid1(VALU_DEP_3)
	v_lshl_add_u32 v31, v1, 2, 64
	v_cmp_eq_u32_e64 s9, 0, v30
	s_delay_alu instid0(VALU_DEP_1) | instskip(NEXT) | instid1(SALU_CYCLE_1)
	s_and_b32 s10, s10, s9
	s_and_saveexec_b32 s9, s10
	s_cbranch_execz .LBB286_4
; %bb.3:                                ;   in Loop: Header=BB286_2 Depth=1
	v_bcnt_u32_b32 v0, v0, 0
	ds_store_b32 v31, v0
.LBB286_4:                              ;   in Loop: Header=BB286_2 Depth=1
	s_or_b32 exec_lo, exec_lo, s9
	v_and_b32_e32 v0, 1, v23
	v_lshlrev_b32_e32 v2, 30, v23
	v_lshlrev_b32_e32 v4, 29, v23
	;; [unrolled: 1-line block ×4, first 2 shown]
	v_add_co_u32 v0, s9, v0, -1
	s_delay_alu instid0(VALU_DEP_1)
	v_cndmask_b32_e64 v3, 0, 1, s9
	v_not_b32_e32 v7, v2
	v_cmp_gt_i32_e64 s10, 0, v2
	v_not_b32_e32 v2, v4
	v_and_b32_e32 v1, 0xff, v23
	v_cmp_ne_u32_e64 s9, 0, v3
	v_ashrrev_i32_e32 v7, 31, v7
	v_lshlrev_b32_e32 v3, 26, v23
	v_ashrrev_i32_e32 v2, 31, v2
	v_lshlrev_b32_e32 v1, 4, v1
	v_xor_b32_e32 v0, s9, v0
	v_cmp_gt_i32_e64 s9, 0, v4
	v_not_b32_e32 v4, v5
	v_xor_b32_e32 v7, s10, v7
	v_cmp_gt_i32_e64 s10, 0, v5
	v_and_b32_e32 v0, exec_lo, v0
	v_not_b32_e32 v5, v6
	v_ashrrev_i32_e32 v4, 31, v4
	v_xor_b32_e32 v2, s9, v2
	v_cmp_gt_i32_e64 s9, 0, v6
	v_and_b32_e32 v0, v0, v7
	v_lshlrev_b32_e32 v7, 25, v23
	v_ashrrev_i32_e32 v5, 31, v5
	v_xor_b32_e32 v4, s10, v4
	v_not_b32_e32 v6, v3
	v_and_b32_e32 v0, v0, v2
	v_lshlrev_b32_e32 v2, 24, v23
	v_not_b32_e32 v32, v7
	v_xor_b32_e32 v5, s9, v5
	v_cmp_gt_i32_e64 s9, 0, v3
	v_and_b32_e32 v0, v0, v4
	v_ashrrev_i32_e32 v3, 31, v6
	v_cmp_gt_i32_e64 s10, 0, v7
	v_ashrrev_i32_e32 v4, 31, v32
	v_add_lshl_u32 v1, v17, v1, 2
	v_and_b32_e32 v0, v0, v5
	v_not_b32_e32 v5, v2
	v_xor_b32_e32 v3, s9, v3
	v_xor_b32_e32 v4, s10, v4
	v_cmp_gt_i32_e64 s9, 0, v2
	s_delay_alu instid0(VALU_DEP_4) | instskip(NEXT) | instid1(VALU_DEP_4)
	v_ashrrev_i32_e32 v2, 31, v5
	v_and_b32_e32 v0, v0, v3
	; wave barrier
	ds_load_b32 v32, v1 offset:64
	v_add_nc_u32_e32 v34, 64, v1
	v_xor_b32_e32 v2, s9, v2
	v_and_b32_e32 v0, v0, v4
	; wave barrier
	s_delay_alu instid0(VALU_DEP_1) | instskip(NEXT) | instid1(VALU_DEP_1)
	v_and_b32_e32 v0, v0, v2
	v_mbcnt_lo_u32_b32 v33, v0, 0
	v_cmp_ne_u32_e64 s10, 0, v0
	s_delay_alu instid0(VALU_DEP_2) | instskip(NEXT) | instid1(VALU_DEP_1)
	v_cmp_eq_u32_e64 s9, 0, v33
	s_and_b32 s10, s10, s9
	s_delay_alu instid0(SALU_CYCLE_1)
	s_and_saveexec_b32 s9, s10
	s_cbranch_execz .LBB286_6
; %bb.5:                                ;   in Loop: Header=BB286_2 Depth=1
	s_waitcnt lgkmcnt(0)
	v_bcnt_u32_b32 v0, v0, v32
	ds_store_b32 v34, v0
.LBB286_6:                              ;   in Loop: Header=BB286_2 Depth=1
	s_or_b32 exec_lo, exec_lo, s9
	v_and_b32_e32 v0, 1, v24
	v_lshlrev_b32_e32 v2, 30, v24
	v_lshlrev_b32_e32 v4, 29, v24
	;; [unrolled: 1-line block ×4, first 2 shown]
	v_add_co_u32 v0, s9, v0, -1
	s_delay_alu instid0(VALU_DEP_1)
	v_cndmask_b32_e64 v3, 0, 1, s9
	v_not_b32_e32 v7, v2
	v_cmp_gt_i32_e64 s10, 0, v2
	v_not_b32_e32 v2, v4
	v_and_b32_e32 v1, 0xff, v24
	v_cmp_ne_u32_e64 s9, 0, v3
	v_ashrrev_i32_e32 v7, 31, v7
	v_lshlrev_b32_e32 v3, 26, v24
	v_ashrrev_i32_e32 v2, 31, v2
	v_lshlrev_b32_e32 v1, 4, v1
	v_xor_b32_e32 v0, s9, v0
	v_cmp_gt_i32_e64 s9, 0, v4
	v_not_b32_e32 v4, v5
	v_xor_b32_e32 v7, s10, v7
	v_cmp_gt_i32_e64 s10, 0, v5
	v_and_b32_e32 v0, exec_lo, v0
	v_not_b32_e32 v5, v6
	v_ashrrev_i32_e32 v4, 31, v4
	v_xor_b32_e32 v2, s9, v2
	v_cmp_gt_i32_e64 s9, 0, v6
	v_and_b32_e32 v0, v0, v7
	v_lshlrev_b32_e32 v7, 25, v24
	v_ashrrev_i32_e32 v5, 31, v5
	v_xor_b32_e32 v4, s10, v4
	v_not_b32_e32 v6, v3
	v_and_b32_e32 v0, v0, v2
	v_lshlrev_b32_e32 v2, 24, v24
	v_not_b32_e32 v35, v7
	v_xor_b32_e32 v5, s9, v5
	v_cmp_gt_i32_e64 s9, 0, v3
	v_and_b32_e32 v0, v0, v4
	v_ashrrev_i32_e32 v3, 31, v6
	v_cmp_gt_i32_e64 s10, 0, v7
	v_ashrrev_i32_e32 v4, 31, v35
	v_add_lshl_u32 v1, v17, v1, 2
	v_and_b32_e32 v0, v0, v5
	v_not_b32_e32 v5, v2
	v_xor_b32_e32 v3, s9, v3
	v_xor_b32_e32 v4, s10, v4
	v_cmp_gt_i32_e64 s9, 0, v2
	s_delay_alu instid0(VALU_DEP_4) | instskip(NEXT) | instid1(VALU_DEP_4)
	v_ashrrev_i32_e32 v2, 31, v5
	v_and_b32_e32 v0, v0, v3
	; wave barrier
	ds_load_b32 v35, v1 offset:64
	v_add_nc_u32_e32 v37, 64, v1
	v_xor_b32_e32 v2, s9, v2
	v_and_b32_e32 v0, v0, v4
	; wave barrier
	s_delay_alu instid0(VALU_DEP_1) | instskip(NEXT) | instid1(VALU_DEP_1)
	v_and_b32_e32 v0, v0, v2
	v_mbcnt_lo_u32_b32 v36, v0, 0
	v_cmp_ne_u32_e64 s10, 0, v0
	s_delay_alu instid0(VALU_DEP_2) | instskip(NEXT) | instid1(VALU_DEP_1)
	v_cmp_eq_u32_e64 s9, 0, v36
	s_and_b32 s10, s10, s9
	s_delay_alu instid0(SALU_CYCLE_1)
	s_and_saveexec_b32 s9, s10
	s_cbranch_execz .LBB286_8
; %bb.7:                                ;   in Loop: Header=BB286_2 Depth=1
	s_waitcnt lgkmcnt(0)
	v_bcnt_u32_b32 v0, v0, v35
	ds_store_b32 v37, v0
.LBB286_8:                              ;   in Loop: Header=BB286_2 Depth=1
	s_or_b32 exec_lo, exec_lo, s9
	v_and_b32_e32 v0, 1, v25
	v_lshlrev_b32_e32 v2, 30, v25
	v_lshlrev_b32_e32 v4, 29, v25
	;; [unrolled: 1-line block ×4, first 2 shown]
	v_add_co_u32 v0, s9, v0, -1
	s_delay_alu instid0(VALU_DEP_1)
	v_cndmask_b32_e64 v3, 0, 1, s9
	v_not_b32_e32 v7, v2
	v_cmp_gt_i32_e64 s10, 0, v2
	v_not_b32_e32 v2, v4
	v_and_b32_e32 v1, 0xff, v25
	v_cmp_ne_u32_e64 s9, 0, v3
	v_ashrrev_i32_e32 v7, 31, v7
	v_lshlrev_b32_e32 v3, 26, v25
	v_ashrrev_i32_e32 v2, 31, v2
	v_lshlrev_b32_e32 v1, 4, v1
	v_xor_b32_e32 v0, s9, v0
	v_cmp_gt_i32_e64 s9, 0, v4
	v_not_b32_e32 v4, v5
	v_xor_b32_e32 v7, s10, v7
	v_cmp_gt_i32_e64 s10, 0, v5
	v_and_b32_e32 v0, exec_lo, v0
	v_not_b32_e32 v5, v6
	v_ashrrev_i32_e32 v4, 31, v4
	v_xor_b32_e32 v2, s9, v2
	v_cmp_gt_i32_e64 s9, 0, v6
	v_and_b32_e32 v0, v0, v7
	v_lshlrev_b32_e32 v7, 25, v25
	v_ashrrev_i32_e32 v5, 31, v5
	v_xor_b32_e32 v4, s10, v4
	v_not_b32_e32 v6, v3
	v_and_b32_e32 v0, v0, v2
	v_lshlrev_b32_e32 v2, 24, v25
	v_not_b32_e32 v38, v7
	v_xor_b32_e32 v5, s9, v5
	v_cmp_gt_i32_e64 s9, 0, v3
	v_and_b32_e32 v0, v0, v4
	v_ashrrev_i32_e32 v3, 31, v6
	v_cmp_gt_i32_e64 s10, 0, v7
	v_ashrrev_i32_e32 v4, 31, v38
	v_add_lshl_u32 v1, v17, v1, 2
	v_and_b32_e32 v0, v0, v5
	v_not_b32_e32 v5, v2
	v_xor_b32_e32 v3, s9, v3
	v_xor_b32_e32 v4, s10, v4
	v_cmp_gt_i32_e64 s9, 0, v2
	s_delay_alu instid0(VALU_DEP_4) | instskip(NEXT) | instid1(VALU_DEP_4)
	v_ashrrev_i32_e32 v2, 31, v5
	v_and_b32_e32 v0, v0, v3
	; wave barrier
	ds_load_b32 v38, v1 offset:64
	v_add_nc_u32_e32 v40, 64, v1
	v_xor_b32_e32 v2, s9, v2
	v_and_b32_e32 v0, v0, v4
	; wave barrier
	s_delay_alu instid0(VALU_DEP_1) | instskip(NEXT) | instid1(VALU_DEP_1)
	v_and_b32_e32 v0, v0, v2
	v_mbcnt_lo_u32_b32 v39, v0, 0
	v_cmp_ne_u32_e64 s10, 0, v0
	s_delay_alu instid0(VALU_DEP_2) | instskip(NEXT) | instid1(VALU_DEP_1)
	v_cmp_eq_u32_e64 s9, 0, v39
	s_and_b32 s10, s10, s9
	s_delay_alu instid0(SALU_CYCLE_1)
	s_and_saveexec_b32 s9, s10
	s_cbranch_execz .LBB286_10
; %bb.9:                                ;   in Loop: Header=BB286_2 Depth=1
	s_waitcnt lgkmcnt(0)
	v_bcnt_u32_b32 v0, v0, v38
	ds_store_b32 v40, v0
.LBB286_10:                             ;   in Loop: Header=BB286_2 Depth=1
	s_or_b32 exec_lo, exec_lo, s9
	v_and_b32_e32 v0, 1, v26
	v_lshlrev_b32_e32 v2, 30, v26
	v_lshlrev_b32_e32 v4, 29, v26
	;; [unrolled: 1-line block ×4, first 2 shown]
	v_add_co_u32 v0, s9, v0, -1
	s_delay_alu instid0(VALU_DEP_1)
	v_cndmask_b32_e64 v3, 0, 1, s9
	v_not_b32_e32 v7, v2
	v_cmp_gt_i32_e64 s10, 0, v2
	v_not_b32_e32 v2, v4
	v_and_b32_e32 v1, 0xff, v26
	v_cmp_ne_u32_e64 s9, 0, v3
	v_ashrrev_i32_e32 v7, 31, v7
	v_lshlrev_b32_e32 v3, 26, v26
	v_ashrrev_i32_e32 v2, 31, v2
	v_lshlrev_b32_e32 v1, 4, v1
	v_xor_b32_e32 v0, s9, v0
	v_cmp_gt_i32_e64 s9, 0, v4
	v_not_b32_e32 v4, v5
	v_xor_b32_e32 v7, s10, v7
	v_cmp_gt_i32_e64 s10, 0, v5
	v_and_b32_e32 v0, exec_lo, v0
	v_not_b32_e32 v5, v6
	v_ashrrev_i32_e32 v4, 31, v4
	v_xor_b32_e32 v2, s9, v2
	v_cmp_gt_i32_e64 s9, 0, v6
	v_and_b32_e32 v0, v0, v7
	v_lshlrev_b32_e32 v7, 25, v26
	v_ashrrev_i32_e32 v5, 31, v5
	v_xor_b32_e32 v4, s10, v4
	v_not_b32_e32 v6, v3
	v_and_b32_e32 v0, v0, v2
	v_lshlrev_b32_e32 v2, 24, v26
	v_not_b32_e32 v41, v7
	v_xor_b32_e32 v5, s9, v5
	v_cmp_gt_i32_e64 s9, 0, v3
	v_and_b32_e32 v0, v0, v4
	v_ashrrev_i32_e32 v3, 31, v6
	v_cmp_gt_i32_e64 s10, 0, v7
	v_ashrrev_i32_e32 v4, 31, v41
	v_add_lshl_u32 v1, v17, v1, 2
	v_and_b32_e32 v0, v0, v5
	v_not_b32_e32 v5, v2
	v_xor_b32_e32 v3, s9, v3
	v_xor_b32_e32 v4, s10, v4
	v_cmp_gt_i32_e64 s9, 0, v2
	s_delay_alu instid0(VALU_DEP_4) | instskip(NEXT) | instid1(VALU_DEP_4)
	v_ashrrev_i32_e32 v2, 31, v5
	v_and_b32_e32 v0, v0, v3
	; wave barrier
	ds_load_b32 v41, v1 offset:64
	v_add_nc_u32_e32 v43, 64, v1
	v_xor_b32_e32 v2, s9, v2
	v_and_b32_e32 v0, v0, v4
	; wave barrier
	s_delay_alu instid0(VALU_DEP_1) | instskip(NEXT) | instid1(VALU_DEP_1)
	v_and_b32_e32 v0, v0, v2
	v_mbcnt_lo_u32_b32 v42, v0, 0
	v_cmp_ne_u32_e64 s10, 0, v0
	s_delay_alu instid0(VALU_DEP_2) | instskip(NEXT) | instid1(VALU_DEP_1)
	v_cmp_eq_u32_e64 s9, 0, v42
	s_and_b32 s10, s10, s9
	s_delay_alu instid0(SALU_CYCLE_1)
	s_and_saveexec_b32 s9, s10
	s_cbranch_execz .LBB286_12
; %bb.11:                               ;   in Loop: Header=BB286_2 Depth=1
	s_waitcnt lgkmcnt(0)
	v_bcnt_u32_b32 v0, v0, v41
	ds_store_b32 v43, v0
.LBB286_12:                             ;   in Loop: Header=BB286_2 Depth=1
	s_or_b32 exec_lo, exec_lo, s9
	v_and_b32_e32 v0, 1, v27
	v_lshlrev_b32_e32 v2, 30, v27
	v_lshlrev_b32_e32 v4, 29, v27
	;; [unrolled: 1-line block ×4, first 2 shown]
	v_add_co_u32 v0, s9, v0, -1
	s_delay_alu instid0(VALU_DEP_1)
	v_cndmask_b32_e64 v3, 0, 1, s9
	v_not_b32_e32 v7, v2
	v_cmp_gt_i32_e64 s10, 0, v2
	v_not_b32_e32 v2, v4
	v_and_b32_e32 v1, 0xff, v27
	v_cmp_ne_u32_e64 s9, 0, v3
	v_ashrrev_i32_e32 v7, 31, v7
	v_lshlrev_b32_e32 v3, 26, v27
	v_ashrrev_i32_e32 v2, 31, v2
	v_lshlrev_b32_e32 v1, 4, v1
	v_xor_b32_e32 v0, s9, v0
	v_cmp_gt_i32_e64 s9, 0, v4
	v_not_b32_e32 v4, v5
	v_xor_b32_e32 v7, s10, v7
	v_cmp_gt_i32_e64 s10, 0, v5
	v_and_b32_e32 v0, exec_lo, v0
	v_not_b32_e32 v5, v6
	v_ashrrev_i32_e32 v4, 31, v4
	v_xor_b32_e32 v2, s9, v2
	v_cmp_gt_i32_e64 s9, 0, v6
	v_and_b32_e32 v0, v0, v7
	v_lshlrev_b32_e32 v7, 25, v27
	v_ashrrev_i32_e32 v5, 31, v5
	v_xor_b32_e32 v4, s10, v4
	v_not_b32_e32 v6, v3
	v_and_b32_e32 v0, v0, v2
	v_lshlrev_b32_e32 v2, 24, v27
	v_not_b32_e32 v44, v7
	v_xor_b32_e32 v5, s9, v5
	v_cmp_gt_i32_e64 s9, 0, v3
	v_and_b32_e32 v0, v0, v4
	v_ashrrev_i32_e32 v3, 31, v6
	v_cmp_gt_i32_e64 s10, 0, v7
	v_ashrrev_i32_e32 v4, 31, v44
	v_add_lshl_u32 v1, v17, v1, 2
	v_and_b32_e32 v0, v0, v5
	v_not_b32_e32 v5, v2
	v_xor_b32_e32 v3, s9, v3
	v_xor_b32_e32 v4, s10, v4
	v_cmp_gt_i32_e64 s9, 0, v2
	s_delay_alu instid0(VALU_DEP_4) | instskip(NEXT) | instid1(VALU_DEP_4)
	v_ashrrev_i32_e32 v2, 31, v5
	v_and_b32_e32 v0, v0, v3
	; wave barrier
	ds_load_b32 v44, v1 offset:64
	v_add_nc_u32_e32 v46, 64, v1
	v_xor_b32_e32 v2, s9, v2
	v_and_b32_e32 v0, v0, v4
	; wave barrier
	s_delay_alu instid0(VALU_DEP_1) | instskip(NEXT) | instid1(VALU_DEP_1)
	v_and_b32_e32 v0, v0, v2
	v_mbcnt_lo_u32_b32 v45, v0, 0
	v_cmp_ne_u32_e64 s10, 0, v0
	s_delay_alu instid0(VALU_DEP_2) | instskip(NEXT) | instid1(VALU_DEP_1)
	v_cmp_eq_u32_e64 s9, 0, v45
	s_and_b32 s10, s10, s9
	s_delay_alu instid0(SALU_CYCLE_1)
	s_and_saveexec_b32 s9, s10
	s_cbranch_execz .LBB286_14
; %bb.13:                               ;   in Loop: Header=BB286_2 Depth=1
	s_waitcnt lgkmcnt(0)
	v_bcnt_u32_b32 v0, v0, v44
	ds_store_b32 v46, v0
.LBB286_14:                             ;   in Loop: Header=BB286_2 Depth=1
	s_or_b32 exec_lo, exec_lo, s9
	v_and_b32_e32 v0, 1, v28
	v_lshlrev_b32_e32 v2, 30, v28
	v_lshlrev_b32_e32 v4, 29, v28
	;; [unrolled: 1-line block ×4, first 2 shown]
	v_add_co_u32 v0, s9, v0, -1
	s_delay_alu instid0(VALU_DEP_1)
	v_cndmask_b32_e64 v3, 0, 1, s9
	v_not_b32_e32 v7, v2
	v_cmp_gt_i32_e64 s10, 0, v2
	v_not_b32_e32 v2, v4
	v_and_b32_e32 v1, 0xff, v28
	v_cmp_ne_u32_e64 s9, 0, v3
	v_ashrrev_i32_e32 v7, 31, v7
	v_lshlrev_b32_e32 v3, 26, v28
	v_ashrrev_i32_e32 v2, 31, v2
	v_lshlrev_b32_e32 v1, 4, v1
	v_xor_b32_e32 v0, s9, v0
	v_cmp_gt_i32_e64 s9, 0, v4
	v_not_b32_e32 v4, v5
	v_xor_b32_e32 v7, s10, v7
	v_cmp_gt_i32_e64 s10, 0, v5
	v_and_b32_e32 v0, exec_lo, v0
	v_not_b32_e32 v5, v6
	v_ashrrev_i32_e32 v4, 31, v4
	v_xor_b32_e32 v2, s9, v2
	v_cmp_gt_i32_e64 s9, 0, v6
	v_and_b32_e32 v0, v0, v7
	v_lshlrev_b32_e32 v7, 25, v28
	v_ashrrev_i32_e32 v5, 31, v5
	v_xor_b32_e32 v4, s10, v4
	v_not_b32_e32 v6, v3
	v_and_b32_e32 v0, v0, v2
	v_lshlrev_b32_e32 v2, 24, v28
	v_not_b32_e32 v47, v7
	v_xor_b32_e32 v5, s9, v5
	v_cmp_gt_i32_e64 s9, 0, v3
	v_and_b32_e32 v0, v0, v4
	v_ashrrev_i32_e32 v3, 31, v6
	v_cmp_gt_i32_e64 s10, 0, v7
	v_ashrrev_i32_e32 v4, 31, v47
	v_add_lshl_u32 v1, v17, v1, 2
	v_and_b32_e32 v0, v0, v5
	v_not_b32_e32 v5, v2
	v_xor_b32_e32 v3, s9, v3
	v_xor_b32_e32 v4, s10, v4
	v_cmp_gt_i32_e64 s9, 0, v2
	s_delay_alu instid0(VALU_DEP_4) | instskip(NEXT) | instid1(VALU_DEP_4)
	v_ashrrev_i32_e32 v2, 31, v5
	v_and_b32_e32 v0, v0, v3
	; wave barrier
	ds_load_b32 v47, v1 offset:64
	v_add_nc_u32_e32 v49, 64, v1
	v_xor_b32_e32 v2, s9, v2
	v_and_b32_e32 v0, v0, v4
	; wave barrier
	s_delay_alu instid0(VALU_DEP_1) | instskip(NEXT) | instid1(VALU_DEP_1)
	v_and_b32_e32 v0, v0, v2
	v_mbcnt_lo_u32_b32 v48, v0, 0
	v_cmp_ne_u32_e64 s10, 0, v0
	s_delay_alu instid0(VALU_DEP_2) | instskip(NEXT) | instid1(VALU_DEP_1)
	v_cmp_eq_u32_e64 s9, 0, v48
	s_and_b32 s10, s10, s9
	s_delay_alu instid0(SALU_CYCLE_1)
	s_and_saveexec_b32 s9, s10
	s_cbranch_execz .LBB286_16
; %bb.15:                               ;   in Loop: Header=BB286_2 Depth=1
	s_waitcnt lgkmcnt(0)
	v_bcnt_u32_b32 v0, v0, v47
	ds_store_b32 v49, v0
.LBB286_16:                             ;   in Loop: Header=BB286_2 Depth=1
	s_or_b32 exec_lo, exec_lo, s9
	v_and_b32_e32 v0, 1, v29
	v_lshlrev_b32_e32 v2, 30, v29
	v_lshlrev_b32_e32 v4, 29, v29
	;; [unrolled: 1-line block ×4, first 2 shown]
	v_add_co_u32 v0, s9, v0, -1
	s_delay_alu instid0(VALU_DEP_1)
	v_cndmask_b32_e64 v3, 0, 1, s9
	v_not_b32_e32 v7, v2
	v_cmp_gt_i32_e64 s10, 0, v2
	v_not_b32_e32 v2, v4
	v_and_b32_e32 v1, 0xff, v29
	v_cmp_ne_u32_e64 s9, 0, v3
	v_ashrrev_i32_e32 v7, 31, v7
	v_lshlrev_b32_e32 v3, 26, v29
	v_ashrrev_i32_e32 v2, 31, v2
	v_lshlrev_b32_e32 v1, 4, v1
	v_xor_b32_e32 v0, s9, v0
	v_cmp_gt_i32_e64 s9, 0, v4
	v_not_b32_e32 v4, v5
	v_xor_b32_e32 v7, s10, v7
	v_cmp_gt_i32_e64 s10, 0, v5
	v_and_b32_e32 v0, exec_lo, v0
	v_not_b32_e32 v5, v6
	v_ashrrev_i32_e32 v4, 31, v4
	v_xor_b32_e32 v2, s9, v2
	v_cmp_gt_i32_e64 s9, 0, v6
	v_and_b32_e32 v0, v0, v7
	v_lshlrev_b32_e32 v7, 25, v29
	v_ashrrev_i32_e32 v5, 31, v5
	v_xor_b32_e32 v4, s10, v4
	v_not_b32_e32 v6, v3
	v_and_b32_e32 v0, v0, v2
	v_lshlrev_b32_e32 v2, 24, v29
	v_not_b32_e32 v50, v7
	v_xor_b32_e32 v5, s9, v5
	v_cmp_gt_i32_e64 s9, 0, v3
	v_and_b32_e32 v0, v0, v4
	v_ashrrev_i32_e32 v3, 31, v6
	v_cmp_gt_i32_e64 s10, 0, v7
	v_ashrrev_i32_e32 v4, 31, v50
	v_add_lshl_u32 v1, v17, v1, 2
	v_and_b32_e32 v0, v0, v5
	v_not_b32_e32 v5, v2
	v_xor_b32_e32 v3, s9, v3
	v_xor_b32_e32 v4, s10, v4
	v_cmp_gt_i32_e64 s9, 0, v2
	s_delay_alu instid0(VALU_DEP_4) | instskip(NEXT) | instid1(VALU_DEP_4)
	v_ashrrev_i32_e32 v2, 31, v5
	v_and_b32_e32 v0, v0, v3
	; wave barrier
	ds_load_b32 v50, v1 offset:64
	v_add_nc_u32_e32 v52, 64, v1
	v_xor_b32_e32 v2, s9, v2
	v_and_b32_e32 v0, v0, v4
	; wave barrier
	s_delay_alu instid0(VALU_DEP_1) | instskip(NEXT) | instid1(VALU_DEP_1)
	v_and_b32_e32 v0, v0, v2
	v_mbcnt_lo_u32_b32 v51, v0, 0
	v_cmp_ne_u32_e64 s10, 0, v0
	s_delay_alu instid0(VALU_DEP_2) | instskip(NEXT) | instid1(VALU_DEP_1)
	v_cmp_eq_u32_e64 s9, 0, v51
	s_and_b32 s10, s10, s9
	s_delay_alu instid0(SALU_CYCLE_1)
	s_and_saveexec_b32 s9, s10
	s_cbranch_execz .LBB286_18
; %bb.17:                               ;   in Loop: Header=BB286_2 Depth=1
	s_waitcnt lgkmcnt(0)
	v_bcnt_u32_b32 v0, v0, v50
	ds_store_b32 v52, v0
.LBB286_18:                             ;   in Loop: Header=BB286_2 Depth=1
	s_or_b32 exec_lo, exec_lo, s9
	; wave barrier
	s_waitcnt lgkmcnt(0)
	s_barrier
	buffer_gl0_inv
	ds_load_2addr_b64 v[4:7], v13 offset0:8 offset1:9
	ds_load_2addr_b64 v[0:3], v16 offset0:2 offset1:3
	s_waitcnt lgkmcnt(1)
	v_add_nc_u32_e32 v53, v5, v4
	s_delay_alu instid0(VALU_DEP_1) | instskip(SKIP_1) | instid1(VALU_DEP_1)
	v_add3_u32 v53, v53, v6, v7
	s_waitcnt lgkmcnt(0)
	v_add3_u32 v53, v53, v0, v1
	s_delay_alu instid0(VALU_DEP_1) | instskip(NEXT) | instid1(VALU_DEP_1)
	v_add3_u32 v3, v53, v2, v3
	v_mov_b32_dpp v53, v3 row_shr:1 row_mask:0xf bank_mask:0xf
	s_delay_alu instid0(VALU_DEP_1) | instskip(NEXT) | instid1(VALU_DEP_1)
	v_cndmask_b32_e64 v53, v53, 0, vcc_lo
	v_add_nc_u32_e32 v3, v53, v3
	s_delay_alu instid0(VALU_DEP_1) | instskip(NEXT) | instid1(VALU_DEP_1)
	v_mov_b32_dpp v53, v3 row_shr:2 row_mask:0xf bank_mask:0xf
	v_cndmask_b32_e64 v53, 0, v53, s0
	s_delay_alu instid0(VALU_DEP_1) | instskip(NEXT) | instid1(VALU_DEP_1)
	v_add_nc_u32_e32 v3, v3, v53
	v_mov_b32_dpp v53, v3 row_shr:4 row_mask:0xf bank_mask:0xf
	s_delay_alu instid0(VALU_DEP_1) | instskip(NEXT) | instid1(VALU_DEP_1)
	v_cndmask_b32_e64 v53, 0, v53, s1
	v_add_nc_u32_e32 v3, v3, v53
	s_delay_alu instid0(VALU_DEP_1) | instskip(NEXT) | instid1(VALU_DEP_1)
	v_mov_b32_dpp v53, v3 row_shr:8 row_mask:0xf bank_mask:0xf
	v_cndmask_b32_e64 v53, 0, v53, s2
	s_delay_alu instid0(VALU_DEP_1) | instskip(SKIP_3) | instid1(VALU_DEP_1)
	v_add_nc_u32_e32 v3, v3, v53
	ds_swizzle_b32 v53, v3 offset:swizzle(BROADCAST,32,15)
	s_waitcnt lgkmcnt(0)
	v_cndmask_b32_e64 v53, v53, 0, s3
	v_add_nc_u32_e32 v3, v3, v53
	s_and_saveexec_b32 s9, s4
	s_cbranch_execz .LBB286_20
; %bb.19:                               ;   in Loop: Header=BB286_2 Depth=1
	ds_store_b32 v18, v3
.LBB286_20:                             ;   in Loop: Header=BB286_2 Depth=1
	s_or_b32 exec_lo, exec_lo, s9
	s_waitcnt lgkmcnt(0)
	s_barrier
	buffer_gl0_inv
	s_and_saveexec_b32 s9, s5
	s_cbranch_execz .LBB286_22
; %bb.21:                               ;   in Loop: Header=BB286_2 Depth=1
	ds_load_b32 v53, v21
	s_waitcnt lgkmcnt(0)
	v_mov_b32_dpp v54, v53 row_shr:1 row_mask:0xf bank_mask:0xf
	s_delay_alu instid0(VALU_DEP_1) | instskip(NEXT) | instid1(VALU_DEP_1)
	v_cndmask_b32_e64 v54, v54, 0, vcc_lo
	v_add_nc_u32_e32 v53, v54, v53
	s_delay_alu instid0(VALU_DEP_1) | instskip(NEXT) | instid1(VALU_DEP_1)
	v_mov_b32_dpp v54, v53 row_shr:2 row_mask:0xf bank_mask:0xf
	v_cndmask_b32_e64 v54, 0, v54, s0
	s_delay_alu instid0(VALU_DEP_1) | instskip(NEXT) | instid1(VALU_DEP_1)
	v_add_nc_u32_e32 v53, v53, v54
	v_mov_b32_dpp v54, v53 row_shr:4 row_mask:0xf bank_mask:0xf
	s_delay_alu instid0(VALU_DEP_1) | instskip(NEXT) | instid1(VALU_DEP_1)
	v_cndmask_b32_e64 v54, 0, v54, s1
	v_add_nc_u32_e32 v53, v53, v54
	s_delay_alu instid0(VALU_DEP_1) | instskip(NEXT) | instid1(VALU_DEP_1)
	v_mov_b32_dpp v54, v53 row_shr:8 row_mask:0xf bank_mask:0xf
	v_cndmask_b32_e64 v54, 0, v54, s2
	s_delay_alu instid0(VALU_DEP_1)
	v_add_nc_u32_e32 v53, v53, v54
	ds_store_b32 v21, v53
.LBB286_22:                             ;   in Loop: Header=BB286_2 Depth=1
	s_or_b32 exec_lo, exec_lo, s9
	v_mov_b32_e32 v53, 0
	s_waitcnt lgkmcnt(0)
	s_barrier
	buffer_gl0_inv
	s_and_saveexec_b32 s9, s6
	s_cbranch_execz .LBB286_1
; %bb.23:                               ;   in Loop: Header=BB286_2 Depth=1
	ds_load_b32 v53, v20
	s_branch .LBB286_1
.LBB286_24:
	s_add_u32 s0, s18, s11
	s_addc_u32 s1, s19, 0
	s_clause 0x7
	global_store_b8 v8, v0, s[0:1]
	global_store_b8 v8, v3, s[0:1] offset:512
	global_store_b8 v8, v4, s[0:1] offset:1024
	;; [unrolled: 1-line block ×7, first 2 shown]
	s_nop 0
	s_sendmsg sendmsg(MSG_DEALLOC_VGPRS)
	s_endpgm
	.section	.rodata,"a",@progbits
	.p2align	6, 0x0
	.amdhsa_kernel _Z16sort_keys_kernelI22helper_blocked_stripedaLj512ELj8ELj10EEvPKT0_PS1_
		.amdhsa_group_segment_fixed_size 16448
		.amdhsa_private_segment_fixed_size 0
		.amdhsa_kernarg_size 272
		.amdhsa_user_sgpr_count 15
		.amdhsa_user_sgpr_dispatch_ptr 0
		.amdhsa_user_sgpr_queue_ptr 0
		.amdhsa_user_sgpr_kernarg_segment_ptr 1
		.amdhsa_user_sgpr_dispatch_id 0
		.amdhsa_user_sgpr_private_segment_size 0
		.amdhsa_wavefront_size32 1
		.amdhsa_uses_dynamic_stack 0
		.amdhsa_enable_private_segment 0
		.amdhsa_system_sgpr_workgroup_id_x 1
		.amdhsa_system_sgpr_workgroup_id_y 0
		.amdhsa_system_sgpr_workgroup_id_z 0
		.amdhsa_system_sgpr_workgroup_info 0
		.amdhsa_system_vgpr_workitem_id 2
		.amdhsa_next_free_vgpr 55
		.amdhsa_next_free_sgpr 20
		.amdhsa_reserve_vcc 1
		.amdhsa_float_round_mode_32 0
		.amdhsa_float_round_mode_16_64 0
		.amdhsa_float_denorm_mode_32 3
		.amdhsa_float_denorm_mode_16_64 3
		.amdhsa_dx10_clamp 1
		.amdhsa_ieee_mode 1
		.amdhsa_fp16_overflow 0
		.amdhsa_workgroup_processor_mode 1
		.amdhsa_memory_ordered 1
		.amdhsa_forward_progress 0
		.amdhsa_shared_vgpr_count 0
		.amdhsa_exception_fp_ieee_invalid_op 0
		.amdhsa_exception_fp_denorm_src 0
		.amdhsa_exception_fp_ieee_div_zero 0
		.amdhsa_exception_fp_ieee_overflow 0
		.amdhsa_exception_fp_ieee_underflow 0
		.amdhsa_exception_fp_ieee_inexact 0
		.amdhsa_exception_int_div_zero 0
	.end_amdhsa_kernel
	.section	.text._Z16sort_keys_kernelI22helper_blocked_stripedaLj512ELj8ELj10EEvPKT0_PS1_,"axG",@progbits,_Z16sort_keys_kernelI22helper_blocked_stripedaLj512ELj8ELj10EEvPKT0_PS1_,comdat
.Lfunc_end286:
	.size	_Z16sort_keys_kernelI22helper_blocked_stripedaLj512ELj8ELj10EEvPKT0_PS1_, .Lfunc_end286-_Z16sort_keys_kernelI22helper_blocked_stripedaLj512ELj8ELj10EEvPKT0_PS1_
                                        ; -- End function
	.section	.AMDGPU.csdata,"",@progbits
; Kernel info:
; codeLenInByte = 4576
; NumSgprs: 22
; NumVgprs: 55
; ScratchSize: 0
; MemoryBound: 0
; FloatMode: 240
; IeeeMode: 1
; LDSByteSize: 16448 bytes/workgroup (compile time only)
; SGPRBlocks: 2
; VGPRBlocks: 6
; NumSGPRsForWavesPerEU: 22
; NumVGPRsForWavesPerEU: 55
; Occupancy: 16
; WaveLimiterHint : 1
; COMPUTE_PGM_RSRC2:SCRATCH_EN: 0
; COMPUTE_PGM_RSRC2:USER_SGPR: 15
; COMPUTE_PGM_RSRC2:TRAP_HANDLER: 0
; COMPUTE_PGM_RSRC2:TGID_X_EN: 1
; COMPUTE_PGM_RSRC2:TGID_Y_EN: 0
; COMPUTE_PGM_RSRC2:TGID_Z_EN: 0
; COMPUTE_PGM_RSRC2:TIDIG_COMP_CNT: 2
	.section	.text._Z17sort_pairs_kernelI22helper_blocked_stripedaLj512ELj8ELj10EEvPKT0_PS1_,"axG",@progbits,_Z17sort_pairs_kernelI22helper_blocked_stripedaLj512ELj8ELj10EEvPKT0_PS1_,comdat
	.protected	_Z17sort_pairs_kernelI22helper_blocked_stripedaLj512ELj8ELj10EEvPKT0_PS1_ ; -- Begin function _Z17sort_pairs_kernelI22helper_blocked_stripedaLj512ELj8ELj10EEvPKT0_PS1_
	.globl	_Z17sort_pairs_kernelI22helper_blocked_stripedaLj512ELj8ELj10EEvPKT0_PS1_
	.p2align	8
	.type	_Z17sort_pairs_kernelI22helper_blocked_stripedaLj512ELj8ELj10EEvPKT0_PS1_,@function
_Z17sort_pairs_kernelI22helper_blocked_stripedaLj512ELj8ELj10EEvPKT0_PS1_: ; @_Z17sort_pairs_kernelI22helper_blocked_stripedaLj512ELj8ELj10EEvPKT0_PS1_
; %bb.0:
	s_clause 0x1
	s_load_b128 s[16:19], s[0:1], 0x0
	s_load_b32 s8, s[0:1], 0x1c
	v_and_b32_e32 v8, 0x3ff, v0
	s_lshl_b32 s11, s15, 12
	v_mbcnt_lo_u32_b32 v4, -1, 0
	v_bfe_u32 v5, v0, 10, 10
	v_bfe_u32 v0, v0, 20, 10
	v_lshlrev_b32_e32 v1, 3, v8
	s_mov_b32 s12, 10
	v_add_nc_u32_e32 v14, -1, v4
	v_and_b32_e32 v6, 15, v4
	v_and_b32_e32 v7, 16, v4
	v_cmp_eq_u32_e32 vcc_lo, 0, v4
	s_delay_alu instid0(VALU_DEP_4) | instskip(NEXT) | instid1(VALU_DEP_3)
	v_cmp_gt_i32_e64 s7, 0, v14
	v_cmp_eq_u32_e64 s4, 0, v7
	s_waitcnt lgkmcnt(0)
	s_add_u32 s0, s16, s11
	s_addc_u32 s1, s17, 0
	s_lshr_b32 s9, s8, 16
	global_load_b64 v[2:3], v1, s[0:1]
	s_mov_b32 s0, 0
	v_mad_u32_u24 v5, v0, s9, v5
	s_mov_b32 s1, s0
	s_mov_b32 s2, s0
	v_mov_b32_e32 v10, s1
	s_mov_b32 s3, s0
	s_delay_alu instid0(SALU_CYCLE_1)
	v_dual_mov_b32 v9, s0 :: v_dual_mov_b32 v12, s3
	v_dual_mov_b32 v11, s2 :: v_dual_and_b32 v16, 0x1e0, v8
	v_cmp_eq_u32_e64 s0, 0, v6
	v_cmp_lt_u32_e64 s1, 1, v6
	v_cmp_lt_u32_e64 s2, 3, v6
	;; [unrolled: 1-line block ×3, first 2 shown]
	v_cndmask_b32_e64 v6, v14, v4, s7
	v_lshrrev_b32_e32 v7, 3, v8
	v_or_b32_e32 v18, v4, v16
	v_and_or_b32 v14, 0xf00, v1, v4
	v_or_b32_e32 v4, 31, v16
	v_lshlrev_b32_e32 v16, 2, v6
	v_and_b32_e32 v17, 60, v7
	s_and_b32 s8, s8, 0xffff
	v_lshlrev_b32_e32 v13, 5, v8
	v_mul_u32_u24_e32 v21, 3, v8
	v_cmp_gt_u32_e64 s5, 16, v8
	v_cmp_lt_u32_e64 s6, 31, v8
	v_cmp_eq_u32_e64 s7, 0, v8
	v_add_nc_u32_e32 v15, 64, v13
	v_lshlrev_b32_e32 v18, 3, v18
	v_add_nc_u32_e32 v21, v8, v21
	s_waitcnt vmcnt(0)
	v_lshrrev_b32_e32 v6, 16, v2
	v_lshrrev_b32_e32 v20, 16, v3
	;; [unrolled: 1-line block ×6, first 2 shown]
	v_add_nc_u16 v23, v2, 1
	v_add_nc_u16 v24, v3, 1
	;; [unrolled: 1-line block ×4, first 2 shown]
	v_lshlrev_b16 v1, 8, v1
	v_lshlrev_b16 v7, 8, v7
	;; [unrolled: 1-line block ×4, first 2 shown]
	v_and_b32_e32 v23, 0xff, v23
	v_and_b32_e32 v24, 0xff, v24
	;; [unrolled: 1-line block ×4, first 2 shown]
	s_delay_alu instid0(VALU_DEP_4) | instskip(NEXT) | instid1(VALU_DEP_4)
	v_or_b32_e32 v23, v1, v23
	v_or_b32_e32 v19, v19, v24
	s_delay_alu instid0(VALU_DEP_4) | instskip(NEXT) | instid1(VALU_DEP_4)
	v_or_b32_e32 v6, v7, v6
	v_or_b32_e32 v7, v22, v20
	v_mad_u64_u32 v[0:1], null, v5, s8, v[8:9]
	v_add_nc_u16 v1, v23, 0x100
	v_add_nc_u16 v5, v19, 0x100
	;; [unrolled: 1-line block ×4, first 2 shown]
	v_cmp_eq_u32_e64 s8, v4, v8
	v_and_b32_e32 v1, 0xffff, v1
	v_and_b32_e32 v5, 0xffff, v5
	v_lshlrev_b32_e32 v6, 16, v6
	v_lshlrev_b32_e32 v7, 16, v7
	v_add_nc_u32_e32 v19, -4, v17
	v_lshrrev_b32_e32 v20, 5, v0
	s_delay_alu instid0(VALU_DEP_4) | instskip(NEXT) | instid1(VALU_DEP_4)
	v_or_b32_e32 v0, v1, v6
	v_or_b32_e32 v1, v5, v7
	s_branch .LBB287_2
.LBB287_1:                              ;   in Loop: Header=BB287_2 Depth=1
	s_or_b32 exec_lo, exec_lo, s9
	s_waitcnt lgkmcnt(0)
	v_add_nc_u32_e32 v3, v61, v3
	s_add_i32 s12, s12, -1
	s_delay_alu instid0(SALU_CYCLE_1) | instskip(SKIP_3) | instid1(VALU_DEP_1)
	s_cmp_eq_u32 s12, 0
	ds_bpermute_b32 v3, v16, v3
	s_waitcnt lgkmcnt(0)
	v_cndmask_b32_e32 v3, v3, v61, vcc_lo
	v_cndmask_b32_e64 v3, v3, 0, s7
	s_delay_alu instid0(VALU_DEP_1) | instskip(NEXT) | instid1(VALU_DEP_1)
	v_add_nc_u32_e32 v4, v3, v4
	v_add_nc_u32_e32 v5, v4, v5
	s_delay_alu instid0(VALU_DEP_1) | instskip(NEXT) | instid1(VALU_DEP_1)
	v_add_nc_u32_e32 v6, v5, v6
	v_add_nc_u32_e32 v61, v6, v7
	;; [unrolled: 3-line block ×3, first 2 shown]
	s_delay_alu instid0(VALU_DEP_1)
	v_add_nc_u32_e32 v1, v0, v2
	ds_store_2addr_b64 v13, v[3:4], v[5:6] offset0:8 offset1:9
	ds_store_2addr_b64 v15, v[61:62], v[0:1] offset0:2 offset1:3
	s_waitcnt lgkmcnt(0)
	s_barrier
	buffer_gl0_inv
	ds_load_b32 v0, v39
	ds_load_b32 v1, v42
	;; [unrolled: 1-line block ×8, first 2 shown]
	s_waitcnt lgkmcnt(0)
	s_barrier
	buffer_gl0_inv
	v_add_nc_u32_e32 v0, v0, v38
	v_add3_u32 v1, v41, v40, v1
	v_add3_u32 v2, v44, v43, v2
	;; [unrolled: 1-line block ×7, first 2 shown]
	ds_store_b8 v0, v22
	ds_store_b8 v1, v23
	;; [unrolled: 1-line block ×8, first 2 shown]
	s_waitcnt lgkmcnt(0)
	s_barrier
	buffer_gl0_inv
	ds_load_u8 v26, v8
	ds_load_u8 v28, v8 offset:512
	ds_load_u8 v29, v8 offset:1024
	;; [unrolled: 1-line block ×7, first 2 shown]
	s_waitcnt lgkmcnt(0)
	s_barrier
	buffer_gl0_inv
	ds_store_b8 v0, v30
	ds_store_b8 v1, v31
	;; [unrolled: 1-line block ×8, first 2 shown]
	s_waitcnt lgkmcnt(0)
	s_barrier
	buffer_gl0_inv
	ds_load_u8 v5, v8 offset:512
	ds_load_u8 v6, v8 offset:1536
	;; [unrolled: 1-line block ×4, first 2 shown]
	ds_load_u8 v25, v8
	ds_load_u8 v24, v8 offset:1024
	ds_load_u8 v23, v8 offset:2048
	;; [unrolled: 1-line block ×3, first 2 shown]
	v_xor_b32_e32 v27, 0xffffff80, v26
	v_xor_b32_e32 v28, 0xffffff80, v28
	;; [unrolled: 1-line block ×8, first 2 shown]
	s_waitcnt lgkmcnt(7)
	v_lshlrev_b16 v0, 8, v5
	s_waitcnt lgkmcnt(6)
	v_lshlrev_b16 v1, 8, v6
	;; [unrolled: 2-line block ×4, first 2 shown]
	v_lshlrev_b16 v34, 8, v28
	v_and_b32_e32 v35, 0xff, v27
	v_lshlrev_b16 v36, 8, v30
	v_and_b32_e32 v37, 0xff, v29
	v_lshlrev_b16 v38, 8, v32
	v_and_b32_e32 v39, 0xff, v31
	v_lshlrev_b16 v40, 8, v26
	v_and_b32_e32 v41, 0xff, v33
	s_waitcnt lgkmcnt(3)
	v_or_b32_e32 v0, v25, v0
	s_waitcnt lgkmcnt(2)
	v_or_b32_e32 v1, v24, v1
	;; [unrolled: 2-line block ×4, first 2 shown]
	v_or_b32_e32 v34, v35, v34
	v_or_b32_e32 v35, v37, v36
	v_or_b32_e32 v36, v39, v38
	v_or_b32_e32 v37, v41, v40
	v_and_b32_e32 v0, 0xffff, v0
	v_lshlrev_b32_e32 v1, 16, v1
	v_and_b32_e32 v2, 0xffff, v2
	v_lshlrev_b32_e32 v3, 16, v3
	;; [unrolled: 2-line block ×4, first 2 shown]
	v_or_b32_e32 v0, v0, v1
	v_or_b32_e32 v1, v2, v3
	;; [unrolled: 1-line block ×3, first 2 shown]
	s_delay_alu instid0(VALU_DEP_4)
	v_or_b32_e32 v3, v36, v37
	s_cbranch_scc1 .LBB287_24
.LBB287_2:                              ; =>This Inner Loop Header: Depth=1
	s_delay_alu instid0(VALU_DEP_1) | instskip(NEXT) | instid1(VALU_DEP_3)
	v_lshrrev_b32_e32 v4, 16, v3
	v_lshrrev_b32_e32 v5, 16, v2
	v_xor_b32_e32 v6, 0x80, v3
	v_and_b32_e32 v7, 0xffffff00, v2
	v_xor_b32_e32 v2, 0x80, v2
	v_xor_b32_e32 v22, 0x80, v4
	;; [unrolled: 1-line block ×3, first 2 shown]
	v_and_b32_e32 v3, 0xffffff00, v3
	v_and_b32_e32 v6, 0xff, v6
	;; [unrolled: 1-line block ×7, first 2 shown]
	v_or_b32_e32 v3, v6, v3
	v_or_b32_e32 v4, v22, v4
	;; [unrolled: 1-line block ×3, first 2 shown]
	s_delay_alu instid0(VALU_DEP_4) | instskip(NEXT) | instid1(VALU_DEP_4)
	v_or_b32_e32 v5, v23, v5
	v_add_nc_u16 v3, v3, 0x8000
	s_delay_alu instid0(VALU_DEP_4) | instskip(NEXT) | instid1(VALU_DEP_4)
	v_add_nc_u16 v4, v4, 0x8000
	v_add_nc_u16 v2, v2, 0x8000
	s_delay_alu instid0(VALU_DEP_4) | instskip(NEXT) | instid1(VALU_DEP_4)
	v_add_nc_u16 v5, v5, 0x8000
	v_and_b32_e32 v3, 0xffff, v3
	s_delay_alu instid0(VALU_DEP_4) | instskip(NEXT) | instid1(VALU_DEP_4)
	v_lshlrev_b32_e32 v4, 16, v4
	v_and_b32_e32 v2, 0xffff, v2
	s_delay_alu instid0(VALU_DEP_4) | instskip(NEXT) | instid1(VALU_DEP_3)
	v_lshlrev_b32_e32 v5, 16, v5
	v_or_b32_e32 v3, v3, v4
	s_delay_alu instid0(VALU_DEP_2)
	v_or_b32_e32 v2, v2, v5
	ds_store_b64 v18, v[2:3]
	; wave barrier
	ds_load_u8 v22, v14
	ds_load_u8 v23, v14 offset:32
	ds_load_u8 v24, v14 offset:64
	;; [unrolled: 1-line block ×7, first 2 shown]
	; wave barrier
	ds_store_b64 v18, v[0:1]
	; wave barrier
	s_waitcnt lgkmcnt(8)
	v_and_b32_e32 v2, 1, v22
	v_lshlrev_b32_e32 v3, 30, v22
	v_lshlrev_b32_e32 v4, 29, v22
	;; [unrolled: 1-line block ×4, first 2 shown]
	v_add_co_u32 v2, s9, v2, -1
	s_delay_alu instid0(VALU_DEP_1)
	v_cndmask_b32_e64 v6, 0, 1, s9
	v_not_b32_e32 v32, v3
	v_cmp_gt_i32_e64 s10, 0, v3
	v_not_b32_e32 v3, v4
	v_lshlrev_b32_e32 v30, 26, v22
	v_cmp_ne_u32_e64 s9, 0, v6
	v_ashrrev_i32_e32 v32, 31, v32
	v_lshlrev_b32_e32 v31, 25, v22
	v_ashrrev_i32_e32 v3, 31, v3
	v_lshlrev_b32_e32 v6, 24, v22
	v_xor_b32_e32 v2, s9, v2
	v_cmp_gt_i32_e64 s9, 0, v4
	v_not_b32_e32 v4, v5
	v_xor_b32_e32 v32, s10, v32
	v_cmp_gt_i32_e64 s10, 0, v5
	v_and_b32_e32 v2, exec_lo, v2
	v_not_b32_e32 v5, v7
	v_ashrrev_i32_e32 v4, 31, v4
	v_xor_b32_e32 v3, s9, v3
	v_cmp_gt_i32_e64 s9, 0, v7
	v_and_b32_e32 v2, v2, v32
	v_not_b32_e32 v7, v30
	v_ashrrev_i32_e32 v5, 31, v5
	v_xor_b32_e32 v4, s10, v4
	v_cmp_gt_i32_e64 s10, 0, v30
	v_and_b32_e32 v2, v2, v3
	;; [unrolled: 5-line block ×4, first 2 shown]
	v_ashrrev_i32_e32 v4, 31, v4
	v_xor_b32_e32 v3, s9, v3
	ds_load_u8 v30, v14
	ds_load_u8 v31, v14 offset:32
	ds_load_u8 v32, v14 offset:64
	ds_load_u8 v33, v14 offset:96
	ds_load_u8 v34, v14 offset:128
	ds_load_u8 v35, v14 offset:160
	ds_load_u8 v36, v14 offset:192
	ds_load_u8 v37, v14 offset:224
	s_waitcnt lgkmcnt(0)
	v_and_b32_e32 v2, v2, v7
	v_xor_b32_e32 v0, s10, v4
	s_barrier
	buffer_gl0_inv
	ds_store_2addr_b64 v13, v[9:10], v[11:12] offset0:8 offset1:9
	ds_store_2addr_b64 v15, v[9:10], v[11:12] offset0:2 offset1:3
	v_and_b32_e32 v1, v2, v3
	s_waitcnt lgkmcnt(0)
	s_barrier
	buffer_gl0_inv
	v_and_b32_e32 v0, v1, v0
	v_and_b32_e32 v1, 0xff, v22
	; wave barrier
	s_delay_alu instid0(VALU_DEP_2) | instskip(NEXT) | instid1(VALU_DEP_2)
	v_mbcnt_lo_u32_b32 v38, v0, 0
	v_lshl_add_u32 v1, v1, 4, v20
	v_cmp_ne_u32_e64 s10, 0, v0
	s_delay_alu instid0(VALU_DEP_3) | instskip(NEXT) | instid1(VALU_DEP_3)
	v_cmp_eq_u32_e64 s9, 0, v38
	v_lshl_add_u32 v39, v1, 2, 64
	s_delay_alu instid0(VALU_DEP_2) | instskip(NEXT) | instid1(SALU_CYCLE_1)
	s_and_b32 s10, s10, s9
	s_and_saveexec_b32 s9, s10
	s_cbranch_execz .LBB287_4
; %bb.3:                                ;   in Loop: Header=BB287_2 Depth=1
	v_bcnt_u32_b32 v0, v0, 0
	ds_store_b32 v39, v0
.LBB287_4:                              ;   in Loop: Header=BB287_2 Depth=1
	s_or_b32 exec_lo, exec_lo, s9
	v_and_b32_e32 v0, 1, v23
	v_lshlrev_b32_e32 v2, 30, v23
	v_lshlrev_b32_e32 v4, 29, v23
	;; [unrolled: 1-line block ×4, first 2 shown]
	v_add_co_u32 v0, s9, v0, -1
	s_delay_alu instid0(VALU_DEP_1)
	v_cndmask_b32_e64 v3, 0, 1, s9
	v_not_b32_e32 v7, v2
	v_cmp_gt_i32_e64 s10, 0, v2
	v_not_b32_e32 v2, v4
	v_and_b32_e32 v1, 0xff, v23
	v_cmp_ne_u32_e64 s9, 0, v3
	v_ashrrev_i32_e32 v7, 31, v7
	v_lshlrev_b32_e32 v3, 26, v23
	v_ashrrev_i32_e32 v2, 31, v2
	v_lshlrev_b32_e32 v1, 4, v1
	v_xor_b32_e32 v0, s9, v0
	v_cmp_gt_i32_e64 s9, 0, v4
	v_not_b32_e32 v4, v5
	v_xor_b32_e32 v7, s10, v7
	v_cmp_gt_i32_e64 s10, 0, v5
	v_and_b32_e32 v0, exec_lo, v0
	v_not_b32_e32 v5, v6
	v_ashrrev_i32_e32 v4, 31, v4
	v_xor_b32_e32 v2, s9, v2
	v_cmp_gt_i32_e64 s9, 0, v6
	v_and_b32_e32 v0, v0, v7
	v_lshlrev_b32_e32 v7, 25, v23
	v_ashrrev_i32_e32 v5, 31, v5
	v_xor_b32_e32 v4, s10, v4
	v_not_b32_e32 v6, v3
	v_and_b32_e32 v0, v0, v2
	v_lshlrev_b32_e32 v2, 24, v23
	v_not_b32_e32 v40, v7
	v_xor_b32_e32 v5, s9, v5
	v_cmp_gt_i32_e64 s9, 0, v3
	v_and_b32_e32 v0, v0, v4
	v_ashrrev_i32_e32 v3, 31, v6
	v_cmp_gt_i32_e64 s10, 0, v7
	v_ashrrev_i32_e32 v4, 31, v40
	v_add_lshl_u32 v1, v20, v1, 2
	v_and_b32_e32 v0, v0, v5
	v_not_b32_e32 v5, v2
	v_xor_b32_e32 v3, s9, v3
	v_xor_b32_e32 v4, s10, v4
	v_cmp_gt_i32_e64 s9, 0, v2
	s_delay_alu instid0(VALU_DEP_4) | instskip(NEXT) | instid1(VALU_DEP_4)
	v_ashrrev_i32_e32 v2, 31, v5
	v_and_b32_e32 v0, v0, v3
	; wave barrier
	ds_load_b32 v40, v1 offset:64
	v_add_nc_u32_e32 v42, 64, v1
	v_xor_b32_e32 v2, s9, v2
	v_and_b32_e32 v0, v0, v4
	; wave barrier
	s_delay_alu instid0(VALU_DEP_1) | instskip(NEXT) | instid1(VALU_DEP_1)
	v_and_b32_e32 v0, v0, v2
	v_mbcnt_lo_u32_b32 v41, v0, 0
	v_cmp_ne_u32_e64 s10, 0, v0
	s_delay_alu instid0(VALU_DEP_2) | instskip(NEXT) | instid1(VALU_DEP_1)
	v_cmp_eq_u32_e64 s9, 0, v41
	s_and_b32 s10, s10, s9
	s_delay_alu instid0(SALU_CYCLE_1)
	s_and_saveexec_b32 s9, s10
	s_cbranch_execz .LBB287_6
; %bb.5:                                ;   in Loop: Header=BB287_2 Depth=1
	s_waitcnt lgkmcnt(0)
	v_bcnt_u32_b32 v0, v0, v40
	ds_store_b32 v42, v0
.LBB287_6:                              ;   in Loop: Header=BB287_2 Depth=1
	s_or_b32 exec_lo, exec_lo, s9
	v_and_b32_e32 v0, 1, v24
	v_lshlrev_b32_e32 v2, 30, v24
	v_lshlrev_b32_e32 v4, 29, v24
	;; [unrolled: 1-line block ×4, first 2 shown]
	v_add_co_u32 v0, s9, v0, -1
	s_delay_alu instid0(VALU_DEP_1)
	v_cndmask_b32_e64 v3, 0, 1, s9
	v_not_b32_e32 v7, v2
	v_cmp_gt_i32_e64 s10, 0, v2
	v_not_b32_e32 v2, v4
	v_and_b32_e32 v1, 0xff, v24
	v_cmp_ne_u32_e64 s9, 0, v3
	v_ashrrev_i32_e32 v7, 31, v7
	v_lshlrev_b32_e32 v3, 26, v24
	v_ashrrev_i32_e32 v2, 31, v2
	v_lshlrev_b32_e32 v1, 4, v1
	v_xor_b32_e32 v0, s9, v0
	v_cmp_gt_i32_e64 s9, 0, v4
	v_not_b32_e32 v4, v5
	v_xor_b32_e32 v7, s10, v7
	v_cmp_gt_i32_e64 s10, 0, v5
	v_and_b32_e32 v0, exec_lo, v0
	v_not_b32_e32 v5, v6
	v_ashrrev_i32_e32 v4, 31, v4
	v_xor_b32_e32 v2, s9, v2
	v_cmp_gt_i32_e64 s9, 0, v6
	v_and_b32_e32 v0, v0, v7
	v_lshlrev_b32_e32 v7, 25, v24
	v_ashrrev_i32_e32 v5, 31, v5
	v_xor_b32_e32 v4, s10, v4
	v_not_b32_e32 v6, v3
	v_and_b32_e32 v0, v0, v2
	v_lshlrev_b32_e32 v2, 24, v24
	v_not_b32_e32 v43, v7
	v_xor_b32_e32 v5, s9, v5
	v_cmp_gt_i32_e64 s9, 0, v3
	v_and_b32_e32 v0, v0, v4
	v_ashrrev_i32_e32 v3, 31, v6
	v_cmp_gt_i32_e64 s10, 0, v7
	v_ashrrev_i32_e32 v4, 31, v43
	v_add_lshl_u32 v1, v20, v1, 2
	v_and_b32_e32 v0, v0, v5
	v_not_b32_e32 v5, v2
	v_xor_b32_e32 v3, s9, v3
	v_xor_b32_e32 v4, s10, v4
	v_cmp_gt_i32_e64 s9, 0, v2
	s_delay_alu instid0(VALU_DEP_4) | instskip(NEXT) | instid1(VALU_DEP_4)
	v_ashrrev_i32_e32 v2, 31, v5
	v_and_b32_e32 v0, v0, v3
	; wave barrier
	ds_load_b32 v43, v1 offset:64
	v_add_nc_u32_e32 v45, 64, v1
	v_xor_b32_e32 v2, s9, v2
	v_and_b32_e32 v0, v0, v4
	; wave barrier
	s_delay_alu instid0(VALU_DEP_1) | instskip(NEXT) | instid1(VALU_DEP_1)
	v_and_b32_e32 v0, v0, v2
	v_mbcnt_lo_u32_b32 v44, v0, 0
	v_cmp_ne_u32_e64 s10, 0, v0
	s_delay_alu instid0(VALU_DEP_2) | instskip(NEXT) | instid1(VALU_DEP_1)
	v_cmp_eq_u32_e64 s9, 0, v44
	s_and_b32 s10, s10, s9
	s_delay_alu instid0(SALU_CYCLE_1)
	s_and_saveexec_b32 s9, s10
	s_cbranch_execz .LBB287_8
; %bb.7:                                ;   in Loop: Header=BB287_2 Depth=1
	s_waitcnt lgkmcnt(0)
	v_bcnt_u32_b32 v0, v0, v43
	ds_store_b32 v45, v0
.LBB287_8:                              ;   in Loop: Header=BB287_2 Depth=1
	s_or_b32 exec_lo, exec_lo, s9
	v_and_b32_e32 v0, 1, v25
	v_lshlrev_b32_e32 v2, 30, v25
	v_lshlrev_b32_e32 v4, 29, v25
	v_lshlrev_b32_e32 v5, 28, v25
	v_lshlrev_b32_e32 v6, 27, v25
	v_add_co_u32 v0, s9, v0, -1
	s_delay_alu instid0(VALU_DEP_1)
	v_cndmask_b32_e64 v3, 0, 1, s9
	v_not_b32_e32 v7, v2
	v_cmp_gt_i32_e64 s10, 0, v2
	v_not_b32_e32 v2, v4
	v_and_b32_e32 v1, 0xff, v25
	v_cmp_ne_u32_e64 s9, 0, v3
	v_ashrrev_i32_e32 v7, 31, v7
	v_lshlrev_b32_e32 v3, 26, v25
	v_ashrrev_i32_e32 v2, 31, v2
	v_lshlrev_b32_e32 v1, 4, v1
	v_xor_b32_e32 v0, s9, v0
	v_cmp_gt_i32_e64 s9, 0, v4
	v_not_b32_e32 v4, v5
	v_xor_b32_e32 v7, s10, v7
	v_cmp_gt_i32_e64 s10, 0, v5
	v_and_b32_e32 v0, exec_lo, v0
	v_not_b32_e32 v5, v6
	v_ashrrev_i32_e32 v4, 31, v4
	v_xor_b32_e32 v2, s9, v2
	v_cmp_gt_i32_e64 s9, 0, v6
	v_and_b32_e32 v0, v0, v7
	v_lshlrev_b32_e32 v7, 25, v25
	v_ashrrev_i32_e32 v5, 31, v5
	v_xor_b32_e32 v4, s10, v4
	v_not_b32_e32 v6, v3
	v_and_b32_e32 v0, v0, v2
	v_lshlrev_b32_e32 v2, 24, v25
	v_not_b32_e32 v46, v7
	v_xor_b32_e32 v5, s9, v5
	v_cmp_gt_i32_e64 s9, 0, v3
	v_and_b32_e32 v0, v0, v4
	v_ashrrev_i32_e32 v3, 31, v6
	v_cmp_gt_i32_e64 s10, 0, v7
	v_ashrrev_i32_e32 v4, 31, v46
	v_add_lshl_u32 v1, v20, v1, 2
	v_and_b32_e32 v0, v0, v5
	v_not_b32_e32 v5, v2
	v_xor_b32_e32 v3, s9, v3
	v_xor_b32_e32 v4, s10, v4
	v_cmp_gt_i32_e64 s9, 0, v2
	s_delay_alu instid0(VALU_DEP_4) | instskip(NEXT) | instid1(VALU_DEP_4)
	v_ashrrev_i32_e32 v2, 31, v5
	v_and_b32_e32 v0, v0, v3
	; wave barrier
	ds_load_b32 v46, v1 offset:64
	v_add_nc_u32_e32 v48, 64, v1
	v_xor_b32_e32 v2, s9, v2
	v_and_b32_e32 v0, v0, v4
	; wave barrier
	s_delay_alu instid0(VALU_DEP_1) | instskip(NEXT) | instid1(VALU_DEP_1)
	v_and_b32_e32 v0, v0, v2
	v_mbcnt_lo_u32_b32 v47, v0, 0
	v_cmp_ne_u32_e64 s10, 0, v0
	s_delay_alu instid0(VALU_DEP_2) | instskip(NEXT) | instid1(VALU_DEP_1)
	v_cmp_eq_u32_e64 s9, 0, v47
	s_and_b32 s10, s10, s9
	s_delay_alu instid0(SALU_CYCLE_1)
	s_and_saveexec_b32 s9, s10
	s_cbranch_execz .LBB287_10
; %bb.9:                                ;   in Loop: Header=BB287_2 Depth=1
	s_waitcnt lgkmcnt(0)
	v_bcnt_u32_b32 v0, v0, v46
	ds_store_b32 v48, v0
.LBB287_10:                             ;   in Loop: Header=BB287_2 Depth=1
	s_or_b32 exec_lo, exec_lo, s9
	v_and_b32_e32 v0, 1, v26
	v_lshlrev_b32_e32 v2, 30, v26
	v_lshlrev_b32_e32 v4, 29, v26
	;; [unrolled: 1-line block ×4, first 2 shown]
	v_add_co_u32 v0, s9, v0, -1
	s_delay_alu instid0(VALU_DEP_1)
	v_cndmask_b32_e64 v3, 0, 1, s9
	v_not_b32_e32 v7, v2
	v_cmp_gt_i32_e64 s10, 0, v2
	v_not_b32_e32 v2, v4
	v_and_b32_e32 v1, 0xff, v26
	v_cmp_ne_u32_e64 s9, 0, v3
	v_ashrrev_i32_e32 v7, 31, v7
	v_lshlrev_b32_e32 v3, 26, v26
	v_ashrrev_i32_e32 v2, 31, v2
	v_lshlrev_b32_e32 v1, 4, v1
	v_xor_b32_e32 v0, s9, v0
	v_cmp_gt_i32_e64 s9, 0, v4
	v_not_b32_e32 v4, v5
	v_xor_b32_e32 v7, s10, v7
	v_cmp_gt_i32_e64 s10, 0, v5
	v_and_b32_e32 v0, exec_lo, v0
	v_not_b32_e32 v5, v6
	v_ashrrev_i32_e32 v4, 31, v4
	v_xor_b32_e32 v2, s9, v2
	v_cmp_gt_i32_e64 s9, 0, v6
	v_and_b32_e32 v0, v0, v7
	v_lshlrev_b32_e32 v7, 25, v26
	v_ashrrev_i32_e32 v5, 31, v5
	v_xor_b32_e32 v4, s10, v4
	v_not_b32_e32 v6, v3
	v_and_b32_e32 v0, v0, v2
	v_lshlrev_b32_e32 v2, 24, v26
	v_not_b32_e32 v49, v7
	v_xor_b32_e32 v5, s9, v5
	v_cmp_gt_i32_e64 s9, 0, v3
	v_and_b32_e32 v0, v0, v4
	v_ashrrev_i32_e32 v3, 31, v6
	v_cmp_gt_i32_e64 s10, 0, v7
	v_ashrrev_i32_e32 v4, 31, v49
	v_add_lshl_u32 v1, v20, v1, 2
	v_and_b32_e32 v0, v0, v5
	v_not_b32_e32 v5, v2
	v_xor_b32_e32 v3, s9, v3
	v_xor_b32_e32 v4, s10, v4
	v_cmp_gt_i32_e64 s9, 0, v2
	s_delay_alu instid0(VALU_DEP_4) | instskip(NEXT) | instid1(VALU_DEP_4)
	v_ashrrev_i32_e32 v2, 31, v5
	v_and_b32_e32 v0, v0, v3
	; wave barrier
	ds_load_b32 v49, v1 offset:64
	v_add_nc_u32_e32 v51, 64, v1
	v_xor_b32_e32 v2, s9, v2
	v_and_b32_e32 v0, v0, v4
	; wave barrier
	s_delay_alu instid0(VALU_DEP_1) | instskip(NEXT) | instid1(VALU_DEP_1)
	v_and_b32_e32 v0, v0, v2
	v_mbcnt_lo_u32_b32 v50, v0, 0
	v_cmp_ne_u32_e64 s10, 0, v0
	s_delay_alu instid0(VALU_DEP_2) | instskip(NEXT) | instid1(VALU_DEP_1)
	v_cmp_eq_u32_e64 s9, 0, v50
	s_and_b32 s10, s10, s9
	s_delay_alu instid0(SALU_CYCLE_1)
	s_and_saveexec_b32 s9, s10
	s_cbranch_execz .LBB287_12
; %bb.11:                               ;   in Loop: Header=BB287_2 Depth=1
	s_waitcnt lgkmcnt(0)
	v_bcnt_u32_b32 v0, v0, v49
	ds_store_b32 v51, v0
.LBB287_12:                             ;   in Loop: Header=BB287_2 Depth=1
	s_or_b32 exec_lo, exec_lo, s9
	v_and_b32_e32 v0, 1, v27
	v_lshlrev_b32_e32 v2, 30, v27
	v_lshlrev_b32_e32 v4, 29, v27
	;; [unrolled: 1-line block ×4, first 2 shown]
	v_add_co_u32 v0, s9, v0, -1
	s_delay_alu instid0(VALU_DEP_1)
	v_cndmask_b32_e64 v3, 0, 1, s9
	v_not_b32_e32 v7, v2
	v_cmp_gt_i32_e64 s10, 0, v2
	v_not_b32_e32 v2, v4
	v_and_b32_e32 v1, 0xff, v27
	v_cmp_ne_u32_e64 s9, 0, v3
	v_ashrrev_i32_e32 v7, 31, v7
	v_lshlrev_b32_e32 v3, 26, v27
	v_ashrrev_i32_e32 v2, 31, v2
	v_lshlrev_b32_e32 v1, 4, v1
	v_xor_b32_e32 v0, s9, v0
	v_cmp_gt_i32_e64 s9, 0, v4
	v_not_b32_e32 v4, v5
	v_xor_b32_e32 v7, s10, v7
	v_cmp_gt_i32_e64 s10, 0, v5
	v_and_b32_e32 v0, exec_lo, v0
	v_not_b32_e32 v5, v6
	v_ashrrev_i32_e32 v4, 31, v4
	v_xor_b32_e32 v2, s9, v2
	v_cmp_gt_i32_e64 s9, 0, v6
	v_and_b32_e32 v0, v0, v7
	v_lshlrev_b32_e32 v7, 25, v27
	v_ashrrev_i32_e32 v5, 31, v5
	v_xor_b32_e32 v4, s10, v4
	v_not_b32_e32 v6, v3
	v_and_b32_e32 v0, v0, v2
	v_lshlrev_b32_e32 v2, 24, v27
	v_not_b32_e32 v52, v7
	v_xor_b32_e32 v5, s9, v5
	v_cmp_gt_i32_e64 s9, 0, v3
	v_and_b32_e32 v0, v0, v4
	v_ashrrev_i32_e32 v3, 31, v6
	v_cmp_gt_i32_e64 s10, 0, v7
	v_ashrrev_i32_e32 v4, 31, v52
	v_add_lshl_u32 v1, v20, v1, 2
	v_and_b32_e32 v0, v0, v5
	v_not_b32_e32 v5, v2
	v_xor_b32_e32 v3, s9, v3
	v_xor_b32_e32 v4, s10, v4
	v_cmp_gt_i32_e64 s9, 0, v2
	s_delay_alu instid0(VALU_DEP_4) | instskip(NEXT) | instid1(VALU_DEP_4)
	v_ashrrev_i32_e32 v2, 31, v5
	v_and_b32_e32 v0, v0, v3
	; wave barrier
	ds_load_b32 v52, v1 offset:64
	v_add_nc_u32_e32 v54, 64, v1
	v_xor_b32_e32 v2, s9, v2
	v_and_b32_e32 v0, v0, v4
	; wave barrier
	s_delay_alu instid0(VALU_DEP_1) | instskip(NEXT) | instid1(VALU_DEP_1)
	v_and_b32_e32 v0, v0, v2
	v_mbcnt_lo_u32_b32 v53, v0, 0
	v_cmp_ne_u32_e64 s10, 0, v0
	s_delay_alu instid0(VALU_DEP_2) | instskip(NEXT) | instid1(VALU_DEP_1)
	v_cmp_eq_u32_e64 s9, 0, v53
	s_and_b32 s10, s10, s9
	s_delay_alu instid0(SALU_CYCLE_1)
	s_and_saveexec_b32 s9, s10
	s_cbranch_execz .LBB287_14
; %bb.13:                               ;   in Loop: Header=BB287_2 Depth=1
	s_waitcnt lgkmcnt(0)
	v_bcnt_u32_b32 v0, v0, v52
	ds_store_b32 v54, v0
.LBB287_14:                             ;   in Loop: Header=BB287_2 Depth=1
	s_or_b32 exec_lo, exec_lo, s9
	v_and_b32_e32 v0, 1, v28
	v_lshlrev_b32_e32 v2, 30, v28
	v_lshlrev_b32_e32 v4, 29, v28
	;; [unrolled: 1-line block ×4, first 2 shown]
	v_add_co_u32 v0, s9, v0, -1
	s_delay_alu instid0(VALU_DEP_1)
	v_cndmask_b32_e64 v3, 0, 1, s9
	v_not_b32_e32 v7, v2
	v_cmp_gt_i32_e64 s10, 0, v2
	v_not_b32_e32 v2, v4
	v_and_b32_e32 v1, 0xff, v28
	v_cmp_ne_u32_e64 s9, 0, v3
	v_ashrrev_i32_e32 v7, 31, v7
	v_lshlrev_b32_e32 v3, 26, v28
	v_ashrrev_i32_e32 v2, 31, v2
	v_lshlrev_b32_e32 v1, 4, v1
	v_xor_b32_e32 v0, s9, v0
	v_cmp_gt_i32_e64 s9, 0, v4
	v_not_b32_e32 v4, v5
	v_xor_b32_e32 v7, s10, v7
	v_cmp_gt_i32_e64 s10, 0, v5
	v_and_b32_e32 v0, exec_lo, v0
	v_not_b32_e32 v5, v6
	v_ashrrev_i32_e32 v4, 31, v4
	v_xor_b32_e32 v2, s9, v2
	v_cmp_gt_i32_e64 s9, 0, v6
	v_and_b32_e32 v0, v0, v7
	v_lshlrev_b32_e32 v7, 25, v28
	v_ashrrev_i32_e32 v5, 31, v5
	v_xor_b32_e32 v4, s10, v4
	v_not_b32_e32 v6, v3
	v_and_b32_e32 v0, v0, v2
	v_lshlrev_b32_e32 v2, 24, v28
	v_not_b32_e32 v55, v7
	v_xor_b32_e32 v5, s9, v5
	v_cmp_gt_i32_e64 s9, 0, v3
	v_and_b32_e32 v0, v0, v4
	v_ashrrev_i32_e32 v3, 31, v6
	v_cmp_gt_i32_e64 s10, 0, v7
	v_ashrrev_i32_e32 v4, 31, v55
	v_add_lshl_u32 v1, v20, v1, 2
	v_and_b32_e32 v0, v0, v5
	v_not_b32_e32 v5, v2
	v_xor_b32_e32 v3, s9, v3
	v_xor_b32_e32 v4, s10, v4
	v_cmp_gt_i32_e64 s9, 0, v2
	s_delay_alu instid0(VALU_DEP_4) | instskip(NEXT) | instid1(VALU_DEP_4)
	v_ashrrev_i32_e32 v2, 31, v5
	v_and_b32_e32 v0, v0, v3
	; wave barrier
	ds_load_b32 v55, v1 offset:64
	v_add_nc_u32_e32 v57, 64, v1
	v_xor_b32_e32 v2, s9, v2
	v_and_b32_e32 v0, v0, v4
	; wave barrier
	s_delay_alu instid0(VALU_DEP_1) | instskip(NEXT) | instid1(VALU_DEP_1)
	v_and_b32_e32 v0, v0, v2
	v_mbcnt_lo_u32_b32 v56, v0, 0
	v_cmp_ne_u32_e64 s10, 0, v0
	s_delay_alu instid0(VALU_DEP_2) | instskip(NEXT) | instid1(VALU_DEP_1)
	v_cmp_eq_u32_e64 s9, 0, v56
	s_and_b32 s10, s10, s9
	s_delay_alu instid0(SALU_CYCLE_1)
	s_and_saveexec_b32 s9, s10
	s_cbranch_execz .LBB287_16
; %bb.15:                               ;   in Loop: Header=BB287_2 Depth=1
	s_waitcnt lgkmcnt(0)
	v_bcnt_u32_b32 v0, v0, v55
	ds_store_b32 v57, v0
.LBB287_16:                             ;   in Loop: Header=BB287_2 Depth=1
	s_or_b32 exec_lo, exec_lo, s9
	v_and_b32_e32 v0, 1, v29
	v_lshlrev_b32_e32 v2, 30, v29
	v_lshlrev_b32_e32 v4, 29, v29
	;; [unrolled: 1-line block ×4, first 2 shown]
	v_add_co_u32 v0, s9, v0, -1
	s_delay_alu instid0(VALU_DEP_1)
	v_cndmask_b32_e64 v3, 0, 1, s9
	v_not_b32_e32 v7, v2
	v_cmp_gt_i32_e64 s10, 0, v2
	v_not_b32_e32 v2, v4
	v_and_b32_e32 v1, 0xff, v29
	v_cmp_ne_u32_e64 s9, 0, v3
	v_ashrrev_i32_e32 v7, 31, v7
	v_lshlrev_b32_e32 v3, 26, v29
	v_ashrrev_i32_e32 v2, 31, v2
	v_lshlrev_b32_e32 v1, 4, v1
	v_xor_b32_e32 v0, s9, v0
	v_cmp_gt_i32_e64 s9, 0, v4
	v_not_b32_e32 v4, v5
	v_xor_b32_e32 v7, s10, v7
	v_cmp_gt_i32_e64 s10, 0, v5
	v_and_b32_e32 v0, exec_lo, v0
	v_not_b32_e32 v5, v6
	v_ashrrev_i32_e32 v4, 31, v4
	v_xor_b32_e32 v2, s9, v2
	v_cmp_gt_i32_e64 s9, 0, v6
	v_and_b32_e32 v0, v0, v7
	v_lshlrev_b32_e32 v7, 25, v29
	v_ashrrev_i32_e32 v5, 31, v5
	v_xor_b32_e32 v4, s10, v4
	v_not_b32_e32 v6, v3
	v_and_b32_e32 v0, v0, v2
	v_lshlrev_b32_e32 v2, 24, v29
	v_not_b32_e32 v58, v7
	v_xor_b32_e32 v5, s9, v5
	v_cmp_gt_i32_e64 s9, 0, v3
	v_and_b32_e32 v0, v0, v4
	v_ashrrev_i32_e32 v3, 31, v6
	v_cmp_gt_i32_e64 s10, 0, v7
	v_ashrrev_i32_e32 v4, 31, v58
	v_add_lshl_u32 v1, v20, v1, 2
	v_and_b32_e32 v0, v0, v5
	v_not_b32_e32 v5, v2
	v_xor_b32_e32 v3, s9, v3
	v_xor_b32_e32 v4, s10, v4
	v_cmp_gt_i32_e64 s9, 0, v2
	s_delay_alu instid0(VALU_DEP_4) | instskip(NEXT) | instid1(VALU_DEP_4)
	v_ashrrev_i32_e32 v2, 31, v5
	v_and_b32_e32 v0, v0, v3
	; wave barrier
	ds_load_b32 v58, v1 offset:64
	v_add_nc_u32_e32 v60, 64, v1
	v_xor_b32_e32 v2, s9, v2
	v_and_b32_e32 v0, v0, v4
	; wave barrier
	s_delay_alu instid0(VALU_DEP_1) | instskip(NEXT) | instid1(VALU_DEP_1)
	v_and_b32_e32 v0, v0, v2
	v_mbcnt_lo_u32_b32 v59, v0, 0
	v_cmp_ne_u32_e64 s10, 0, v0
	s_delay_alu instid0(VALU_DEP_2) | instskip(NEXT) | instid1(VALU_DEP_1)
	v_cmp_eq_u32_e64 s9, 0, v59
	s_and_b32 s10, s10, s9
	s_delay_alu instid0(SALU_CYCLE_1)
	s_and_saveexec_b32 s9, s10
	s_cbranch_execz .LBB287_18
; %bb.17:                               ;   in Loop: Header=BB287_2 Depth=1
	s_waitcnt lgkmcnt(0)
	v_bcnt_u32_b32 v0, v0, v58
	ds_store_b32 v60, v0
.LBB287_18:                             ;   in Loop: Header=BB287_2 Depth=1
	s_or_b32 exec_lo, exec_lo, s9
	; wave barrier
	s_waitcnt lgkmcnt(0)
	s_barrier
	buffer_gl0_inv
	ds_load_2addr_b64 v[4:7], v13 offset0:8 offset1:9
	ds_load_2addr_b64 v[0:3], v15 offset0:2 offset1:3
	s_waitcnt lgkmcnt(1)
	v_add_nc_u32_e32 v61, v5, v4
	s_delay_alu instid0(VALU_DEP_1) | instskip(SKIP_1) | instid1(VALU_DEP_1)
	v_add3_u32 v61, v61, v6, v7
	s_waitcnt lgkmcnt(0)
	v_add3_u32 v61, v61, v0, v1
	s_delay_alu instid0(VALU_DEP_1) | instskip(NEXT) | instid1(VALU_DEP_1)
	v_add3_u32 v3, v61, v2, v3
	v_mov_b32_dpp v61, v3 row_shr:1 row_mask:0xf bank_mask:0xf
	s_delay_alu instid0(VALU_DEP_1) | instskip(NEXT) | instid1(VALU_DEP_1)
	v_cndmask_b32_e64 v61, v61, 0, s0
	v_add_nc_u32_e32 v3, v61, v3
	s_delay_alu instid0(VALU_DEP_1) | instskip(NEXT) | instid1(VALU_DEP_1)
	v_mov_b32_dpp v61, v3 row_shr:2 row_mask:0xf bank_mask:0xf
	v_cndmask_b32_e64 v61, 0, v61, s1
	s_delay_alu instid0(VALU_DEP_1) | instskip(NEXT) | instid1(VALU_DEP_1)
	v_add_nc_u32_e32 v3, v3, v61
	v_mov_b32_dpp v61, v3 row_shr:4 row_mask:0xf bank_mask:0xf
	s_delay_alu instid0(VALU_DEP_1) | instskip(NEXT) | instid1(VALU_DEP_1)
	v_cndmask_b32_e64 v61, 0, v61, s2
	v_add_nc_u32_e32 v3, v3, v61
	s_delay_alu instid0(VALU_DEP_1) | instskip(NEXT) | instid1(VALU_DEP_1)
	v_mov_b32_dpp v61, v3 row_shr:8 row_mask:0xf bank_mask:0xf
	v_cndmask_b32_e64 v61, 0, v61, s3
	s_delay_alu instid0(VALU_DEP_1) | instskip(SKIP_3) | instid1(VALU_DEP_1)
	v_add_nc_u32_e32 v3, v3, v61
	ds_swizzle_b32 v61, v3 offset:swizzle(BROADCAST,32,15)
	s_waitcnt lgkmcnt(0)
	v_cndmask_b32_e64 v61, v61, 0, s4
	v_add_nc_u32_e32 v3, v3, v61
	s_and_saveexec_b32 s9, s8
	s_cbranch_execz .LBB287_20
; %bb.19:                               ;   in Loop: Header=BB287_2 Depth=1
	ds_store_b32 v17, v3
.LBB287_20:                             ;   in Loop: Header=BB287_2 Depth=1
	s_or_b32 exec_lo, exec_lo, s9
	s_waitcnt lgkmcnt(0)
	s_barrier
	buffer_gl0_inv
	s_and_saveexec_b32 s9, s5
	s_cbranch_execz .LBB287_22
; %bb.21:                               ;   in Loop: Header=BB287_2 Depth=1
	ds_load_b32 v61, v21
	s_waitcnt lgkmcnt(0)
	v_mov_b32_dpp v62, v61 row_shr:1 row_mask:0xf bank_mask:0xf
	s_delay_alu instid0(VALU_DEP_1) | instskip(NEXT) | instid1(VALU_DEP_1)
	v_cndmask_b32_e64 v62, v62, 0, s0
	v_add_nc_u32_e32 v61, v62, v61
	s_delay_alu instid0(VALU_DEP_1) | instskip(NEXT) | instid1(VALU_DEP_1)
	v_mov_b32_dpp v62, v61 row_shr:2 row_mask:0xf bank_mask:0xf
	v_cndmask_b32_e64 v62, 0, v62, s1
	s_delay_alu instid0(VALU_DEP_1) | instskip(NEXT) | instid1(VALU_DEP_1)
	v_add_nc_u32_e32 v61, v61, v62
	v_mov_b32_dpp v62, v61 row_shr:4 row_mask:0xf bank_mask:0xf
	s_delay_alu instid0(VALU_DEP_1) | instskip(NEXT) | instid1(VALU_DEP_1)
	v_cndmask_b32_e64 v62, 0, v62, s2
	v_add_nc_u32_e32 v61, v61, v62
	s_delay_alu instid0(VALU_DEP_1) | instskip(NEXT) | instid1(VALU_DEP_1)
	v_mov_b32_dpp v62, v61 row_shr:8 row_mask:0xf bank_mask:0xf
	v_cndmask_b32_e64 v62, 0, v62, s3
	s_delay_alu instid0(VALU_DEP_1)
	v_add_nc_u32_e32 v61, v61, v62
	ds_store_b32 v21, v61
.LBB287_22:                             ;   in Loop: Header=BB287_2 Depth=1
	s_or_b32 exec_lo, exec_lo, s9
	v_mov_b32_e32 v61, 0
	s_waitcnt lgkmcnt(0)
	s_barrier
	buffer_gl0_inv
	s_and_saveexec_b32 s9, s6
	s_cbranch_execz .LBB287_1
; %bb.23:                               ;   in Loop: Header=BB287_2 Depth=1
	ds_load_b32 v61, v19
	s_branch .LBB287_1
.LBB287_24:
	v_add_nc_u16 v0, v27, v25
	v_add_nc_u16 v1, v28, v5
	;; [unrolled: 1-line block ×3, first 2 shown]
	s_add_u32 s0, s18, s11
	v_add_nc_u16 v3, v30, v6
	s_addc_u32 s1, s19, 0
	v_add_nc_u16 v5, v31, v23
	v_add_nc_u16 v6, v32, v7
	;; [unrolled: 1-line block ×4, first 2 shown]
	s_clause 0x7
	global_store_b8 v8, v0, s[0:1]
	global_store_b8 v8, v1, s[0:1] offset:512
	global_store_b8 v8, v2, s[0:1] offset:1024
	;; [unrolled: 1-line block ×7, first 2 shown]
	s_nop 0
	s_sendmsg sendmsg(MSG_DEALLOC_VGPRS)
	s_endpgm
	.section	.rodata,"a",@progbits
	.p2align	6, 0x0
	.amdhsa_kernel _Z17sort_pairs_kernelI22helper_blocked_stripedaLj512ELj8ELj10EEvPKT0_PS1_
		.amdhsa_group_segment_fixed_size 16448
		.amdhsa_private_segment_fixed_size 0
		.amdhsa_kernarg_size 272
		.amdhsa_user_sgpr_count 15
		.amdhsa_user_sgpr_dispatch_ptr 0
		.amdhsa_user_sgpr_queue_ptr 0
		.amdhsa_user_sgpr_kernarg_segment_ptr 1
		.amdhsa_user_sgpr_dispatch_id 0
		.amdhsa_user_sgpr_private_segment_size 0
		.amdhsa_wavefront_size32 1
		.amdhsa_uses_dynamic_stack 0
		.amdhsa_enable_private_segment 0
		.amdhsa_system_sgpr_workgroup_id_x 1
		.amdhsa_system_sgpr_workgroup_id_y 0
		.amdhsa_system_sgpr_workgroup_id_z 0
		.amdhsa_system_sgpr_workgroup_info 0
		.amdhsa_system_vgpr_workitem_id 2
		.amdhsa_next_free_vgpr 63
		.amdhsa_next_free_sgpr 20
		.amdhsa_reserve_vcc 1
		.amdhsa_float_round_mode_32 0
		.amdhsa_float_round_mode_16_64 0
		.amdhsa_float_denorm_mode_32 3
		.amdhsa_float_denorm_mode_16_64 3
		.amdhsa_dx10_clamp 1
		.amdhsa_ieee_mode 1
		.amdhsa_fp16_overflow 0
		.amdhsa_workgroup_processor_mode 1
		.amdhsa_memory_ordered 1
		.amdhsa_forward_progress 0
		.amdhsa_shared_vgpr_count 0
		.amdhsa_exception_fp_ieee_invalid_op 0
		.amdhsa_exception_fp_denorm_src 0
		.amdhsa_exception_fp_ieee_div_zero 0
		.amdhsa_exception_fp_ieee_overflow 0
		.amdhsa_exception_fp_ieee_underflow 0
		.amdhsa_exception_fp_ieee_inexact 0
		.amdhsa_exception_int_div_zero 0
	.end_amdhsa_kernel
	.section	.text._Z17sort_pairs_kernelI22helper_blocked_stripedaLj512ELj8ELj10EEvPKT0_PS1_,"axG",@progbits,_Z17sort_pairs_kernelI22helper_blocked_stripedaLj512ELj8ELj10EEvPKT0_PS1_,comdat
.Lfunc_end287:
	.size	_Z17sort_pairs_kernelI22helper_blocked_stripedaLj512ELj8ELj10EEvPKT0_PS1_, .Lfunc_end287-_Z17sort_pairs_kernelI22helper_blocked_stripedaLj512ELj8ELj10EEvPKT0_PS1_
                                        ; -- End function
	.section	.AMDGPU.csdata,"",@progbits
; Kernel info:
; codeLenInByte = 5152
; NumSgprs: 22
; NumVgprs: 63
; ScratchSize: 0
; MemoryBound: 0
; FloatMode: 240
; IeeeMode: 1
; LDSByteSize: 16448 bytes/workgroup (compile time only)
; SGPRBlocks: 2
; VGPRBlocks: 7
; NumSGPRsForWavesPerEU: 22
; NumVGPRsForWavesPerEU: 63
; Occupancy: 16
; WaveLimiterHint : 1
; COMPUTE_PGM_RSRC2:SCRATCH_EN: 0
; COMPUTE_PGM_RSRC2:USER_SGPR: 15
; COMPUTE_PGM_RSRC2:TRAP_HANDLER: 0
; COMPUTE_PGM_RSRC2:TGID_X_EN: 1
; COMPUTE_PGM_RSRC2:TGID_Y_EN: 0
; COMPUTE_PGM_RSRC2:TGID_Z_EN: 0
; COMPUTE_PGM_RSRC2:TIDIG_COMP_CNT: 2
	.section	.text._Z16sort_keys_kernelI22helper_blocked_stripedxLj64ELj1ELj10EEvPKT0_PS1_,"axG",@progbits,_Z16sort_keys_kernelI22helper_blocked_stripedxLj64ELj1ELj10EEvPKT0_PS1_,comdat
	.protected	_Z16sort_keys_kernelI22helper_blocked_stripedxLj64ELj1ELj10EEvPKT0_PS1_ ; -- Begin function _Z16sort_keys_kernelI22helper_blocked_stripedxLj64ELj1ELj10EEvPKT0_PS1_
	.globl	_Z16sort_keys_kernelI22helper_blocked_stripedxLj64ELj1ELj10EEvPKT0_PS1_
	.p2align	8
	.type	_Z16sort_keys_kernelI22helper_blocked_stripedxLj64ELj1ELj10EEvPKT0_PS1_,@function
_Z16sort_keys_kernelI22helper_blocked_stripedxLj64ELj1ELj10EEvPKT0_PS1_: ; @_Z16sort_keys_kernelI22helper_blocked_stripedxLj64ELj1ELj10EEvPKT0_PS1_
; %bb.0:
	s_clause 0x1
	s_load_b128 s[16:19], s[0:1], 0x0
	s_load_b32 s10, s[0:1], 0x1c
	v_and_b32_e32 v8, 0x3ff, v0
	s_mov_b32 s21, 0
	s_lshl_b32 s20, s15, 6
	v_mbcnt_lo_u32_b32 v5, -1, 0
	s_lshl_b64 s[12:13], s[20:21], 3
	v_lshlrev_b32_e32 v1, 3, v8
	v_bfe_u32 v3, v0, 10, 10
	v_bfe_u32 v0, v0, 20, 10
	s_mov_b32 s20, s21
	v_and_b32_e32 v6, 16, v5
	v_add_nc_u32_e32 v7, -1, v5
	v_dual_mov_b32 v11, s20 :: v_dual_and_b32 v4, 15, v5
	v_dual_mov_b32 v12, s21 :: v_dual_and_b32 v13, 1, v5
	s_delay_alu instid0(VALU_DEP_4) | instskip(NEXT) | instid1(VALU_DEP_4)
	v_cmp_eq_u32_e64 s5, 0, v6
	v_cmp_gt_i32_e32 vcc_lo, 0, v7
	s_delay_alu instid0(VALU_DEP_4)
	v_cmp_lt_u32_e64 s2, 1, v4
	s_waitcnt lgkmcnt(0)
	s_add_u32 s0, s16, s12
	s_addc_u32 s1, s17, s13
	s_lshr_b32 s11, s10, 16
	global_load_b64 v[1:2], v1, s[0:1]
	s_mov_b32 s1, s21
	s_mov_b32 s0, s21
	s_delay_alu instid0(SALU_CYCLE_1)
	v_dual_mov_b32 v10, s1 :: v_dual_mov_b32 v9, s0
	v_mad_u32_u24 v0, v0, s11, v3
	v_lshlrev_b32_e32 v15, 5, v8
	v_dual_cndmask_b32 v7, v7, v5 :: v_dual_and_b32 v6, 32, v8
	v_lshrrev_b32_e32 v14, 3, v8
	s_and_b32 s10, s10, 0xffff
	v_cmp_eq_u32_e64 s1, 0, v4
	v_cmp_lt_u32_e64 s3, 3, v4
	v_cmp_lt_u32_e64 s4, 7, v4
	v_mad_u64_u32 v[3:4], null, v0, s10, v[8:9]
	v_cmp_eq_u32_e64 s9, 0, v13
	v_lshlrev_b32_e32 v13, 2, v8
	v_or_b32_e32 v20, 31, v6
	v_and_b32_e32 v17, 4, v14
	v_or_b32_e32 v0, v5, v6
	v_mad_i32_i24 v19, 0xffffffe4, v8, v15
	v_cmp_eq_u32_e64 s0, 0, v5
	v_cmp_gt_u32_e64 s6, 2, v8
	v_cmp_lt_u32_e64 s7, 31, v8
	v_cmp_eq_u32_e64 s8, 0, v8
	v_or_b32_e32 v16, 8, v15
	v_lshlrev_b32_e32 v18, 2, v7
	v_cmp_eq_u32_e64 s10, v20, v8
	v_add_nc_u32_e32 v20, -4, v17
	v_lshlrev_b32_e32 v21, 3, v0
	v_lshrrev_b32_e32 v22, 5, v3
	v_add_nc_u32_e32 v23, v19, v13
	s_waitcnt vmcnt(0)
	v_xor_b32_e32 v2, 0x80000000, v2
	s_branch .LBB288_2
.LBB288_1:                              ;   in Loop: Header=BB288_2 Depth=1
	s_delay_alu instid0(VALU_DEP_1)
	v_lshlrev_b32_e32 v0, 3, v0
	s_barrier
	buffer_gl0_inv
	s_add_i32 s21, s21, 1
	ds_store_b64 v0, v[13:14]
	s_waitcnt lgkmcnt(0)
	s_barrier
	buffer_gl0_inv
	ds_load_b64 v[1:2], v23
	s_cmp_eq_u32 s21, 10
	s_cbranch_scc1 .LBB288_14
.LBB288_2:                              ; =>This Loop Header: Depth=1
                                        ;     Child Loop BB288_4 Depth 2
	s_mov_b64 s[14:15], 0
	s_branch .LBB288_4
.LBB288_3:                              ;   in Loop: Header=BB288_4 Depth=2
	s_delay_alu instid0(VALU_DEP_1)
	v_lshlrev_b32_e32 v1, 3, v0
	s_barrier
	buffer_gl0_inv
	s_add_u32 s14, s14, 8
	ds_store_b64 v1, v[13:14]
	s_waitcnt lgkmcnt(0)
	s_barrier
	buffer_gl0_inv
	ds_load_b64 v[1:2], v21
	s_addc_u32 s15, s15, 0
	s_waitcnt lgkmcnt(0)
	s_barrier
	buffer_gl0_inv
	s_cbranch_execz .LBB288_1
.LBB288_4:                              ;   Parent Loop BB288_2 Depth=1
                                        ; =>  This Inner Loop Header: Depth=2
	s_waitcnt lgkmcnt(0)
	v_dual_mov_b32 v14, v2 :: v_dual_mov_b32 v13, v1
	ds_store_2addr_b64 v15, v[11:12], v[9:10] offset0:1 offset1:2
	ds_store_2addr_b64 v16, v[11:12], v[9:10] offset0:2 offset1:3
	s_waitcnt lgkmcnt(0)
	s_barrier
	buffer_gl0_inv
	v_lshrrev_b64 v[1:2], s14, v[13:14]
	; wave barrier
	s_delay_alu instid0(VALU_DEP_1)
	v_and_b32_e32 v0, 1, v1
	v_lshlrev_b32_e32 v2, 30, v1
	v_lshlrev_b32_e32 v3, 29, v1
	;; [unrolled: 1-line block ×4, first 2 shown]
	v_add_co_u32 v0, s11, v0, -1
	s_delay_alu instid0(VALU_DEP_1)
	v_cndmask_b32_e64 v5, 0, 1, s11
	v_not_b32_e32 v25, v2
	v_cmp_gt_i32_e64 s11, 0, v2
	v_not_b32_e32 v2, v3
	v_lshlrev_b32_e32 v7, 26, v1
	v_cmp_ne_u32_e32 vcc_lo, 0, v5
	v_ashrrev_i32_e32 v25, 31, v25
	v_lshlrev_b32_e32 v24, 25, v1
	v_ashrrev_i32_e32 v2, 31, v2
	v_lshlrev_b32_e32 v5, 24, v1
	v_xor_b32_e32 v0, vcc_lo, v0
	v_cmp_gt_i32_e32 vcc_lo, 0, v3
	v_not_b32_e32 v3, v4
	v_xor_b32_e32 v25, s11, v25
	v_cmp_gt_i32_e64 s11, 0, v4
	v_and_b32_e32 v0, exec_lo, v0
	v_not_b32_e32 v4, v6
	v_ashrrev_i32_e32 v3, 31, v3
	v_xor_b32_e32 v2, vcc_lo, v2
	v_cmp_gt_i32_e32 vcc_lo, 0, v6
	v_and_b32_e32 v0, v0, v25
	v_not_b32_e32 v6, v7
	v_ashrrev_i32_e32 v4, 31, v4
	v_xor_b32_e32 v3, s11, v3
	v_cmp_gt_i32_e64 s11, 0, v7
	v_and_b32_e32 v0, v0, v2
	v_not_b32_e32 v2, v24
	v_ashrrev_i32_e32 v6, 31, v6
	v_xor_b32_e32 v4, vcc_lo, v4
	v_cmp_gt_i32_e32 vcc_lo, 0, v24
	v_and_b32_e32 v0, v0, v3
	v_not_b32_e32 v3, v5
	v_ashrrev_i32_e32 v2, 31, v2
	v_xor_b32_e32 v6, s11, v6
	v_cmp_gt_i32_e64 s11, 0, v5
	v_and_b32_e32 v0, v0, v4
	v_ashrrev_i32_e32 v3, 31, v3
	v_xor_b32_e32 v2, vcc_lo, v2
	v_and_b32_e32 v1, 0xff, v1
	s_delay_alu instid0(VALU_DEP_4) | instskip(NEXT) | instid1(VALU_DEP_4)
	v_and_b32_e32 v0, v0, v6
	v_xor_b32_e32 v3, s11, v3
	s_delay_alu instid0(VALU_DEP_3) | instskip(NEXT) | instid1(VALU_DEP_3)
	v_lshl_add_u32 v1, v1, 1, v22
	v_and_b32_e32 v0, v0, v2
	s_delay_alu instid0(VALU_DEP_2) | instskip(NEXT) | instid1(VALU_DEP_2)
	v_lshl_add_u32 v25, v1, 2, 8
	v_and_b32_e32 v0, v0, v3
	s_delay_alu instid0(VALU_DEP_1) | instskip(SKIP_1) | instid1(VALU_DEP_2)
	v_mbcnt_lo_u32_b32 v24, v0, 0
	v_cmp_ne_u32_e64 s11, 0, v0
	v_cmp_eq_u32_e32 vcc_lo, 0, v24
	s_delay_alu instid0(VALU_DEP_2) | instskip(NEXT) | instid1(SALU_CYCLE_1)
	s_and_b32 s16, s11, vcc_lo
	s_and_saveexec_b32 s11, s16
	s_cbranch_execz .LBB288_6
; %bb.5:                                ;   in Loop: Header=BB288_4 Depth=2
	v_bcnt_u32_b32 v0, v0, 0
	ds_store_b32 v25, v0
.LBB288_6:                              ;   in Loop: Header=BB288_4 Depth=2
	s_or_b32 exec_lo, exec_lo, s11
	; wave barrier
	s_waitcnt lgkmcnt(0)
	s_barrier
	buffer_gl0_inv
	ds_load_2addr_b64 v[4:7], v15 offset0:1 offset1:2
	ds_load_2addr_b64 v[0:3], v16 offset0:2 offset1:3
	s_waitcnt lgkmcnt(1)
	v_add_nc_u32_e32 v26, v5, v4
	s_delay_alu instid0(VALU_DEP_1) | instskip(SKIP_1) | instid1(VALU_DEP_1)
	v_add3_u32 v26, v26, v6, v7
	s_waitcnt lgkmcnt(0)
	v_add3_u32 v26, v26, v0, v1
	s_delay_alu instid0(VALU_DEP_1) | instskip(NEXT) | instid1(VALU_DEP_1)
	v_add3_u32 v3, v26, v2, v3
	v_mov_b32_dpp v26, v3 row_shr:1 row_mask:0xf bank_mask:0xf
	s_delay_alu instid0(VALU_DEP_1) | instskip(NEXT) | instid1(VALU_DEP_1)
	v_cndmask_b32_e64 v26, v26, 0, s1
	v_add_nc_u32_e32 v3, v26, v3
	s_delay_alu instid0(VALU_DEP_1) | instskip(NEXT) | instid1(VALU_DEP_1)
	v_mov_b32_dpp v26, v3 row_shr:2 row_mask:0xf bank_mask:0xf
	v_cndmask_b32_e64 v26, 0, v26, s2
	s_delay_alu instid0(VALU_DEP_1) | instskip(NEXT) | instid1(VALU_DEP_1)
	v_add_nc_u32_e32 v3, v3, v26
	v_mov_b32_dpp v26, v3 row_shr:4 row_mask:0xf bank_mask:0xf
	s_delay_alu instid0(VALU_DEP_1) | instskip(NEXT) | instid1(VALU_DEP_1)
	v_cndmask_b32_e64 v26, 0, v26, s3
	v_add_nc_u32_e32 v3, v3, v26
	s_delay_alu instid0(VALU_DEP_1) | instskip(NEXT) | instid1(VALU_DEP_1)
	v_mov_b32_dpp v26, v3 row_shr:8 row_mask:0xf bank_mask:0xf
	v_cndmask_b32_e64 v26, 0, v26, s4
	s_delay_alu instid0(VALU_DEP_1) | instskip(SKIP_3) | instid1(VALU_DEP_1)
	v_add_nc_u32_e32 v3, v3, v26
	ds_swizzle_b32 v26, v3 offset:swizzle(BROADCAST,32,15)
	s_waitcnt lgkmcnt(0)
	v_cndmask_b32_e64 v26, v26, 0, s5
	v_add_nc_u32_e32 v3, v3, v26
	s_and_saveexec_b32 s11, s10
	s_cbranch_execz .LBB288_8
; %bb.7:                                ;   in Loop: Header=BB288_4 Depth=2
	ds_store_b32 v17, v3
.LBB288_8:                              ;   in Loop: Header=BB288_4 Depth=2
	s_or_b32 exec_lo, exec_lo, s11
	s_waitcnt lgkmcnt(0)
	s_barrier
	buffer_gl0_inv
	s_and_saveexec_b32 s11, s6
	s_cbranch_execz .LBB288_10
; %bb.9:                                ;   in Loop: Header=BB288_4 Depth=2
	ds_load_b32 v26, v19
	s_waitcnt lgkmcnt(0)
	v_mov_b32_dpp v27, v26 row_shr:1 row_mask:0xf bank_mask:0xf
	s_delay_alu instid0(VALU_DEP_1) | instskip(NEXT) | instid1(VALU_DEP_1)
	v_cndmask_b32_e64 v27, v27, 0, s9
	v_add_nc_u32_e32 v26, v27, v26
	ds_store_b32 v19, v26
.LBB288_10:                             ;   in Loop: Header=BB288_4 Depth=2
	s_or_b32 exec_lo, exec_lo, s11
	v_mov_b32_e32 v26, 0
	s_waitcnt lgkmcnt(0)
	s_barrier
	buffer_gl0_inv
	s_and_saveexec_b32 s11, s7
	s_cbranch_execz .LBB288_12
; %bb.11:                               ;   in Loop: Header=BB288_4 Depth=2
	ds_load_b32 v26, v20
.LBB288_12:                             ;   in Loop: Header=BB288_4 Depth=2
	s_or_b32 exec_lo, exec_lo, s11
	s_waitcnt lgkmcnt(0)
	v_add_nc_u32_e32 v3, v26, v3
	s_cmp_gt_u32 s14, 55
	ds_bpermute_b32 v3, v18, v3
	s_waitcnt lgkmcnt(0)
	v_cndmask_b32_e64 v3, v3, v26, s0
	s_delay_alu instid0(VALU_DEP_1) | instskip(NEXT) | instid1(VALU_DEP_1)
	v_cndmask_b32_e64 v3, v3, 0, s8
	v_add_nc_u32_e32 v4, v3, v4
	s_delay_alu instid0(VALU_DEP_1) | instskip(NEXT) | instid1(VALU_DEP_1)
	v_add_nc_u32_e32 v5, v4, v5
	v_add_nc_u32_e32 v6, v5, v6
	s_delay_alu instid0(VALU_DEP_1) | instskip(NEXT) | instid1(VALU_DEP_1)
	v_add_nc_u32_e32 v26, v6, v7
	;; [unrolled: 3-line block ×3, first 2 shown]
	v_add_nc_u32_e32 v1, v0, v2
	ds_store_2addr_b64 v15, v[3:4], v[5:6] offset0:1 offset1:2
	ds_store_2addr_b64 v16, v[26:27], v[0:1] offset0:2 offset1:3
	s_waitcnt lgkmcnt(0)
	s_barrier
	buffer_gl0_inv
	ds_load_b32 v0, v25
	s_waitcnt lgkmcnt(0)
	v_add_nc_u32_e32 v0, v0, v24
	s_cbranch_scc0 .LBB288_3
; %bb.13:                               ;   in Loop: Header=BB288_2 Depth=1
                                        ; implicit-def: $vgpr1_vgpr2
                                        ; implicit-def: $sgpr14_sgpr15
	s_branch .LBB288_1
.LBB288_14:
	s_waitcnt lgkmcnt(0)
	v_xor_b32_e32 v2, 0x80000000, v2
	v_lshlrev_b32_e32 v0, 3, v8
	s_add_u32 s0, s18, s12
	s_addc_u32 s1, s19, s13
	global_store_b64 v0, v[1:2], s[0:1]
	s_nop 0
	s_sendmsg sendmsg(MSG_DEALLOC_VGPRS)
	s_endpgm
	.section	.rodata,"a",@progbits
	.p2align	6, 0x0
	.amdhsa_kernel _Z16sort_keys_kernelI22helper_blocked_stripedxLj64ELj1ELj10EEvPKT0_PS1_
		.amdhsa_group_segment_fixed_size 2064
		.amdhsa_private_segment_fixed_size 0
		.amdhsa_kernarg_size 272
		.amdhsa_user_sgpr_count 15
		.amdhsa_user_sgpr_dispatch_ptr 0
		.amdhsa_user_sgpr_queue_ptr 0
		.amdhsa_user_sgpr_kernarg_segment_ptr 1
		.amdhsa_user_sgpr_dispatch_id 0
		.amdhsa_user_sgpr_private_segment_size 0
		.amdhsa_wavefront_size32 1
		.amdhsa_uses_dynamic_stack 0
		.amdhsa_enable_private_segment 0
		.amdhsa_system_sgpr_workgroup_id_x 1
		.amdhsa_system_sgpr_workgroup_id_y 0
		.amdhsa_system_sgpr_workgroup_id_z 0
		.amdhsa_system_sgpr_workgroup_info 0
		.amdhsa_system_vgpr_workitem_id 2
		.amdhsa_next_free_vgpr 28
		.amdhsa_next_free_sgpr 22
		.amdhsa_reserve_vcc 1
		.amdhsa_float_round_mode_32 0
		.amdhsa_float_round_mode_16_64 0
		.amdhsa_float_denorm_mode_32 3
		.amdhsa_float_denorm_mode_16_64 3
		.amdhsa_dx10_clamp 1
		.amdhsa_ieee_mode 1
		.amdhsa_fp16_overflow 0
		.amdhsa_workgroup_processor_mode 1
		.amdhsa_memory_ordered 1
		.amdhsa_forward_progress 0
		.amdhsa_shared_vgpr_count 0
		.amdhsa_exception_fp_ieee_invalid_op 0
		.amdhsa_exception_fp_denorm_src 0
		.amdhsa_exception_fp_ieee_div_zero 0
		.amdhsa_exception_fp_ieee_overflow 0
		.amdhsa_exception_fp_ieee_underflow 0
		.amdhsa_exception_fp_ieee_inexact 0
		.amdhsa_exception_int_div_zero 0
	.end_amdhsa_kernel
	.section	.text._Z16sort_keys_kernelI22helper_blocked_stripedxLj64ELj1ELj10EEvPKT0_PS1_,"axG",@progbits,_Z16sort_keys_kernelI22helper_blocked_stripedxLj64ELj1ELj10EEvPKT0_PS1_,comdat
.Lfunc_end288:
	.size	_Z16sort_keys_kernelI22helper_blocked_stripedxLj64ELj1ELj10EEvPKT0_PS1_, .Lfunc_end288-_Z16sort_keys_kernelI22helper_blocked_stripedxLj64ELj1ELj10EEvPKT0_PS1_
                                        ; -- End function
	.section	.AMDGPU.csdata,"",@progbits
; Kernel info:
; codeLenInByte = 1392
; NumSgprs: 24
; NumVgprs: 28
; ScratchSize: 0
; MemoryBound: 0
; FloatMode: 240
; IeeeMode: 1
; LDSByteSize: 2064 bytes/workgroup (compile time only)
; SGPRBlocks: 2
; VGPRBlocks: 3
; NumSGPRsForWavesPerEU: 24
; NumVGPRsForWavesPerEU: 28
; Occupancy: 16
; WaveLimiterHint : 0
; COMPUTE_PGM_RSRC2:SCRATCH_EN: 0
; COMPUTE_PGM_RSRC2:USER_SGPR: 15
; COMPUTE_PGM_RSRC2:TRAP_HANDLER: 0
; COMPUTE_PGM_RSRC2:TGID_X_EN: 1
; COMPUTE_PGM_RSRC2:TGID_Y_EN: 0
; COMPUTE_PGM_RSRC2:TGID_Z_EN: 0
; COMPUTE_PGM_RSRC2:TIDIG_COMP_CNT: 2
	.section	.text._Z17sort_pairs_kernelI22helper_blocked_stripedxLj64ELj1ELj10EEvPKT0_PS1_,"axG",@progbits,_Z17sort_pairs_kernelI22helper_blocked_stripedxLj64ELj1ELj10EEvPKT0_PS1_,comdat
	.protected	_Z17sort_pairs_kernelI22helper_blocked_stripedxLj64ELj1ELj10EEvPKT0_PS1_ ; -- Begin function _Z17sort_pairs_kernelI22helper_blocked_stripedxLj64ELj1ELj10EEvPKT0_PS1_
	.globl	_Z17sort_pairs_kernelI22helper_blocked_stripedxLj64ELj1ELj10EEvPKT0_PS1_
	.p2align	8
	.type	_Z17sort_pairs_kernelI22helper_blocked_stripedxLj64ELj1ELj10EEvPKT0_PS1_,@function
_Z17sort_pairs_kernelI22helper_blocked_stripedxLj64ELj1ELj10EEvPKT0_PS1_: ; @_Z17sort_pairs_kernelI22helper_blocked_stripedxLj64ELj1ELj10EEvPKT0_PS1_
; %bb.0:
	s_clause 0x1
	s_load_b128 s[16:19], s[0:1], 0x0
	s_load_b32 s10, s[0:1], 0x1c
	v_and_b32_e32 v8, 0x3ff, v0
	s_mov_b32 s21, 0
	s_lshl_b32 s20, s15, 6
	v_mbcnt_lo_u32_b32 v5, -1, 0
	s_lshl_b64 s[12:13], s[20:21], 3
	v_lshlrev_b32_e32 v1, 3, v8
	v_bfe_u32 v3, v0, 10, 10
	v_bfe_u32 v0, v0, 20, 10
	s_mov_b32 s20, s21
	s_delay_alu instid0(SALU_CYCLE_1) | instskip(SKIP_3) | instid1(VALU_DEP_4)
	v_dual_mov_b32 v11, s20 :: v_dual_and_b32 v4, 15, v5
	v_and_b32_e32 v6, 16, v5
	v_dual_mov_b32 v12, s21 :: v_dual_add_nc_u32 v7, -1, v5
	v_and_b32_e32 v13, 1, v5
	v_cmp_lt_u32_e64 s2, 1, v4
	v_cmp_lt_u32_e64 s3, 3, v4
	;; [unrolled: 1-line block ×3, first 2 shown]
	s_waitcnt lgkmcnt(0)
	s_add_u32 s0, s16, s12
	s_addc_u32 s1, s17, s13
	s_lshr_b32 s11, s10, 16
	global_load_b64 v[1:2], v1, s[0:1]
	s_mov_b32 s1, s21
	s_mov_b32 s0, s21
	s_delay_alu instid0(SALU_CYCLE_1)
	v_dual_mov_b32 v10, s1 :: v_dual_mov_b32 v9, s0
	v_mad_u32_u24 v0, v0, s11, v3
	s_and_b32 s10, s10, 0xffff
	v_lshlrev_b32_e32 v17, 5, v8
	v_cmp_eq_u32_e64 s1, 0, v4
	v_cmp_eq_u32_e64 s5, 0, v6
	v_cmp_gt_i32_e32 vcc_lo, 0, v7
	v_and_b32_e32 v6, 32, v8
	v_lshrrev_b32_e32 v14, 3, v8
	v_mad_u64_u32 v[3:4], null, v0, s10, v[8:9]
	v_cndmask_b32_e32 v7, v7, v5, vcc_lo
	v_cmp_eq_u32_e64 s9, 0, v13
	v_lshlrev_b32_e32 v13, 2, v8
	v_or_b32_e32 v15, 31, v6
	v_and_b32_e32 v19, 4, v14
	v_or_b32_e32 v0, v5, v6
	v_mad_i32_i24 v21, 0xffffffe4, v8, v17
	v_lshrrev_b32_e32 v24, 5, v3
	v_cmp_eq_u32_e64 s0, 0, v5
	v_cmp_gt_u32_e64 s6, 2, v8
	v_cmp_lt_u32_e64 s7, 31, v8
	v_cmp_eq_u32_e64 s8, 0, v8
	v_or_b32_e32 v18, 8, v17
	v_lshlrev_b32_e32 v20, 2, v7
	v_cmp_eq_u32_e64 s10, v15, v8
	v_add_nc_u32_e32 v22, -4, v19
	v_lshlrev_b32_e32 v23, 3, v0
	v_add_nc_u32_e32 v25, v21, v13
	s_waitcnt vmcnt(0)
	v_add_co_u32 v3, vcc_lo, v1, 1
	v_add_co_ci_u32_e32 v4, vcc_lo, 0, v2, vcc_lo
	v_xor_b32_e32 v2, 0x80000000, v2
	s_branch .LBB289_2
.LBB289_1:                              ;   in Loop: Header=BB289_2 Depth=1
	s_delay_alu instid0(VALU_DEP_1)
	v_lshlrev_b32_e32 v0, 3, v0
	s_barrier
	buffer_gl0_inv
	s_add_i32 s21, s21, 1
	ds_store_b64 v0, v[13:14]
	s_waitcnt lgkmcnt(0)
	s_barrier
	buffer_gl0_inv
	ds_load_b64 v[1:2], v25
	s_waitcnt lgkmcnt(0)
	s_barrier
	buffer_gl0_inv
	ds_store_b64 v0, v[15:16]
	s_waitcnt lgkmcnt(0)
	s_barrier
	buffer_gl0_inv
	ds_load_b64 v[3:4], v25
	s_cmp_lg_u32 s21, 10
	s_cbranch_scc0 .LBB289_14
.LBB289_2:                              ; =>This Loop Header: Depth=1
                                        ;     Child Loop BB289_4 Depth 2
	s_mov_b64 s[14:15], 0
	s_branch .LBB289_4
.LBB289_3:                              ;   in Loop: Header=BB289_4 Depth=2
	s_delay_alu instid0(VALU_DEP_1)
	v_lshlrev_b32_e32 v3, 3, v0
	s_barrier
	buffer_gl0_inv
	s_add_u32 s14, s14, 8
	ds_store_b64 v3, v[13:14]
	s_waitcnt lgkmcnt(0)
	s_barrier
	buffer_gl0_inv
	ds_load_b64 v[1:2], v23
	s_waitcnt lgkmcnt(0)
	s_barrier
	buffer_gl0_inv
	ds_store_b64 v3, v[15:16]
	s_waitcnt lgkmcnt(0)
	s_barrier
	buffer_gl0_inv
	ds_load_b64 v[3:4], v23
	s_addc_u32 s15, s15, 0
	s_waitcnt lgkmcnt(0)
	s_barrier
	buffer_gl0_inv
	s_cbranch_execz .LBB289_1
.LBB289_4:                              ;   Parent Loop BB289_2 Depth=1
                                        ; =>  This Inner Loop Header: Depth=2
	s_delay_alu instid0(VALU_DEP_1)
	v_dual_mov_b32 v14, v2 :: v_dual_mov_b32 v13, v1
	ds_store_2addr_b64 v17, v[11:12], v[9:10] offset0:1 offset1:2
	ds_store_2addr_b64 v18, v[11:12], v[9:10] offset0:2 offset1:3
	s_waitcnt lgkmcnt(0)
	s_barrier
	buffer_gl0_inv
	v_lshrrev_b64 v[1:2], s14, v[13:14]
	; wave barrier
	s_delay_alu instid0(VALU_DEP_1)
	v_and_b32_e32 v0, 1, v1
	v_lshlrev_b32_e32 v2, 30, v1
	v_lshlrev_b32_e32 v5, 29, v1
	;; [unrolled: 1-line block ×4, first 2 shown]
	v_add_co_u32 v0, s11, v0, -1
	s_delay_alu instid0(VALU_DEP_1)
	v_cndmask_b32_e64 v7, 0, 1, s11
	v_not_b32_e32 v27, v2
	v_cmp_gt_i32_e64 s11, 0, v2
	v_not_b32_e32 v2, v5
	v_lshlrev_b32_e32 v16, 26, v1
	v_cmp_ne_u32_e32 vcc_lo, 0, v7
	v_ashrrev_i32_e32 v27, 31, v27
	v_lshlrev_b32_e32 v26, 25, v1
	v_ashrrev_i32_e32 v2, 31, v2
	v_lshlrev_b32_e32 v7, 24, v1
	v_xor_b32_e32 v0, vcc_lo, v0
	v_cmp_gt_i32_e32 vcc_lo, 0, v5
	v_not_b32_e32 v5, v6
	v_xor_b32_e32 v27, s11, v27
	v_cmp_gt_i32_e64 s11, 0, v6
	v_and_b32_e32 v0, exec_lo, v0
	v_not_b32_e32 v6, v15
	v_ashrrev_i32_e32 v5, 31, v5
	v_xor_b32_e32 v2, vcc_lo, v2
	v_cmp_gt_i32_e32 vcc_lo, 0, v15
	v_and_b32_e32 v0, v0, v27
	v_not_b32_e32 v15, v16
	v_ashrrev_i32_e32 v6, 31, v6
	v_xor_b32_e32 v5, s11, v5
	v_cmp_gt_i32_e64 s11, 0, v16
	v_and_b32_e32 v0, v0, v2
	v_not_b32_e32 v2, v26
	v_ashrrev_i32_e32 v15, 31, v15
	v_xor_b32_e32 v6, vcc_lo, v6
	v_cmp_gt_i32_e32 vcc_lo, 0, v26
	v_and_b32_e32 v0, v0, v5
	v_not_b32_e32 v5, v7
	v_ashrrev_i32_e32 v2, 31, v2
	v_xor_b32_e32 v15, s11, v15
	v_cmp_gt_i32_e64 s11, 0, v7
	v_and_b32_e32 v0, v0, v6
	v_ashrrev_i32_e32 v5, 31, v5
	v_xor_b32_e32 v2, vcc_lo, v2
	v_and_b32_e32 v1, 0xff, v1
	s_delay_alu instid0(VALU_DEP_4) | instskip(SKIP_2) | instid1(VALU_DEP_4)
	v_and_b32_e32 v0, v0, v15
	v_mov_b32_e32 v16, v4
	v_xor_b32_e32 v5, s11, v5
	v_lshl_add_u32 v1, v1, 1, v24
	s_delay_alu instid0(VALU_DEP_4) | instskip(NEXT) | instid1(VALU_DEP_2)
	v_dual_mov_b32 v15, v3 :: v_dual_and_b32 v0, v0, v2
	v_lshl_add_u32 v27, v1, 2, 8
	s_delay_alu instid0(VALU_DEP_2) | instskip(NEXT) | instid1(VALU_DEP_1)
	v_and_b32_e32 v0, v0, v5
	v_mbcnt_lo_u32_b32 v26, v0, 0
	v_cmp_ne_u32_e64 s11, 0, v0
	s_delay_alu instid0(VALU_DEP_2) | instskip(NEXT) | instid1(VALU_DEP_2)
	v_cmp_eq_u32_e32 vcc_lo, 0, v26
	s_and_b32 s16, s11, vcc_lo
	s_delay_alu instid0(SALU_CYCLE_1)
	s_and_saveexec_b32 s11, s16
	s_cbranch_execz .LBB289_6
; %bb.5:                                ;   in Loop: Header=BB289_4 Depth=2
	v_bcnt_u32_b32 v0, v0, 0
	ds_store_b32 v27, v0
.LBB289_6:                              ;   in Loop: Header=BB289_4 Depth=2
	s_or_b32 exec_lo, exec_lo, s11
	; wave barrier
	s_waitcnt lgkmcnt(0)
	s_barrier
	buffer_gl0_inv
	ds_load_2addr_b64 v[4:7], v17 offset0:1 offset1:2
	ds_load_2addr_b64 v[0:3], v18 offset0:2 offset1:3
	s_waitcnt lgkmcnt(1)
	v_add_nc_u32_e32 v28, v5, v4
	s_delay_alu instid0(VALU_DEP_1) | instskip(SKIP_1) | instid1(VALU_DEP_1)
	v_add3_u32 v28, v28, v6, v7
	s_waitcnt lgkmcnt(0)
	v_add3_u32 v28, v28, v0, v1
	s_delay_alu instid0(VALU_DEP_1) | instskip(NEXT) | instid1(VALU_DEP_1)
	v_add3_u32 v3, v28, v2, v3
	v_mov_b32_dpp v28, v3 row_shr:1 row_mask:0xf bank_mask:0xf
	s_delay_alu instid0(VALU_DEP_1) | instskip(NEXT) | instid1(VALU_DEP_1)
	v_cndmask_b32_e64 v28, v28, 0, s1
	v_add_nc_u32_e32 v3, v28, v3
	s_delay_alu instid0(VALU_DEP_1) | instskip(NEXT) | instid1(VALU_DEP_1)
	v_mov_b32_dpp v28, v3 row_shr:2 row_mask:0xf bank_mask:0xf
	v_cndmask_b32_e64 v28, 0, v28, s2
	s_delay_alu instid0(VALU_DEP_1) | instskip(NEXT) | instid1(VALU_DEP_1)
	v_add_nc_u32_e32 v3, v3, v28
	v_mov_b32_dpp v28, v3 row_shr:4 row_mask:0xf bank_mask:0xf
	s_delay_alu instid0(VALU_DEP_1) | instskip(NEXT) | instid1(VALU_DEP_1)
	v_cndmask_b32_e64 v28, 0, v28, s3
	v_add_nc_u32_e32 v3, v3, v28
	s_delay_alu instid0(VALU_DEP_1) | instskip(NEXT) | instid1(VALU_DEP_1)
	v_mov_b32_dpp v28, v3 row_shr:8 row_mask:0xf bank_mask:0xf
	v_cndmask_b32_e64 v28, 0, v28, s4
	s_delay_alu instid0(VALU_DEP_1) | instskip(SKIP_3) | instid1(VALU_DEP_1)
	v_add_nc_u32_e32 v3, v3, v28
	ds_swizzle_b32 v28, v3 offset:swizzle(BROADCAST,32,15)
	s_waitcnt lgkmcnt(0)
	v_cndmask_b32_e64 v28, v28, 0, s5
	v_add_nc_u32_e32 v3, v3, v28
	s_and_saveexec_b32 s11, s10
	s_cbranch_execz .LBB289_8
; %bb.7:                                ;   in Loop: Header=BB289_4 Depth=2
	ds_store_b32 v19, v3
.LBB289_8:                              ;   in Loop: Header=BB289_4 Depth=2
	s_or_b32 exec_lo, exec_lo, s11
	s_waitcnt lgkmcnt(0)
	s_barrier
	buffer_gl0_inv
	s_and_saveexec_b32 s11, s6
	s_cbranch_execz .LBB289_10
; %bb.9:                                ;   in Loop: Header=BB289_4 Depth=2
	ds_load_b32 v28, v21
	s_waitcnt lgkmcnt(0)
	v_mov_b32_dpp v29, v28 row_shr:1 row_mask:0xf bank_mask:0xf
	s_delay_alu instid0(VALU_DEP_1) | instskip(NEXT) | instid1(VALU_DEP_1)
	v_cndmask_b32_e64 v29, v29, 0, s9
	v_add_nc_u32_e32 v28, v29, v28
	ds_store_b32 v21, v28
.LBB289_10:                             ;   in Loop: Header=BB289_4 Depth=2
	s_or_b32 exec_lo, exec_lo, s11
	v_mov_b32_e32 v28, 0
	s_waitcnt lgkmcnt(0)
	s_barrier
	buffer_gl0_inv
	s_and_saveexec_b32 s11, s7
	s_cbranch_execz .LBB289_12
; %bb.11:                               ;   in Loop: Header=BB289_4 Depth=2
	ds_load_b32 v28, v22
.LBB289_12:                             ;   in Loop: Header=BB289_4 Depth=2
	s_or_b32 exec_lo, exec_lo, s11
	s_waitcnt lgkmcnt(0)
	v_add_nc_u32_e32 v3, v28, v3
	s_cmp_gt_u32 s14, 55
	ds_bpermute_b32 v3, v20, v3
	s_waitcnt lgkmcnt(0)
	v_cndmask_b32_e64 v3, v3, v28, s0
	s_delay_alu instid0(VALU_DEP_1) | instskip(NEXT) | instid1(VALU_DEP_1)
	v_cndmask_b32_e64 v3, v3, 0, s8
	v_add_nc_u32_e32 v4, v3, v4
	s_delay_alu instid0(VALU_DEP_1) | instskip(NEXT) | instid1(VALU_DEP_1)
	v_add_nc_u32_e32 v5, v4, v5
	v_add_nc_u32_e32 v6, v5, v6
	s_delay_alu instid0(VALU_DEP_1) | instskip(NEXT) | instid1(VALU_DEP_1)
	v_add_nc_u32_e32 v28, v6, v7
	v_add_nc_u32_e32 v29, v28, v0
	s_delay_alu instid0(VALU_DEP_1) | instskip(NEXT) | instid1(VALU_DEP_1)
	v_add_nc_u32_e32 v0, v29, v1
	v_add_nc_u32_e32 v1, v0, v2
	ds_store_2addr_b64 v17, v[3:4], v[5:6] offset0:1 offset1:2
	ds_store_2addr_b64 v18, v[28:29], v[0:1] offset0:2 offset1:3
	s_waitcnt lgkmcnt(0)
	s_barrier
	buffer_gl0_inv
	ds_load_b32 v0, v27
	s_waitcnt lgkmcnt(0)
	v_add_nc_u32_e32 v0, v0, v26
	s_cbranch_scc0 .LBB289_3
; %bb.13:                               ;   in Loop: Header=BB289_2 Depth=1
                                        ; implicit-def: $vgpr3_vgpr4
                                        ; implicit-def: $vgpr1_vgpr2
                                        ; implicit-def: $sgpr14_sgpr15
	s_branch .LBB289_1
.LBB289_14:
	s_waitcnt lgkmcnt(0)
	v_add_co_u32 v0, vcc_lo, v3, v1
	v_add_co_ci_u32_e32 v1, vcc_lo, v4, v2, vcc_lo
	v_lshlrev_b32_e32 v2, 3, v8
	s_delay_alu instid0(VALU_DEP_3) | instskip(NEXT) | instid1(VALU_DEP_3)
	v_add_co_u32 v0, vcc_lo, v0, 0
	v_add_co_ci_u32_e32 v1, vcc_lo, 0x80000000, v1, vcc_lo
	s_add_u32 s0, s18, s12
	s_addc_u32 s1, s19, s13
	global_store_b64 v2, v[0:1], s[0:1]
	s_nop 0
	s_sendmsg sendmsg(MSG_DEALLOC_VGPRS)
	s_endpgm
	.section	.rodata,"a",@progbits
	.p2align	6, 0x0
	.amdhsa_kernel _Z17sort_pairs_kernelI22helper_blocked_stripedxLj64ELj1ELj10EEvPKT0_PS1_
		.amdhsa_group_segment_fixed_size 2064
		.amdhsa_private_segment_fixed_size 0
		.amdhsa_kernarg_size 272
		.amdhsa_user_sgpr_count 15
		.amdhsa_user_sgpr_dispatch_ptr 0
		.amdhsa_user_sgpr_queue_ptr 0
		.amdhsa_user_sgpr_kernarg_segment_ptr 1
		.amdhsa_user_sgpr_dispatch_id 0
		.amdhsa_user_sgpr_private_segment_size 0
		.amdhsa_wavefront_size32 1
		.amdhsa_uses_dynamic_stack 0
		.amdhsa_enable_private_segment 0
		.amdhsa_system_sgpr_workgroup_id_x 1
		.amdhsa_system_sgpr_workgroup_id_y 0
		.amdhsa_system_sgpr_workgroup_id_z 0
		.amdhsa_system_sgpr_workgroup_info 0
		.amdhsa_system_vgpr_workitem_id 2
		.amdhsa_next_free_vgpr 30
		.amdhsa_next_free_sgpr 22
		.amdhsa_reserve_vcc 1
		.amdhsa_float_round_mode_32 0
		.amdhsa_float_round_mode_16_64 0
		.amdhsa_float_denorm_mode_32 3
		.amdhsa_float_denorm_mode_16_64 3
		.amdhsa_dx10_clamp 1
		.amdhsa_ieee_mode 1
		.amdhsa_fp16_overflow 0
		.amdhsa_workgroup_processor_mode 1
		.amdhsa_memory_ordered 1
		.amdhsa_forward_progress 0
		.amdhsa_shared_vgpr_count 0
		.amdhsa_exception_fp_ieee_invalid_op 0
		.amdhsa_exception_fp_denorm_src 0
		.amdhsa_exception_fp_ieee_div_zero 0
		.amdhsa_exception_fp_ieee_overflow 0
		.amdhsa_exception_fp_ieee_underflow 0
		.amdhsa_exception_fp_ieee_inexact 0
		.amdhsa_exception_int_div_zero 0
	.end_amdhsa_kernel
	.section	.text._Z17sort_pairs_kernelI22helper_blocked_stripedxLj64ELj1ELj10EEvPKT0_PS1_,"axG",@progbits,_Z17sort_pairs_kernelI22helper_blocked_stripedxLj64ELj1ELj10EEvPKT0_PS1_,comdat
.Lfunc_end289:
	.size	_Z17sort_pairs_kernelI22helper_blocked_stripedxLj64ELj1ELj10EEvPKT0_PS1_, .Lfunc_end289-_Z17sort_pairs_kernelI22helper_blocked_stripedxLj64ELj1ELj10EEvPKT0_PS1_
                                        ; -- End function
	.section	.AMDGPU.csdata,"",@progbits
; Kernel info:
; codeLenInByte = 1528
; NumSgprs: 24
; NumVgprs: 30
; ScratchSize: 0
; MemoryBound: 0
; FloatMode: 240
; IeeeMode: 1
; LDSByteSize: 2064 bytes/workgroup (compile time only)
; SGPRBlocks: 2
; VGPRBlocks: 3
; NumSGPRsForWavesPerEU: 24
; NumVGPRsForWavesPerEU: 30
; Occupancy: 16
; WaveLimiterHint : 0
; COMPUTE_PGM_RSRC2:SCRATCH_EN: 0
; COMPUTE_PGM_RSRC2:USER_SGPR: 15
; COMPUTE_PGM_RSRC2:TRAP_HANDLER: 0
; COMPUTE_PGM_RSRC2:TGID_X_EN: 1
; COMPUTE_PGM_RSRC2:TGID_Y_EN: 0
; COMPUTE_PGM_RSRC2:TGID_Z_EN: 0
; COMPUTE_PGM_RSRC2:TIDIG_COMP_CNT: 2
	.section	.text._Z16sort_keys_kernelI22helper_blocked_stripedxLj64ELj3ELj10EEvPKT0_PS1_,"axG",@progbits,_Z16sort_keys_kernelI22helper_blocked_stripedxLj64ELj3ELj10EEvPKT0_PS1_,comdat
	.protected	_Z16sort_keys_kernelI22helper_blocked_stripedxLj64ELj3ELj10EEvPKT0_PS1_ ; -- Begin function _Z16sort_keys_kernelI22helper_blocked_stripedxLj64ELj3ELj10EEvPKT0_PS1_
	.globl	_Z16sort_keys_kernelI22helper_blocked_stripedxLj64ELj3ELj10EEvPKT0_PS1_
	.p2align	8
	.type	_Z16sort_keys_kernelI22helper_blocked_stripedxLj64ELj3ELj10EEvPKT0_PS1_,@function
_Z16sort_keys_kernelI22helper_blocked_stripedxLj64ELj3ELj10EEvPKT0_PS1_: ; @_Z16sort_keys_kernelI22helper_blocked_stripedxLj64ELj3ELj10EEvPKT0_PS1_
; %bb.0:
	s_clause 0x1
	s_load_b128 s[16:19], s[0:1], 0x0
	s_load_b32 s2, s[0:1], 0x1c
	s_mov_b32 s21, 0
	s_mul_i32 s20, s15, 0xc0
	v_bfe_u32 v9, v0, 10, 10
	s_lshl_b64 s[12:13], s[20:21], 3
	s_mov_b32 s20, s21
	v_and_b32_e32 v8, 0x3ff, v0
	v_bfe_u32 v0, v0, 20, 10
	v_mbcnt_lo_u32_b32 v12, -1, 0
	s_mov_b32 s14, s21
	s_mov_b32 s15, s21
	v_mul_u32_u24_e32 v1, 3, v8
	v_lshrrev_b32_e32 v7, 5, v8
	v_cmp_eq_u32_e64 s8, 0, v12
	s_delay_alu instid0(VALU_DEP_3) | instskip(NEXT) | instid1(VALU_DEP_3)
	v_lshlrev_b32_e32 v1, 3, v1
	v_mul_u32_u24_e32 v11, 0x60, v7
	v_lshlrev_b32_e32 v25, 2, v7
	s_waitcnt lgkmcnt(0)
	s_add_u32 s0, s16, s12
	s_addc_u32 s1, s17, s13
	s_clause 0x1
	global_load_b64 v[5:6], v1, s[0:1] offset:16
	global_load_b128 v[1:4], v1, s[0:1]
	s_lshr_b32 s0, s2, 16
	v_lshlrev_b32_e32 v13, 3, v11
	v_mad_u32_u24 v0, v0, s0, v9
	s_and_b32 s0, s2, 0xffff
	v_add_nc_u32_e32 v27, -4, v25
	s_delay_alu instid0(VALU_DEP_3) | instskip(NEXT) | instid1(VALU_DEP_3)
	v_mad_u32_u24 v20, v12, 24, v13
	v_mad_u64_u32 v[9:10], null, v0, s0, v[8:9]
	v_or_b32_e32 v0, v12, v11
	v_add_nc_u32_e32 v11, -1, v12
	v_and_b32_e32 v10, 15, v12
	s_delay_alu instid0(VALU_DEP_3)
	v_lshlrev_b32_e32 v21, 3, v0
	v_lshrrev_b32_e32 v23, 5, v9
	v_and_b32_e32 v9, 16, v12
	v_cmp_gt_i32_e32 vcc_lo, 0, v11
	v_cmp_eq_u32_e64 s0, 0, v10
	v_cmp_lt_u32_e64 s1, 1, v10
	v_cmp_lt_u32_e64 s2, 3, v10
	v_cmp_eq_u32_e64 s4, 0, v9
	v_cndmask_b32_e32 v9, v11, v12, vcc_lo
	v_cmp_lt_u32_e64 s3, 7, v10
	s_delay_alu instid0(VALU_DEP_2) | instskip(SKIP_1) | instid1(VALU_DEP_1)
	v_lshlrev_b32_e32 v24, 2, v9
	v_and_b32_e32 v9, 1, v12
	v_cmp_eq_u32_e64 s10, 0, v9
	v_dual_mov_b32 v9, s20 :: v_dual_and_b32 v0, 32, v8
	v_lshlrev_b32_e32 v19, 5, v8
	v_cmp_gt_u32_e64 s6, 2, v8
	v_cmp_lt_u32_e64 s7, 31, v8
	v_cmp_eq_u32_e64 s9, 0, v8
	v_or_b32_e32 v13, 31, v0
	v_mul_u32_u24_e32 v0, 3, v0
	v_mad_i32_i24 v26, 0xffffffe4, v8, v19
	v_or_b32_e32 v22, 8, v19
	v_mov_b32_e32 v10, s21
	v_cmp_eq_u32_e64 s5, v13, v8
	v_or_b32_e32 v0, v12, v0
	v_dual_mov_b32 v11, s14 :: v_dual_mov_b32 v12, s15
	s_delay_alu instid0(VALU_DEP_2) | instskip(SKIP_1) | instid1(VALU_DEP_1)
	v_lshlrev_b32_e32 v28, 3, v0
	v_lshlrev_b32_e32 v0, 2, v8
	v_add_nc_u32_e32 v29, v26, v0
	s_branch .LBB290_2
.LBB290_1:                              ;   in Loop: Header=BB290_2 Depth=1
	v_lshlrev_b32_e32 v0, 3, v30
	v_lshlrev_b32_e32 v1, 3, v7
	;; [unrolled: 1-line block ×3, first 2 shown]
	s_barrier
	buffer_gl0_inv
	ds_store_b64 v0, v[13:14]
	ds_store_b64 v1, v[17:18]
	ds_store_b64 v2, v[15:16]
	s_waitcnt lgkmcnt(0)
	s_barrier
	buffer_gl0_inv
	ds_load_2addr_stride64_b64 v[1:4], v29 offset1:1
	ds_load_b64 v[5:6], v29 offset:1024
	s_add_i32 s21, s21, 1
	s_delay_alu instid0(SALU_CYCLE_1)
	s_cmp_eq_u32 s21, 10
	s_waitcnt lgkmcnt(1)
	v_xor_b32_e32 v2, 0x80000000, v2
	v_xor_b32_e32 v4, 0x80000000, v4
	s_waitcnt lgkmcnt(0)
	v_xor_b32_e32 v6, 0x80000000, v6
	s_cbranch_scc1 .LBB290_18
.LBB290_2:                              ; =>This Loop Header: Depth=1
                                        ;     Child Loop BB290_4 Depth 2
	s_waitcnt vmcnt(0)
	v_xor_b32_e32 v2, 0x80000000, v2
	v_xor_b32_e32 v4, 0x80000000, v4
	v_xor_b32_e32 v6, 0x80000000, v6
	s_mov_b64 s[14:15], 0
	ds_store_2addr_b64 v20, v[1:2], v[3:4] offset1:1
	ds_store_b64 v20, v[5:6] offset:16
	; wave barrier
	ds_load_2addr_b64 v[0:3], v21 offset1:32
	ds_load_b64 v[4:5], v21 offset:512
	s_waitcnt lgkmcnt(0)
	s_barrier
	buffer_gl0_inv
	; wave barrier
	s_barrier
	s_branch .LBB290_4
.LBB290_3:                              ;   in Loop: Header=BB290_4 Depth=2
	v_lshlrev_b32_e32 v0, 3, v30
	v_lshlrev_b32_e32 v1, 3, v7
	s_delay_alu instid0(VALU_DEP_3)
	v_lshlrev_b32_e32 v2, 3, v6
	s_barrier
	buffer_gl0_inv
	ds_store_b64 v0, v[13:14]
	ds_store_b64 v1, v[17:18]
	ds_store_b64 v2, v[15:16]
	s_waitcnt lgkmcnt(0)
	s_barrier
	buffer_gl0_inv
	ds_load_2addr_b64 v[0:3], v28 offset1:32
	ds_load_b64 v[4:5], v28 offset:512
	s_add_u32 s14, s14, 8
	s_addc_u32 s15, s15, 0
	s_waitcnt lgkmcnt(0)
	s_barrier
	s_cbranch_execz .LBB290_1
.LBB290_4:                              ;   Parent Loop BB290_2 Depth=1
                                        ; =>  This Inner Loop Header: Depth=2
	v_dual_mov_b32 v14, v1 :: v_dual_mov_b32 v13, v0
	buffer_gl0_inv
	ds_store_2addr_b64 v19, v[9:10], v[11:12] offset0:1 offset1:2
	ds_store_2addr_b64 v22, v[9:10], v[11:12] offset0:2 offset1:3
	s_waitcnt lgkmcnt(0)
	s_barrier
	v_lshrrev_b64 v[6:7], s14, v[13:14]
	buffer_gl0_inv
	; wave barrier
	v_and_b32_e32 v0, 1, v6
	v_lshlrev_b32_e32 v1, 30, v6
	v_lshlrev_b32_e32 v7, 29, v6
	;; [unrolled: 1-line block ×4, first 2 shown]
	v_add_co_u32 v0, s11, v0, -1
	s_delay_alu instid0(VALU_DEP_1)
	v_cndmask_b32_e64 v16, 0, 1, s11
	v_not_b32_e32 v31, v1
	v_cmp_gt_i32_e64 s11, 0, v1
	v_not_b32_e32 v1, v7
	v_lshlrev_b32_e32 v18, 26, v6
	v_cmp_ne_u32_e32 vcc_lo, 0, v16
	v_ashrrev_i32_e32 v31, 31, v31
	v_lshlrev_b32_e32 v30, 25, v6
	v_ashrrev_i32_e32 v1, 31, v1
	v_lshlrev_b32_e32 v16, 24, v6
	v_xor_b32_e32 v0, vcc_lo, v0
	v_cmp_gt_i32_e32 vcc_lo, 0, v7
	v_not_b32_e32 v7, v15
	v_xor_b32_e32 v31, s11, v31
	v_cmp_gt_i32_e64 s11, 0, v15
	v_and_b32_e32 v0, exec_lo, v0
	v_not_b32_e32 v15, v17
	v_ashrrev_i32_e32 v7, 31, v7
	v_xor_b32_e32 v1, vcc_lo, v1
	v_cmp_gt_i32_e32 vcc_lo, 0, v17
	v_and_b32_e32 v0, v0, v31
	v_not_b32_e32 v17, v18
	v_ashrrev_i32_e32 v15, 31, v15
	v_xor_b32_e32 v7, s11, v7
	v_cmp_gt_i32_e64 s11, 0, v18
	v_and_b32_e32 v0, v0, v1
	v_not_b32_e32 v1, v30
	v_ashrrev_i32_e32 v17, 31, v17
	v_xor_b32_e32 v15, vcc_lo, v15
	v_cmp_gt_i32_e32 vcc_lo, 0, v30
	v_and_b32_e32 v0, v0, v7
	v_not_b32_e32 v7, v16
	v_ashrrev_i32_e32 v1, 31, v1
	v_xor_b32_e32 v17, s11, v17
	v_cmp_gt_i32_e64 s11, 0, v16
	v_and_b32_e32 v0, v0, v15
	v_ashrrev_i32_e32 v7, 31, v7
	v_xor_b32_e32 v1, vcc_lo, v1
	v_dual_mov_b32 v16, v5 :: v_dual_mov_b32 v15, v4
	s_delay_alu instid0(VALU_DEP_4) | instskip(NEXT) | instid1(VALU_DEP_4)
	v_and_b32_e32 v0, v0, v17
	v_xor_b32_e32 v7, s11, v7
	v_dual_mov_b32 v18, v3 :: v_dual_mov_b32 v17, v2
	s_delay_alu instid0(VALU_DEP_3) | instskip(SKIP_1) | instid1(VALU_DEP_2)
	v_and_b32_e32 v0, v0, v1
	v_and_b32_e32 v1, 0xff, v6
	v_and_b32_e32 v0, v0, v7
	s_delay_alu instid0(VALU_DEP_2) | instskip(NEXT) | instid1(VALU_DEP_2)
	v_lshl_add_u32 v1, v1, 1, v23
	v_mbcnt_lo_u32_b32 v30, v0, 0
	v_cmp_ne_u32_e64 s11, 0, v0
	s_delay_alu instid0(VALU_DEP_3) | instskip(NEXT) | instid1(VALU_DEP_3)
	v_lshl_add_u32 v31, v1, 2, 8
	v_cmp_eq_u32_e32 vcc_lo, 0, v30
	s_delay_alu instid0(VALU_DEP_3) | instskip(NEXT) | instid1(SALU_CYCLE_1)
	s_and_b32 s16, s11, vcc_lo
	s_and_saveexec_b32 s11, s16
	s_cbranch_execz .LBB290_6
; %bb.5:                                ;   in Loop: Header=BB290_4 Depth=2
	v_bcnt_u32_b32 v0, v0, 0
	ds_store_b32 v31, v0
.LBB290_6:                              ;   in Loop: Header=BB290_4 Depth=2
	s_or_b32 exec_lo, exec_lo, s11
	v_lshrrev_b64 v[0:1], s14, v[17:18]
	; wave barrier
	s_delay_alu instid0(VALU_DEP_1)
	v_and_b32_e32 v2, 1, v0
	v_lshlrev_b32_e32 v3, 30, v0
	v_lshlrev_b32_e32 v4, 29, v0
	;; [unrolled: 1-line block ×4, first 2 shown]
	v_add_co_u32 v2, s11, v2, -1
	s_delay_alu instid0(VALU_DEP_1)
	v_cndmask_b32_e64 v6, 0, 1, s11
	v_not_b32_e32 v34, v3
	v_cmp_gt_i32_e64 s11, 0, v3
	v_not_b32_e32 v3, v4
	v_lshlrev_b32_e32 v32, 26, v0
	v_cmp_ne_u32_e32 vcc_lo, 0, v6
	v_ashrrev_i32_e32 v6, 31, v34
	v_lshlrev_b32_e32 v33, 25, v0
	v_ashrrev_i32_e32 v3, 31, v3
	v_and_b32_e32 v1, 0xff, v0
	v_xor_b32_e32 v2, vcc_lo, v2
	v_cmp_gt_i32_e32 vcc_lo, 0, v4
	v_not_b32_e32 v4, v5
	v_xor_b32_e32 v6, s11, v6
	v_cmp_gt_i32_e64 s11, 0, v5
	v_and_b32_e32 v2, exec_lo, v2
	v_not_b32_e32 v5, v7
	v_ashrrev_i32_e32 v4, 31, v4
	v_xor_b32_e32 v3, vcc_lo, v3
	v_cmp_gt_i32_e32 vcc_lo, 0, v7
	v_and_b32_e32 v2, v2, v6
	v_not_b32_e32 v6, v32
	v_ashrrev_i32_e32 v5, 31, v5
	v_xor_b32_e32 v4, s11, v4
	v_lshlrev_b32_e32 v0, 24, v0
	v_and_b32_e32 v2, v2, v3
	v_cmp_gt_i32_e64 s11, 0, v32
	v_not_b32_e32 v3, v33
	v_ashrrev_i32_e32 v6, 31, v6
	v_xor_b32_e32 v5, vcc_lo, v5
	v_and_b32_e32 v2, v2, v4
	v_cmp_gt_i32_e32 vcc_lo, 0, v33
	v_not_b32_e32 v4, v0
	v_ashrrev_i32_e32 v3, 31, v3
	v_xor_b32_e32 v6, s11, v6
	v_and_b32_e32 v2, v2, v5
	v_lshlrev_b32_e32 v1, 1, v1
	v_cmp_gt_i32_e64 s11, 0, v0
	v_ashrrev_i32_e32 v0, 31, v4
	v_xor_b32_e32 v3, vcc_lo, v3
	v_and_b32_e32 v2, v2, v6
	v_add_lshl_u32 v1, v1, v23, 2
	s_delay_alu instid0(VALU_DEP_4) | instskip(NEXT) | instid1(VALU_DEP_3)
	v_xor_b32_e32 v0, s11, v0
	v_and_b32_e32 v2, v2, v3
	ds_load_b32 v32, v1 offset:8
	v_add_nc_u32_e32 v34, 8, v1
	; wave barrier
	v_and_b32_e32 v0, v2, v0
	s_delay_alu instid0(VALU_DEP_1) | instskip(SKIP_1) | instid1(VALU_DEP_2)
	v_mbcnt_lo_u32_b32 v33, v0, 0
	v_cmp_ne_u32_e64 s11, 0, v0
	v_cmp_eq_u32_e32 vcc_lo, 0, v33
	s_delay_alu instid0(VALU_DEP_2) | instskip(NEXT) | instid1(SALU_CYCLE_1)
	s_and_b32 s16, s11, vcc_lo
	s_and_saveexec_b32 s11, s16
	s_cbranch_execz .LBB290_8
; %bb.7:                                ;   in Loop: Header=BB290_4 Depth=2
	s_waitcnt lgkmcnt(0)
	v_bcnt_u32_b32 v0, v0, v32
	ds_store_b32 v34, v0
.LBB290_8:                              ;   in Loop: Header=BB290_4 Depth=2
	s_or_b32 exec_lo, exec_lo, s11
	v_lshrrev_b64 v[0:1], s14, v[15:16]
	; wave barrier
	s_delay_alu instid0(VALU_DEP_1)
	v_and_b32_e32 v2, 1, v0
	v_lshlrev_b32_e32 v3, 30, v0
	v_lshlrev_b32_e32 v4, 29, v0
	;; [unrolled: 1-line block ×4, first 2 shown]
	v_add_co_u32 v2, s11, v2, -1
	s_delay_alu instid0(VALU_DEP_1)
	v_cndmask_b32_e64 v6, 0, 1, s11
	v_not_b32_e32 v37, v3
	v_cmp_gt_i32_e64 s11, 0, v3
	v_not_b32_e32 v3, v4
	v_lshlrev_b32_e32 v35, 26, v0
	v_cmp_ne_u32_e32 vcc_lo, 0, v6
	v_ashrrev_i32_e32 v6, 31, v37
	v_lshlrev_b32_e32 v36, 25, v0
	v_ashrrev_i32_e32 v3, 31, v3
	v_and_b32_e32 v1, 0xff, v0
	v_xor_b32_e32 v2, vcc_lo, v2
	v_cmp_gt_i32_e32 vcc_lo, 0, v4
	v_not_b32_e32 v4, v5
	v_xor_b32_e32 v6, s11, v6
	v_cmp_gt_i32_e64 s11, 0, v5
	v_and_b32_e32 v2, exec_lo, v2
	v_not_b32_e32 v5, v7
	v_ashrrev_i32_e32 v4, 31, v4
	v_xor_b32_e32 v3, vcc_lo, v3
	v_cmp_gt_i32_e32 vcc_lo, 0, v7
	v_and_b32_e32 v2, v2, v6
	v_not_b32_e32 v6, v35
	v_ashrrev_i32_e32 v5, 31, v5
	v_xor_b32_e32 v4, s11, v4
	v_lshlrev_b32_e32 v0, 24, v0
	v_and_b32_e32 v2, v2, v3
	v_cmp_gt_i32_e64 s11, 0, v35
	v_not_b32_e32 v3, v36
	v_ashrrev_i32_e32 v6, 31, v6
	v_xor_b32_e32 v5, vcc_lo, v5
	v_and_b32_e32 v2, v2, v4
	v_cmp_gt_i32_e32 vcc_lo, 0, v36
	v_not_b32_e32 v4, v0
	v_ashrrev_i32_e32 v3, 31, v3
	v_xor_b32_e32 v6, s11, v6
	v_and_b32_e32 v2, v2, v5
	v_lshlrev_b32_e32 v1, 1, v1
	v_cmp_gt_i32_e64 s11, 0, v0
	v_ashrrev_i32_e32 v0, 31, v4
	v_xor_b32_e32 v3, vcc_lo, v3
	v_and_b32_e32 v2, v2, v6
	v_add_lshl_u32 v1, v1, v23, 2
	s_delay_alu instid0(VALU_DEP_4) | instskip(NEXT) | instid1(VALU_DEP_3)
	v_xor_b32_e32 v0, s11, v0
	v_and_b32_e32 v2, v2, v3
	ds_load_b32 v35, v1 offset:8
	v_add_nc_u32_e32 v37, 8, v1
	; wave barrier
	v_and_b32_e32 v0, v2, v0
	s_delay_alu instid0(VALU_DEP_1) | instskip(SKIP_1) | instid1(VALU_DEP_2)
	v_mbcnt_lo_u32_b32 v36, v0, 0
	v_cmp_ne_u32_e64 s11, 0, v0
	v_cmp_eq_u32_e32 vcc_lo, 0, v36
	s_delay_alu instid0(VALU_DEP_2) | instskip(NEXT) | instid1(SALU_CYCLE_1)
	s_and_b32 s16, s11, vcc_lo
	s_and_saveexec_b32 s11, s16
	s_cbranch_execz .LBB290_10
; %bb.9:                                ;   in Loop: Header=BB290_4 Depth=2
	s_waitcnt lgkmcnt(0)
	v_bcnt_u32_b32 v0, v0, v35
	ds_store_b32 v37, v0
.LBB290_10:                             ;   in Loop: Header=BB290_4 Depth=2
	s_or_b32 exec_lo, exec_lo, s11
	; wave barrier
	s_waitcnt lgkmcnt(0)
	s_barrier
	buffer_gl0_inv
	ds_load_2addr_b64 v[4:7], v19 offset0:1 offset1:2
	ds_load_2addr_b64 v[0:3], v22 offset0:2 offset1:3
	s_waitcnt lgkmcnt(1)
	v_add_nc_u32_e32 v38, v5, v4
	s_delay_alu instid0(VALU_DEP_1) | instskip(SKIP_1) | instid1(VALU_DEP_1)
	v_add3_u32 v38, v38, v6, v7
	s_waitcnt lgkmcnt(0)
	v_add3_u32 v38, v38, v0, v1
	s_delay_alu instid0(VALU_DEP_1) | instskip(NEXT) | instid1(VALU_DEP_1)
	v_add3_u32 v3, v38, v2, v3
	v_mov_b32_dpp v38, v3 row_shr:1 row_mask:0xf bank_mask:0xf
	s_delay_alu instid0(VALU_DEP_1) | instskip(NEXT) | instid1(VALU_DEP_1)
	v_cndmask_b32_e64 v38, v38, 0, s0
	v_add_nc_u32_e32 v3, v38, v3
	s_delay_alu instid0(VALU_DEP_1) | instskip(NEXT) | instid1(VALU_DEP_1)
	v_mov_b32_dpp v38, v3 row_shr:2 row_mask:0xf bank_mask:0xf
	v_cndmask_b32_e64 v38, 0, v38, s1
	s_delay_alu instid0(VALU_DEP_1) | instskip(NEXT) | instid1(VALU_DEP_1)
	v_add_nc_u32_e32 v3, v3, v38
	v_mov_b32_dpp v38, v3 row_shr:4 row_mask:0xf bank_mask:0xf
	s_delay_alu instid0(VALU_DEP_1) | instskip(NEXT) | instid1(VALU_DEP_1)
	v_cndmask_b32_e64 v38, 0, v38, s2
	v_add_nc_u32_e32 v3, v3, v38
	s_delay_alu instid0(VALU_DEP_1) | instskip(NEXT) | instid1(VALU_DEP_1)
	v_mov_b32_dpp v38, v3 row_shr:8 row_mask:0xf bank_mask:0xf
	v_cndmask_b32_e64 v38, 0, v38, s3
	s_delay_alu instid0(VALU_DEP_1) | instskip(SKIP_3) | instid1(VALU_DEP_1)
	v_add_nc_u32_e32 v3, v3, v38
	ds_swizzle_b32 v38, v3 offset:swizzle(BROADCAST,32,15)
	s_waitcnt lgkmcnt(0)
	v_cndmask_b32_e64 v38, v38, 0, s4
	v_add_nc_u32_e32 v3, v3, v38
	s_and_saveexec_b32 s11, s5
	s_cbranch_execz .LBB290_12
; %bb.11:                               ;   in Loop: Header=BB290_4 Depth=2
	ds_store_b32 v25, v3
.LBB290_12:                             ;   in Loop: Header=BB290_4 Depth=2
	s_or_b32 exec_lo, exec_lo, s11
	s_waitcnt lgkmcnt(0)
	s_barrier
	buffer_gl0_inv
	s_and_saveexec_b32 s11, s6
	s_cbranch_execz .LBB290_14
; %bb.13:                               ;   in Loop: Header=BB290_4 Depth=2
	ds_load_b32 v38, v26
	s_waitcnt lgkmcnt(0)
	v_mov_b32_dpp v39, v38 row_shr:1 row_mask:0xf bank_mask:0xf
	s_delay_alu instid0(VALU_DEP_1) | instskip(NEXT) | instid1(VALU_DEP_1)
	v_cndmask_b32_e64 v39, v39, 0, s10
	v_add_nc_u32_e32 v38, v39, v38
	ds_store_b32 v26, v38
.LBB290_14:                             ;   in Loop: Header=BB290_4 Depth=2
	s_or_b32 exec_lo, exec_lo, s11
	v_mov_b32_e32 v38, 0
	s_waitcnt lgkmcnt(0)
	s_barrier
	buffer_gl0_inv
	s_and_saveexec_b32 s11, s7
	s_cbranch_execz .LBB290_16
; %bb.15:                               ;   in Loop: Header=BB290_4 Depth=2
	ds_load_b32 v38, v27
.LBB290_16:                             ;   in Loop: Header=BB290_4 Depth=2
	s_or_b32 exec_lo, exec_lo, s11
	s_waitcnt lgkmcnt(0)
	v_add_nc_u32_e32 v3, v38, v3
	s_cmp_gt_u32 s14, 55
	ds_bpermute_b32 v3, v24, v3
	s_waitcnt lgkmcnt(0)
	v_cndmask_b32_e64 v3, v3, v38, s8
	s_delay_alu instid0(VALU_DEP_1) | instskip(NEXT) | instid1(VALU_DEP_1)
	v_cndmask_b32_e64 v3, v3, 0, s9
	v_add_nc_u32_e32 v4, v3, v4
	s_delay_alu instid0(VALU_DEP_1) | instskip(NEXT) | instid1(VALU_DEP_1)
	v_add_nc_u32_e32 v5, v4, v5
	v_add_nc_u32_e32 v6, v5, v6
	s_delay_alu instid0(VALU_DEP_1) | instskip(NEXT) | instid1(VALU_DEP_1)
	v_add_nc_u32_e32 v38, v6, v7
	v_add_nc_u32_e32 v39, v38, v0
	s_delay_alu instid0(VALU_DEP_1) | instskip(NEXT) | instid1(VALU_DEP_1)
	v_add_nc_u32_e32 v0, v39, v1
	v_add_nc_u32_e32 v1, v0, v2
	ds_store_2addr_b64 v19, v[3:4], v[5:6] offset0:1 offset1:2
	ds_store_2addr_b64 v22, v[38:39], v[0:1] offset0:2 offset1:3
	s_waitcnt lgkmcnt(0)
	s_barrier
	buffer_gl0_inv
	ds_load_b32 v0, v31
	ds_load_b32 v1, v34
	;; [unrolled: 1-line block ×3, first 2 shown]
	s_waitcnt lgkmcnt(2)
	v_add_nc_u32_e32 v30, v0, v30
	s_waitcnt lgkmcnt(1)
	v_add3_u32 v7, v33, v32, v1
	s_waitcnt lgkmcnt(0)
	v_add3_u32 v6, v36, v35, v2
	s_cbranch_scc0 .LBB290_3
; %bb.17:                               ;   in Loop: Header=BB290_2 Depth=1
                                        ; implicit-def: $vgpr4_vgpr5
                                        ; implicit-def: $vgpr2_vgpr3
                                        ; implicit-def: $sgpr14_sgpr15
	s_branch .LBB290_1
.LBB290_18:
	v_lshlrev_b32_e32 v0, 3, v8
	s_add_u32 s0, s18, s12
	s_addc_u32 s1, s19, s13
	s_clause 0x2
	global_store_b64 v0, v[1:2], s[0:1]
	global_store_b64 v0, v[3:4], s[0:1] offset:512
	global_store_b64 v0, v[5:6], s[0:1] offset:1024
	s_nop 0
	s_sendmsg sendmsg(MSG_DEALLOC_VGPRS)
	s_endpgm
	.section	.rodata,"a",@progbits
	.p2align	6, 0x0
	.amdhsa_kernel _Z16sort_keys_kernelI22helper_blocked_stripedxLj64ELj3ELj10EEvPKT0_PS1_
		.amdhsa_group_segment_fixed_size 2064
		.amdhsa_private_segment_fixed_size 0
		.amdhsa_kernarg_size 272
		.amdhsa_user_sgpr_count 15
		.amdhsa_user_sgpr_dispatch_ptr 0
		.amdhsa_user_sgpr_queue_ptr 0
		.amdhsa_user_sgpr_kernarg_segment_ptr 1
		.amdhsa_user_sgpr_dispatch_id 0
		.amdhsa_user_sgpr_private_segment_size 0
		.amdhsa_wavefront_size32 1
		.amdhsa_uses_dynamic_stack 0
		.amdhsa_enable_private_segment 0
		.amdhsa_system_sgpr_workgroup_id_x 1
		.amdhsa_system_sgpr_workgroup_id_y 0
		.amdhsa_system_sgpr_workgroup_id_z 0
		.amdhsa_system_sgpr_workgroup_info 0
		.amdhsa_system_vgpr_workitem_id 2
		.amdhsa_next_free_vgpr 40
		.amdhsa_next_free_sgpr 22
		.amdhsa_reserve_vcc 1
		.amdhsa_float_round_mode_32 0
		.amdhsa_float_round_mode_16_64 0
		.amdhsa_float_denorm_mode_32 3
		.amdhsa_float_denorm_mode_16_64 3
		.amdhsa_dx10_clamp 1
		.amdhsa_ieee_mode 1
		.amdhsa_fp16_overflow 0
		.amdhsa_workgroup_processor_mode 1
		.amdhsa_memory_ordered 1
		.amdhsa_forward_progress 0
		.amdhsa_shared_vgpr_count 0
		.amdhsa_exception_fp_ieee_invalid_op 0
		.amdhsa_exception_fp_denorm_src 0
		.amdhsa_exception_fp_ieee_div_zero 0
		.amdhsa_exception_fp_ieee_overflow 0
		.amdhsa_exception_fp_ieee_underflow 0
		.amdhsa_exception_fp_ieee_inexact 0
		.amdhsa_exception_int_div_zero 0
	.end_amdhsa_kernel
	.section	.text._Z16sort_keys_kernelI22helper_blocked_stripedxLj64ELj3ELj10EEvPKT0_PS1_,"axG",@progbits,_Z16sort_keys_kernelI22helper_blocked_stripedxLj64ELj3ELj10EEvPKT0_PS1_,comdat
.Lfunc_end290:
	.size	_Z16sort_keys_kernelI22helper_blocked_stripedxLj64ELj3ELj10EEvPKT0_PS1_, .Lfunc_end290-_Z16sort_keys_kernelI22helper_blocked_stripedxLj64ELj3ELj10EEvPKT0_PS1_
                                        ; -- End function
	.section	.AMDGPU.csdata,"",@progbits
; Kernel info:
; codeLenInByte = 2336
; NumSgprs: 24
; NumVgprs: 40
; ScratchSize: 0
; MemoryBound: 0
; FloatMode: 240
; IeeeMode: 1
; LDSByteSize: 2064 bytes/workgroup (compile time only)
; SGPRBlocks: 2
; VGPRBlocks: 4
; NumSGPRsForWavesPerEU: 24
; NumVGPRsForWavesPerEU: 40
; Occupancy: 16
; WaveLimiterHint : 1
; COMPUTE_PGM_RSRC2:SCRATCH_EN: 0
; COMPUTE_PGM_RSRC2:USER_SGPR: 15
; COMPUTE_PGM_RSRC2:TRAP_HANDLER: 0
; COMPUTE_PGM_RSRC2:TGID_X_EN: 1
; COMPUTE_PGM_RSRC2:TGID_Y_EN: 0
; COMPUTE_PGM_RSRC2:TGID_Z_EN: 0
; COMPUTE_PGM_RSRC2:TIDIG_COMP_CNT: 2
	.section	.text._Z17sort_pairs_kernelI22helper_blocked_stripedxLj64ELj3ELj10EEvPKT0_PS1_,"axG",@progbits,_Z17sort_pairs_kernelI22helper_blocked_stripedxLj64ELj3ELj10EEvPKT0_PS1_,comdat
	.protected	_Z17sort_pairs_kernelI22helper_blocked_stripedxLj64ELj3ELj10EEvPKT0_PS1_ ; -- Begin function _Z17sort_pairs_kernelI22helper_blocked_stripedxLj64ELj3ELj10EEvPKT0_PS1_
	.globl	_Z17sort_pairs_kernelI22helper_blocked_stripedxLj64ELj3ELj10EEvPKT0_PS1_
	.p2align	8
	.type	_Z17sort_pairs_kernelI22helper_blocked_stripedxLj64ELj3ELj10EEvPKT0_PS1_,@function
_Z17sort_pairs_kernelI22helper_blocked_stripedxLj64ELj3ELj10EEvPKT0_PS1_: ; @_Z17sort_pairs_kernelI22helper_blocked_stripedxLj64ELj3ELj10EEvPKT0_PS1_
; %bb.0:
	s_clause 0x1
	s_load_b128 s[16:19], s[0:1], 0x0
	s_load_b32 s10, s[0:1], 0x1c
	v_and_b32_e32 v9, 0x3ff, v0
	s_mov_b32 s21, 0
	s_mul_i32 s20, s15, 0xc0
	v_mbcnt_lo_u32_b32 v7, -1, 0
	s_lshl_b64 s[12:13], s[20:21], 3
	v_mul_u32_u24_e32 v1, 3, v9
	s_mov_b32 s20, s21
	s_delay_alu instid0(VALU_DEP_2) | instskip(NEXT) | instid1(VALU_DEP_2)
	v_add_nc_u32_e32 v16, -1, v7
	v_dual_mov_b32 v12, s20 :: v_dual_lshlrev_b32 v5, 3, v1
	v_dual_mov_b32 v13, s21 :: v_dual_and_b32 v8, 16, v7
	s_delay_alu instid0(VALU_DEP_3) | instskip(SKIP_2) | instid1(VALU_DEP_4)
	v_cmp_gt_i32_e32 vcc_lo, 0, v16
	v_and_b32_e32 v17, 1, v7
	v_and_b32_e32 v6, 15, v7
	v_cmp_eq_u32_e64 s5, 0, v8
	s_waitcnt lgkmcnt(0)
	s_add_u32 s0, s16, s12
	s_addc_u32 s1, s17, s13
	s_clause 0x1
	global_load_b128 v[1:4], v5, s[0:1]
	global_load_b64 v[14:15], v5, s[0:1] offset:16
	s_mov_b32 s1, s21
	s_mov_b32 s0, s21
	v_mov_b32_e32 v11, s1
	v_bfe_u32 v5, v0, 10, 10
	v_bfe_u32 v0, v0, 20, 10
	s_lshr_b32 s11, s10, 16
	v_mov_b32_e32 v10, s0
	v_cmp_eq_u32_e64 s1, 0, v6
	v_cmp_lt_u32_e64 s2, 1, v6
	v_cmp_lt_u32_e64 s3, 3, v6
	;; [unrolled: 1-line block ×3, first 2 shown]
	v_and_b32_e32 v6, 32, v9
	v_dual_cndmask_b32 v8, v16, v7 :: v_dual_lshlrev_b32 v19, 2, v9
	v_mad_u32_u24 v0, v0, s11, v5
	v_lshrrev_b32_e32 v18, 5, v9
	s_and_b32 s10, s10, 0xffff
	v_cmp_eq_u32_e64 s9, 0, v17
	v_or_b32_e32 v17, 31, v6
	v_lshlrev_b32_e32 v32, 2, v8
	v_mul_u32_u24_e32 v8, 3, v6
	v_mad_u64_u32 v[5:6], null, v0, s10, v[9:10]
	v_mul_u32_u24_e32 v16, 0x60, v18
	v_lshlrev_b32_e32 v30, 5, v9
	s_delay_alu instid0(VALU_DEP_4)
	v_or_b32_e32 v6, v7, v8
	v_lshlrev_b32_e32 v33, 2, v18
	v_cmp_eq_u32_e64 s0, 0, v7
	v_lshlrev_b32_e32 v18, 3, v16
	v_lshrrev_b32_e32 v39, 5, v5
	v_lshlrev_b32_e32 v38, 3, v6
	v_mad_i32_i24 v34, 0xffffffe4, v9, v30
	v_or_b32_e32 v0, v7, v16
	v_mad_u32_u24 v36, v7, 24, v18
	v_cmp_gt_u32_e64 s6, 2, v9
	v_cmp_lt_u32_e64 s7, 31, v9
	v_cmp_eq_u32_e64 s8, 0, v9
	v_or_b32_e32 v31, 8, v30
	v_cmp_eq_u32_e64 s10, v17, v9
	v_add_nc_u32_e32 v35, -4, v33
	v_lshlrev_b32_e32 v37, 3, v0
	v_add_nc_u32_e32 v40, v34, v19
	s_waitcnt vmcnt(1)
	v_add_co_u32 v5, vcc_lo, v1, 1
	v_add_co_ci_u32_e32 v6, vcc_lo, 0, v2, vcc_lo
	v_add_co_u32 v7, vcc_lo, v3, 1
	v_add_co_ci_u32_e32 v8, vcc_lo, 0, v4, vcc_lo
	s_waitcnt vmcnt(0)
	v_add_co_u32 v16, vcc_lo, v14, 1
	v_add_co_ci_u32_e32 v17, vcc_lo, 0, v15, vcc_lo
	s_branch .LBB291_2
.LBB291_1:                              ;   in Loop: Header=BB291_2 Depth=1
	v_lshlrev_b32_e32 v0, 3, v44
	v_lshlrev_b32_e32 v5, 3, v43
	;; [unrolled: 1-line block ×3, first 2 shown]
	s_barrier
	buffer_gl0_inv
	ds_store_b64 v0, v[14:15]
	ds_store_b64 v5, v[24:25]
	;; [unrolled: 1-line block ×3, first 2 shown]
	s_waitcnt lgkmcnt(0)
	s_barrier
	buffer_gl0_inv
	ds_load_2addr_stride64_b64 v[1:4], v40 offset1:1
	ds_load_b64 v[14:15], v40 offset:1024
	s_waitcnt lgkmcnt(0)
	s_barrier
	buffer_gl0_inv
	ds_store_b64 v0, v[20:21]
	ds_store_b64 v5, v[18:19]
	;; [unrolled: 1-line block ×3, first 2 shown]
	s_waitcnt lgkmcnt(0)
	s_barrier
	buffer_gl0_inv
	ds_load_2addr_stride64_b64 v[5:8], v40 offset1:1
	ds_load_b64 v[16:17], v40 offset:1024
	s_add_i32 s21, s21, 1
	s_delay_alu instid0(SALU_CYCLE_1)
	s_cmp_eq_u32 s21, 10
	v_xor_b32_e32 v2, 0x80000000, v2
	v_xor_b32_e32 v4, 0x80000000, v4
	;; [unrolled: 1-line block ×3, first 2 shown]
	s_cbranch_scc1 .LBB291_18
.LBB291_2:                              ; =>This Loop Header: Depth=1
                                        ;     Child Loop BB291_4 Depth 2
	s_delay_alu instid0(VALU_DEP_3) | instskip(NEXT) | instid1(VALU_DEP_3)
	v_xor_b32_e32 v2, 0x80000000, v2
	v_xor_b32_e32 v4, 0x80000000, v4
	s_delay_alu instid0(VALU_DEP_3)
	v_xor_b32_e32 v15, 0x80000000, v15
	s_mov_b64 s[14:15], 0
	ds_store_2addr_b64 v36, v[1:2], v[3:4] offset1:1
	ds_store_b64 v36, v[14:15] offset:16
	; wave barrier
	ds_load_2addr_b64 v[0:3], v37 offset1:32
	ds_load_b64 v[26:27], v37 offset:512
	; wave barrier
	s_waitcnt lgkmcnt(5)
	ds_store_2addr_b64 v36, v[5:6], v[7:8] offset1:1
	s_waitcnt lgkmcnt(5)
	ds_store_b64 v36, v[16:17] offset:16
	; wave barrier
	ds_load_2addr_b64 v[4:7], v37 offset1:32
	ds_load_b64 v[28:29], v37 offset:512
	s_waitcnt lgkmcnt(0)
	s_barrier
	s_branch .LBB291_4
.LBB291_3:                              ;   in Loop: Header=BB291_4 Depth=2
	v_lshlrev_b32_e32 v4, 3, v44
	v_lshlrev_b32_e32 v5, 3, v43
	s_delay_alu instid0(VALU_DEP_3)
	v_lshlrev_b32_e32 v6, 3, v8
	s_barrier
	buffer_gl0_inv
	ds_store_b64 v4, v[14:15]
	ds_store_b64 v5, v[24:25]
	;; [unrolled: 1-line block ×3, first 2 shown]
	s_waitcnt lgkmcnt(0)
	s_barrier
	buffer_gl0_inv
	ds_load_2addr_b64 v[0:3], v38 offset1:32
	ds_load_b64 v[26:27], v38 offset:512
	s_waitcnt lgkmcnt(0)
	s_barrier
	buffer_gl0_inv
	ds_store_b64 v4, v[20:21]
	ds_store_b64 v5, v[18:19]
	ds_store_b64 v6, v[16:17]
	s_waitcnt lgkmcnt(0)
	s_barrier
	buffer_gl0_inv
	ds_load_2addr_b64 v[4:7], v38 offset1:32
	ds_load_b64 v[28:29], v38 offset:512
	s_add_u32 s14, s14, 8
	s_addc_u32 s15, s15, 0
	s_waitcnt lgkmcnt(0)
	s_barrier
	s_cbranch_execz .LBB291_1
.LBB291_4:                              ;   Parent Loop BB291_2 Depth=1
                                        ; =>  This Inner Loop Header: Depth=2
	v_dual_mov_b32 v15, v1 :: v_dual_mov_b32 v14, v0
	buffer_gl0_inv
	ds_store_2addr_b64 v30, v[12:13], v[10:11] offset0:1 offset1:2
	ds_store_2addr_b64 v31, v[12:13], v[10:11] offset0:2 offset1:3
	s_waitcnt lgkmcnt(0)
	s_barrier
	v_lshrrev_b64 v[41:42], s14, v[14:15]
	buffer_gl0_inv
	; wave barrier
	v_dual_mov_b32 v22, v26 :: v_dual_mov_b32 v25, v3
	v_dual_mov_b32 v23, v27 :: v_dual_and_b32 v0, 1, v41
	v_lshlrev_b32_e32 v1, 30, v41
	v_lshlrev_b32_e32 v8, 29, v41
	;; [unrolled: 1-line block ×3, first 2 shown]
	s_delay_alu instid0(VALU_DEP_4) | instskip(NEXT) | instid1(VALU_DEP_1)
	v_add_co_u32 v0, s11, v0, -1
	v_cndmask_b32_e64 v17, 0, 1, s11
	v_not_b32_e32 v21, v1
	v_cmp_gt_i32_e64 s11, 0, v1
	v_not_b32_e32 v1, v8
	v_lshlrev_b32_e32 v18, 27, v41
	v_cmp_ne_u32_e32 vcc_lo, 0, v17
	v_ashrrev_i32_e32 v21, 31, v21
	v_dual_mov_b32 v24, v2 :: v_dual_lshlrev_b32 v19, 26, v41
	v_ashrrev_i32_e32 v1, 31, v1
	v_xor_b32_e32 v0, vcc_lo, v0
	v_cmp_gt_i32_e32 vcc_lo, 0, v8
	v_not_b32_e32 v8, v16
	v_xor_b32_e32 v21, s11, v21
	v_cmp_gt_i32_e64 s11, 0, v16
	v_and_b32_e32 v0, exec_lo, v0
	v_not_b32_e32 v16, v18
	v_ashrrev_i32_e32 v8, 31, v8
	v_xor_b32_e32 v1, vcc_lo, v1
	v_cmp_gt_i32_e32 vcc_lo, 0, v18
	v_and_b32_e32 v0, v0, v21
	v_not_b32_e32 v18, v19
	v_ashrrev_i32_e32 v16, 31, v16
	v_xor_b32_e32 v8, s11, v8
	v_cmp_gt_i32_e64 s11, 0, v19
	v_and_b32_e32 v0, v0, v1
	v_ashrrev_i32_e32 v18, 31, v18
	v_xor_b32_e32 v16, vcc_lo, v16
	v_lshlrev_b32_e32 v20, 25, v41
	v_lshlrev_b32_e32 v17, 24, v41
	v_and_b32_e32 v0, v0, v8
	v_xor_b32_e32 v18, s11, v18
	s_delay_alu instid0(VALU_DEP_2) | instskip(NEXT) | instid1(VALU_DEP_1)
	v_and_b32_e32 v0, v0, v16
	v_dual_mov_b32 v19, v7 :: v_dual_and_b32 v0, v0, v18
	v_mov_b32_e32 v18, v6
	v_not_b32_e32 v1, v20
	v_cmp_gt_i32_e32 vcc_lo, 0, v20
	v_not_b32_e32 v8, v17
	v_cmp_gt_i32_e64 s11, 0, v17
	v_mov_b32_e32 v16, v28
	v_ashrrev_i32_e32 v1, 31, v1
	v_mov_b32_e32 v21, v5
	v_ashrrev_i32_e32 v8, 31, v8
	v_dual_mov_b32 v17, v29 :: v_dual_mov_b32 v20, v4
	s_delay_alu instid0(VALU_DEP_4) | instskip(NEXT) | instid1(VALU_DEP_3)
	v_xor_b32_e32 v1, vcc_lo, v1
	v_xor_b32_e32 v8, s11, v8
	s_delay_alu instid0(VALU_DEP_2) | instskip(SKIP_1) | instid1(VALU_DEP_2)
	v_and_b32_e32 v0, v0, v1
	v_and_b32_e32 v1, 0xff, v41
	v_and_b32_e32 v0, v0, v8
	s_delay_alu instid0(VALU_DEP_2) | instskip(NEXT) | instid1(VALU_DEP_2)
	v_lshl_add_u32 v1, v1, 1, v39
	v_mbcnt_lo_u32_b32 v8, v0, 0
	v_cmp_ne_u32_e64 s11, 0, v0
	s_delay_alu instid0(VALU_DEP_3) | instskip(NEXT) | instid1(VALU_DEP_3)
	v_lshl_add_u32 v26, v1, 2, 8
	v_cmp_eq_u32_e32 vcc_lo, 0, v8
	s_delay_alu instid0(VALU_DEP_3) | instskip(NEXT) | instid1(SALU_CYCLE_1)
	s_and_b32 s16, s11, vcc_lo
	s_and_saveexec_b32 s11, s16
	s_cbranch_execz .LBB291_6
; %bb.5:                                ;   in Loop: Header=BB291_4 Depth=2
	v_bcnt_u32_b32 v0, v0, 0
	ds_store_b32 v26, v0
.LBB291_6:                              ;   in Loop: Header=BB291_4 Depth=2
	s_or_b32 exec_lo, exec_lo, s11
	v_lshrrev_b64 v[0:1], s14, v[24:25]
	; wave barrier
	s_delay_alu instid0(VALU_DEP_1)
	v_and_b32_e32 v2, 1, v0
	v_lshlrev_b32_e32 v3, 30, v0
	v_lshlrev_b32_e32 v4, 29, v0
	;; [unrolled: 1-line block ×4, first 2 shown]
	v_add_co_u32 v2, s11, v2, -1
	s_delay_alu instid0(VALU_DEP_1)
	v_cndmask_b32_e64 v6, 0, 1, s11
	v_not_b32_e32 v29, v3
	v_cmp_gt_i32_e64 s11, 0, v3
	v_not_b32_e32 v3, v4
	v_lshlrev_b32_e32 v27, 26, v0
	v_cmp_ne_u32_e32 vcc_lo, 0, v6
	v_ashrrev_i32_e32 v6, 31, v29
	v_lshlrev_b32_e32 v28, 25, v0
	v_ashrrev_i32_e32 v3, 31, v3
	v_and_b32_e32 v1, 0xff, v0
	v_xor_b32_e32 v2, vcc_lo, v2
	v_cmp_gt_i32_e32 vcc_lo, 0, v4
	v_not_b32_e32 v4, v5
	v_xor_b32_e32 v6, s11, v6
	v_cmp_gt_i32_e64 s11, 0, v5
	v_and_b32_e32 v2, exec_lo, v2
	v_not_b32_e32 v5, v7
	v_ashrrev_i32_e32 v4, 31, v4
	v_xor_b32_e32 v3, vcc_lo, v3
	v_cmp_gt_i32_e32 vcc_lo, 0, v7
	v_and_b32_e32 v2, v2, v6
	v_not_b32_e32 v6, v27
	v_ashrrev_i32_e32 v5, 31, v5
	v_xor_b32_e32 v4, s11, v4
	v_lshlrev_b32_e32 v0, 24, v0
	v_and_b32_e32 v2, v2, v3
	v_cmp_gt_i32_e64 s11, 0, v27
	v_not_b32_e32 v3, v28
	v_ashrrev_i32_e32 v6, 31, v6
	v_xor_b32_e32 v5, vcc_lo, v5
	v_and_b32_e32 v2, v2, v4
	v_cmp_gt_i32_e32 vcc_lo, 0, v28
	v_not_b32_e32 v4, v0
	v_ashrrev_i32_e32 v3, 31, v3
	v_xor_b32_e32 v6, s11, v6
	v_and_b32_e32 v2, v2, v5
	v_lshlrev_b32_e32 v1, 1, v1
	v_cmp_gt_i32_e64 s11, 0, v0
	v_ashrrev_i32_e32 v0, 31, v4
	v_xor_b32_e32 v3, vcc_lo, v3
	v_and_b32_e32 v2, v2, v6
	v_add_lshl_u32 v1, v1, v39, 2
	s_delay_alu instid0(VALU_DEP_4) | instskip(NEXT) | instid1(VALU_DEP_3)
	v_xor_b32_e32 v0, s11, v0
	v_and_b32_e32 v2, v2, v3
	ds_load_b32 v27, v1 offset:8
	v_add_nc_u32_e32 v29, 8, v1
	; wave barrier
	v_and_b32_e32 v0, v2, v0
	s_delay_alu instid0(VALU_DEP_1) | instskip(SKIP_1) | instid1(VALU_DEP_2)
	v_mbcnt_lo_u32_b32 v28, v0, 0
	v_cmp_ne_u32_e64 s11, 0, v0
	v_cmp_eq_u32_e32 vcc_lo, 0, v28
	s_delay_alu instid0(VALU_DEP_2) | instskip(NEXT) | instid1(SALU_CYCLE_1)
	s_and_b32 s16, s11, vcc_lo
	s_and_saveexec_b32 s11, s16
	s_cbranch_execz .LBB291_8
; %bb.7:                                ;   in Loop: Header=BB291_4 Depth=2
	s_waitcnt lgkmcnt(0)
	v_bcnt_u32_b32 v0, v0, v27
	ds_store_b32 v29, v0
.LBB291_8:                              ;   in Loop: Header=BB291_4 Depth=2
	s_or_b32 exec_lo, exec_lo, s11
	v_lshrrev_b64 v[0:1], s14, v[22:23]
	; wave barrier
	s_delay_alu instid0(VALU_DEP_1)
	v_and_b32_e32 v2, 1, v0
	v_lshlrev_b32_e32 v3, 30, v0
	v_lshlrev_b32_e32 v4, 29, v0
	;; [unrolled: 1-line block ×4, first 2 shown]
	v_add_co_u32 v2, s11, v2, -1
	s_delay_alu instid0(VALU_DEP_1)
	v_cndmask_b32_e64 v6, 0, 1, s11
	v_not_b32_e32 v43, v3
	v_cmp_gt_i32_e64 s11, 0, v3
	v_not_b32_e32 v3, v4
	v_lshlrev_b32_e32 v41, 26, v0
	v_cmp_ne_u32_e32 vcc_lo, 0, v6
	v_ashrrev_i32_e32 v6, 31, v43
	v_lshlrev_b32_e32 v42, 25, v0
	v_ashrrev_i32_e32 v3, 31, v3
	v_and_b32_e32 v1, 0xff, v0
	v_xor_b32_e32 v2, vcc_lo, v2
	v_cmp_gt_i32_e32 vcc_lo, 0, v4
	v_not_b32_e32 v4, v5
	v_xor_b32_e32 v6, s11, v6
	v_cmp_gt_i32_e64 s11, 0, v5
	v_and_b32_e32 v2, exec_lo, v2
	v_not_b32_e32 v5, v7
	v_ashrrev_i32_e32 v4, 31, v4
	v_xor_b32_e32 v3, vcc_lo, v3
	v_cmp_gt_i32_e32 vcc_lo, 0, v7
	v_and_b32_e32 v2, v2, v6
	v_not_b32_e32 v6, v41
	v_ashrrev_i32_e32 v5, 31, v5
	v_xor_b32_e32 v4, s11, v4
	v_lshlrev_b32_e32 v0, 24, v0
	v_and_b32_e32 v2, v2, v3
	v_cmp_gt_i32_e64 s11, 0, v41
	v_not_b32_e32 v3, v42
	v_ashrrev_i32_e32 v6, 31, v6
	v_xor_b32_e32 v5, vcc_lo, v5
	v_and_b32_e32 v2, v2, v4
	v_cmp_gt_i32_e32 vcc_lo, 0, v42
	v_not_b32_e32 v4, v0
	v_ashrrev_i32_e32 v3, 31, v3
	v_xor_b32_e32 v6, s11, v6
	v_and_b32_e32 v2, v2, v5
	v_lshlrev_b32_e32 v1, 1, v1
	v_cmp_gt_i32_e64 s11, 0, v0
	v_ashrrev_i32_e32 v0, 31, v4
	v_xor_b32_e32 v3, vcc_lo, v3
	v_and_b32_e32 v2, v2, v6
	v_add_lshl_u32 v1, v1, v39, 2
	s_delay_alu instid0(VALU_DEP_4) | instskip(NEXT) | instid1(VALU_DEP_3)
	v_xor_b32_e32 v0, s11, v0
	v_and_b32_e32 v2, v2, v3
	ds_load_b32 v41, v1 offset:8
	v_add_nc_u32_e32 v43, 8, v1
	; wave barrier
	v_and_b32_e32 v0, v2, v0
	s_delay_alu instid0(VALU_DEP_1) | instskip(SKIP_1) | instid1(VALU_DEP_2)
	v_mbcnt_lo_u32_b32 v42, v0, 0
	v_cmp_ne_u32_e64 s11, 0, v0
	v_cmp_eq_u32_e32 vcc_lo, 0, v42
	s_delay_alu instid0(VALU_DEP_2) | instskip(NEXT) | instid1(SALU_CYCLE_1)
	s_and_b32 s16, s11, vcc_lo
	s_and_saveexec_b32 s11, s16
	s_cbranch_execz .LBB291_10
; %bb.9:                                ;   in Loop: Header=BB291_4 Depth=2
	s_waitcnt lgkmcnt(0)
	v_bcnt_u32_b32 v0, v0, v41
	ds_store_b32 v43, v0
.LBB291_10:                             ;   in Loop: Header=BB291_4 Depth=2
	s_or_b32 exec_lo, exec_lo, s11
	; wave barrier
	s_waitcnt lgkmcnt(0)
	s_barrier
	buffer_gl0_inv
	ds_load_2addr_b64 v[4:7], v30 offset0:1 offset1:2
	ds_load_2addr_b64 v[0:3], v31 offset0:2 offset1:3
	s_waitcnt lgkmcnt(1)
	v_add_nc_u32_e32 v44, v5, v4
	s_delay_alu instid0(VALU_DEP_1) | instskip(SKIP_1) | instid1(VALU_DEP_1)
	v_add3_u32 v44, v44, v6, v7
	s_waitcnt lgkmcnt(0)
	v_add3_u32 v44, v44, v0, v1
	s_delay_alu instid0(VALU_DEP_1) | instskip(NEXT) | instid1(VALU_DEP_1)
	v_add3_u32 v3, v44, v2, v3
	v_mov_b32_dpp v44, v3 row_shr:1 row_mask:0xf bank_mask:0xf
	s_delay_alu instid0(VALU_DEP_1) | instskip(NEXT) | instid1(VALU_DEP_1)
	v_cndmask_b32_e64 v44, v44, 0, s1
	v_add_nc_u32_e32 v3, v44, v3
	s_delay_alu instid0(VALU_DEP_1) | instskip(NEXT) | instid1(VALU_DEP_1)
	v_mov_b32_dpp v44, v3 row_shr:2 row_mask:0xf bank_mask:0xf
	v_cndmask_b32_e64 v44, 0, v44, s2
	s_delay_alu instid0(VALU_DEP_1) | instskip(NEXT) | instid1(VALU_DEP_1)
	v_add_nc_u32_e32 v3, v3, v44
	v_mov_b32_dpp v44, v3 row_shr:4 row_mask:0xf bank_mask:0xf
	s_delay_alu instid0(VALU_DEP_1) | instskip(NEXT) | instid1(VALU_DEP_1)
	v_cndmask_b32_e64 v44, 0, v44, s3
	v_add_nc_u32_e32 v3, v3, v44
	s_delay_alu instid0(VALU_DEP_1) | instskip(NEXT) | instid1(VALU_DEP_1)
	v_mov_b32_dpp v44, v3 row_shr:8 row_mask:0xf bank_mask:0xf
	v_cndmask_b32_e64 v44, 0, v44, s4
	s_delay_alu instid0(VALU_DEP_1) | instskip(SKIP_3) | instid1(VALU_DEP_1)
	v_add_nc_u32_e32 v3, v3, v44
	ds_swizzle_b32 v44, v3 offset:swizzle(BROADCAST,32,15)
	s_waitcnt lgkmcnt(0)
	v_cndmask_b32_e64 v44, v44, 0, s5
	v_add_nc_u32_e32 v3, v3, v44
	s_and_saveexec_b32 s11, s10
	s_cbranch_execz .LBB291_12
; %bb.11:                               ;   in Loop: Header=BB291_4 Depth=2
	ds_store_b32 v33, v3
.LBB291_12:                             ;   in Loop: Header=BB291_4 Depth=2
	s_or_b32 exec_lo, exec_lo, s11
	s_waitcnt lgkmcnt(0)
	s_barrier
	buffer_gl0_inv
	s_and_saveexec_b32 s11, s6
	s_cbranch_execz .LBB291_14
; %bb.13:                               ;   in Loop: Header=BB291_4 Depth=2
	ds_load_b32 v44, v34
	s_waitcnt lgkmcnt(0)
	v_mov_b32_dpp v45, v44 row_shr:1 row_mask:0xf bank_mask:0xf
	s_delay_alu instid0(VALU_DEP_1) | instskip(NEXT) | instid1(VALU_DEP_1)
	v_cndmask_b32_e64 v45, v45, 0, s9
	v_add_nc_u32_e32 v44, v45, v44
	ds_store_b32 v34, v44
.LBB291_14:                             ;   in Loop: Header=BB291_4 Depth=2
	s_or_b32 exec_lo, exec_lo, s11
	v_mov_b32_e32 v44, 0
	s_waitcnt lgkmcnt(0)
	s_barrier
	buffer_gl0_inv
	s_and_saveexec_b32 s11, s7
	s_cbranch_execz .LBB291_16
; %bb.15:                               ;   in Loop: Header=BB291_4 Depth=2
	ds_load_b32 v44, v35
.LBB291_16:                             ;   in Loop: Header=BB291_4 Depth=2
	s_or_b32 exec_lo, exec_lo, s11
	s_waitcnt lgkmcnt(0)
	v_add_nc_u32_e32 v3, v44, v3
	s_cmp_gt_u32 s14, 55
	ds_bpermute_b32 v3, v32, v3
	s_waitcnt lgkmcnt(0)
	v_cndmask_b32_e64 v3, v3, v44, s0
	s_delay_alu instid0(VALU_DEP_1) | instskip(NEXT) | instid1(VALU_DEP_1)
	v_cndmask_b32_e64 v3, v3, 0, s8
	v_add_nc_u32_e32 v4, v3, v4
	s_delay_alu instid0(VALU_DEP_1) | instskip(NEXT) | instid1(VALU_DEP_1)
	v_add_nc_u32_e32 v5, v4, v5
	v_add_nc_u32_e32 v6, v5, v6
	s_delay_alu instid0(VALU_DEP_1) | instskip(NEXT) | instid1(VALU_DEP_1)
	v_add_nc_u32_e32 v44, v6, v7
	v_add_nc_u32_e32 v45, v44, v0
	s_delay_alu instid0(VALU_DEP_1) | instskip(NEXT) | instid1(VALU_DEP_1)
	v_add_nc_u32_e32 v0, v45, v1
	v_add_nc_u32_e32 v1, v0, v2
	ds_store_2addr_b64 v30, v[3:4], v[5:6] offset0:1 offset1:2
	ds_store_2addr_b64 v31, v[44:45], v[0:1] offset0:2 offset1:3
	s_waitcnt lgkmcnt(0)
	s_barrier
	buffer_gl0_inv
	ds_load_b32 v0, v26
	ds_load_b32 v1, v29
	;; [unrolled: 1-line block ×3, first 2 shown]
	s_waitcnt lgkmcnt(2)
	v_add_nc_u32_e32 v44, v0, v8
	s_waitcnt lgkmcnt(1)
	v_add3_u32 v43, v28, v27, v1
	s_waitcnt lgkmcnt(0)
	v_add3_u32 v8, v42, v41, v2
	s_cbranch_scc0 .LBB291_3
; %bb.17:                               ;   in Loop: Header=BB291_2 Depth=1
                                        ; implicit-def: $vgpr26_vgpr27
                                        ; implicit-def: $vgpr2_vgpr3
                                        ; implicit-def: $vgpr28_vgpr29
                                        ; implicit-def: $vgpr6_vgpr7
                                        ; implicit-def: $sgpr14_sgpr15
	s_branch .LBB291_1
.LBB291_18:
	s_waitcnt lgkmcnt(1)
	v_add_co_u32 v0, vcc_lo, v1, v5
	v_add_co_ci_u32_e32 v1, vcc_lo, v2, v6, vcc_lo
	v_add_co_u32 v2, vcc_lo, v3, v7
	v_add_co_ci_u32_e32 v3, vcc_lo, v4, v8, vcc_lo
	v_lshlrev_b32_e32 v6, 3, v9
	s_waitcnt lgkmcnt(0)
	v_add_co_u32 v4, vcc_lo, v14, v16
	v_add_co_ci_u32_e32 v5, vcc_lo, v15, v17, vcc_lo
	s_add_u32 s0, s18, s12
	s_addc_u32 s1, s19, s13
	s_clause 0x2
	global_store_b64 v6, v[0:1], s[0:1]
	global_store_b64 v6, v[2:3], s[0:1] offset:512
	global_store_b64 v6, v[4:5], s[0:1] offset:1024
	s_nop 0
	s_sendmsg sendmsg(MSG_DEALLOC_VGPRS)
	s_endpgm
	.section	.rodata,"a",@progbits
	.p2align	6, 0x0
	.amdhsa_kernel _Z17sort_pairs_kernelI22helper_blocked_stripedxLj64ELj3ELj10EEvPKT0_PS1_
		.amdhsa_group_segment_fixed_size 2064
		.amdhsa_private_segment_fixed_size 0
		.amdhsa_kernarg_size 272
		.amdhsa_user_sgpr_count 15
		.amdhsa_user_sgpr_dispatch_ptr 0
		.amdhsa_user_sgpr_queue_ptr 0
		.amdhsa_user_sgpr_kernarg_segment_ptr 1
		.amdhsa_user_sgpr_dispatch_id 0
		.amdhsa_user_sgpr_private_segment_size 0
		.amdhsa_wavefront_size32 1
		.amdhsa_uses_dynamic_stack 0
		.amdhsa_enable_private_segment 0
		.amdhsa_system_sgpr_workgroup_id_x 1
		.amdhsa_system_sgpr_workgroup_id_y 0
		.amdhsa_system_sgpr_workgroup_id_z 0
		.amdhsa_system_sgpr_workgroup_info 0
		.amdhsa_system_vgpr_workitem_id 2
		.amdhsa_next_free_vgpr 46
		.amdhsa_next_free_sgpr 22
		.amdhsa_reserve_vcc 1
		.amdhsa_float_round_mode_32 0
		.amdhsa_float_round_mode_16_64 0
		.amdhsa_float_denorm_mode_32 3
		.amdhsa_float_denorm_mode_16_64 3
		.amdhsa_dx10_clamp 1
		.amdhsa_ieee_mode 1
		.amdhsa_fp16_overflow 0
		.amdhsa_workgroup_processor_mode 1
		.amdhsa_memory_ordered 1
		.amdhsa_forward_progress 0
		.amdhsa_shared_vgpr_count 0
		.amdhsa_exception_fp_ieee_invalid_op 0
		.amdhsa_exception_fp_denorm_src 0
		.amdhsa_exception_fp_ieee_div_zero 0
		.amdhsa_exception_fp_ieee_overflow 0
		.amdhsa_exception_fp_ieee_underflow 0
		.amdhsa_exception_fp_ieee_inexact 0
		.amdhsa_exception_int_div_zero 0
	.end_amdhsa_kernel
	.section	.text._Z17sort_pairs_kernelI22helper_blocked_stripedxLj64ELj3ELj10EEvPKT0_PS1_,"axG",@progbits,_Z17sort_pairs_kernelI22helper_blocked_stripedxLj64ELj3ELj10EEvPKT0_PS1_,comdat
.Lfunc_end291:
	.size	_Z17sort_pairs_kernelI22helper_blocked_stripedxLj64ELj3ELj10EEvPKT0_PS1_, .Lfunc_end291-_Z17sort_pairs_kernelI22helper_blocked_stripedxLj64ELj3ELj10EEvPKT0_PS1_
                                        ; -- End function
	.section	.AMDGPU.csdata,"",@progbits
; Kernel info:
; codeLenInByte = 2612
; NumSgprs: 24
; NumVgprs: 46
; ScratchSize: 0
; MemoryBound: 0
; FloatMode: 240
; IeeeMode: 1
; LDSByteSize: 2064 bytes/workgroup (compile time only)
; SGPRBlocks: 2
; VGPRBlocks: 5
; NumSGPRsForWavesPerEU: 24
; NumVGPRsForWavesPerEU: 46
; Occupancy: 16
; WaveLimiterHint : 1
; COMPUTE_PGM_RSRC2:SCRATCH_EN: 0
; COMPUTE_PGM_RSRC2:USER_SGPR: 15
; COMPUTE_PGM_RSRC2:TRAP_HANDLER: 0
; COMPUTE_PGM_RSRC2:TGID_X_EN: 1
; COMPUTE_PGM_RSRC2:TGID_Y_EN: 0
; COMPUTE_PGM_RSRC2:TGID_Z_EN: 0
; COMPUTE_PGM_RSRC2:TIDIG_COMP_CNT: 2
	.section	.text._Z16sort_keys_kernelI22helper_blocked_stripedxLj64ELj4ELj10EEvPKT0_PS1_,"axG",@progbits,_Z16sort_keys_kernelI22helper_blocked_stripedxLj64ELj4ELj10EEvPKT0_PS1_,comdat
	.protected	_Z16sort_keys_kernelI22helper_blocked_stripedxLj64ELj4ELj10EEvPKT0_PS1_ ; -- Begin function _Z16sort_keys_kernelI22helper_blocked_stripedxLj64ELj4ELj10EEvPKT0_PS1_
	.globl	_Z16sort_keys_kernelI22helper_blocked_stripedxLj64ELj4ELj10EEvPKT0_PS1_
	.p2align	8
	.type	_Z16sort_keys_kernelI22helper_blocked_stripedxLj64ELj4ELj10EEvPKT0_PS1_,@function
_Z16sort_keys_kernelI22helper_blocked_stripedxLj64ELj4ELj10EEvPKT0_PS1_: ; @_Z16sort_keys_kernelI22helper_blocked_stripedxLj64ELj4ELj10EEvPKT0_PS1_
; %bb.0:
	s_clause 0x1
	s_load_b128 s[16:19], s[0:1], 0x0
	s_load_b32 s2, s[0:1], 0x1c
	s_mov_b32 s23, 0
	s_lshl_b32 s22, s15, 8
	v_bfe_u32 v10, v0, 10, 10
	s_lshl_b64 s[20:21], s[22:23], 3
	s_mov_b32 s22, s23
	v_and_b32_e32 v9, 0x3ff, v0
	v_bfe_u32 v0, v0, 20, 10
	v_mbcnt_lo_u32_b32 v12, -1, 0
	s_mov_b32 s14, s23
	s_mov_b32 s15, s23
	v_lshlrev_b32_e32 v22, 5, v9
	s_delay_alu instid0(VALU_DEP_2)
	v_and_b32_e32 v13, 3, v12
	v_and_b32_e32 v24, 28, v12
	v_cmp_eq_u32_e64 s11, 0, v12
	s_waitcnt lgkmcnt(0)
	s_add_u32 s0, s16, s20
	s_addc_u32 s1, s17, s21
	s_clause 0x1
	global_load_b128 v[1:4], v22, s[0:1] offset:16
	global_load_b128 v[5:8], v22, s[0:1]
	s_lshr_b32 s0, s2, 16
	s_and_b32 s1, s2, 0xffff
	v_mad_u32_u24 v0, v0, s0, v10
	v_cmp_eq_u32_e64 s0, 3, v13
	v_cmp_eq_u32_e64 s2, 1, v13
	s_delay_alu instid0(VALU_DEP_3) | instskip(SKIP_3) | instid1(VALU_DEP_3)
	v_mad_u64_u32 v[10:11], null, v0, s1, v[9:10]
	v_add_nc_u32_e32 v11, -1, v12
	v_and_b32_e32 v0, 15, v12
	v_cmp_eq_u32_e64 s1, 2, v13
	v_cmp_gt_i32_e32 vcc_lo, 0, v11
	v_lshrrev_b32_e32 v29, 5, v10
	v_and_b32_e32 v10, 16, v12
	v_lshlrev_b32_e32 v23, 2, v9
	v_cmp_eq_u32_e64 s3, 0, v0
	v_cmp_lt_u32_e64 s4, 1, v0
	v_cmp_lt_u32_e64 s5, 3, v0
	v_cmp_eq_u32_e64 s7, 0, v10
	v_lshrrev_b32_e32 v10, 3, v9
	v_cmp_lt_u32_e64 s6, 7, v0
	s_delay_alu instid0(VALU_DEP_2) | instskip(SKIP_1) | instid1(VALU_DEP_2)
	v_dual_cndmask_b32 v0, v11, v12 :: v_dual_and_b32 v31, 4, v10
	v_and_or_b32 v10, 0x80, v23, v12
	v_lshlrev_b32_e32 v30, 2, v0
	v_and_b32_e32 v0, 1, v12
	s_delay_alu instid0(VALU_DEP_4) | instskip(NEXT) | instid1(VALU_DEP_4)
	v_add_nc_u32_e32 v33, -4, v31
	v_lshlrev_b32_e32 v34, 3, v10
	v_mov_b32_e32 v10, s22
	v_or_b32_e32 v13, 31, v9
	v_cmp_gt_u32_e64 s9, 2, v9
	v_cmp_lt_u32_e64 s10, 31, v9
	v_cmp_eq_u32_e64 s12, 0, v9
	v_cmp_eq_u32_e64 s13, 0, v0
	;; [unrolled: 1-line block ×3, first 2 shown]
	v_dual_mov_b32 v12, s14 :: v_dual_mov_b32 v11, s23
	v_or_b32_e32 v28, 8, v22
	v_mad_i32_i24 v32, 0xffffffe4, v9, v22
	v_mov_b32_e32 v13, s15
	v_or_b32_e32 v25, 32, v24
	v_or_b32_e32 v26, 64, v24
	;; [unrolled: 1-line block ×3, first 2 shown]
	s_branch .LBB292_2
.LBB292_1:                              ;   in Loop: Header=BB292_2 Depth=1
	v_lshlrev_b32_e32 v0, 3, v38
	v_lshlrev_b32_e32 v1, 3, v36
	;; [unrolled: 1-line block ×3, first 2 shown]
	s_barrier
	buffer_gl0_inv
	v_lshlrev_b32_e32 v3, 3, v8
	ds_store_b64 v0, v[14:15]
	ds_store_b64 v1, v[20:21]
	;; [unrolled: 1-line block ×3, first 2 shown]
	v_add_nc_u32_e32 v0, v32, v23
	s_add_i32 s23, s23, 1
	ds_store_b64 v3, v[16:17]
	s_waitcnt lgkmcnt(0)
	s_barrier
	buffer_gl0_inv
	ds_load_2addr_stride64_b64 v[5:8], v0 offset1:1
	ds_load_2addr_stride64_b64 v[1:4], v0 offset0:2 offset1:3
	s_cmp_eq_u32 s23, 10
	s_waitcnt lgkmcnt(1)
	v_xor_b32_e32 v6, 0x80000000, v6
	v_xor_b32_e32 v8, 0x80000000, v8
	s_waitcnt lgkmcnt(0)
	v_xor_b32_e32 v2, 0x80000000, v2
	v_xor_b32_e32 v4, 0x80000000, v4
	s_cbranch_scc1 .LBB292_20
.LBB292_2:                              ; =>This Loop Header: Depth=1
                                        ;     Child Loop BB292_4 Depth 2
	s_waitcnt vmcnt(0)
	v_xor_b32_e32 v0, 0x80000000, v6
	v_xor_b32_e32 v6, 0x80000000, v8
	ds_bpermute_b32 v8, v24, v5
	ds_bpermute_b32 v14, v24, v7
	v_xor_b32_e32 v2, 0x80000000, v2
	ds_bpermute_b32 v15, v24, v0
	ds_bpermute_b32 v16, v24, v6
	;; [unrolled: 1-line block ×14, first 2 shown]
	v_xor_b32_e32 v4, 0x80000000, v4
	ds_bpermute_b32 v37, v25, v1
	ds_bpermute_b32 v43, v27, v2
	;; [unrolled: 1-line block ×3, first 2 shown]
	s_waitcnt lgkmcnt(17)
	v_cndmask_b32_e64 v8, v8, v14, s2
	ds_bpermute_b32 v14, v26, v6
	ds_bpermute_b32 v6, v27, v6
	s_waitcnt lgkmcnt(17)
	v_cndmask_b32_e64 v15, v15, v16, s2
	ds_bpermute_b32 v16, v27, v0
	s_waitcnt lgkmcnt(17)
	v_cndmask_b32_e64 v0, v8, v17, s1
	s_waitcnt lgkmcnt(15)
	v_cndmask_b32_e64 v8, v18, v19, s2
	ds_bpermute_b32 v18, v26, v1
	s_waitcnt lgkmcnt(15)
	v_cndmask_b32_e64 v15, v15, v20, s1
	ds_bpermute_b32 v19, v26, v2
	ds_bpermute_b32 v20, v27, v1
	;; [unrolled: 1-line block ×9, first 2 shown]
	s_waitcnt lgkmcnt(22)
	v_cndmask_b32_e64 v2, v35, v36, s2
	s_waitcnt lgkmcnt(17)
	v_cndmask_b32_e64 v3, v8, v41, s1
	v_cndmask_b32_e64 v4, v38, v39, s2
	s_waitcnt lgkmcnt(12)
	v_cndmask_b32_e64 v8, v42, v14, s2
	v_cndmask_b32_e64 v5, v5, v7, s2
	;; [unrolled: 1-line block ×3, first 2 shown]
	s_waitcnt lgkmcnt(10)
	v_cndmask_b32_e64 v6, v16, v6, s2
	v_cndmask_b32_e64 v0, v0, v21, s0
	s_mov_b64 s[16:17], 0
	s_waitcnt lgkmcnt(9)
	v_cndmask_b32_e64 v4, v4, v18, s1
	s_waitcnt lgkmcnt(0)
	v_cndmask_b32_e64 v7, v8, v19, s1
	v_cndmask_b32_e64 v8, v5, v20, s1
	v_cndmask_b32_e64 v14, v6, v43, s1
	v_cndmask_b32_e64 v1, v15, v40, s0
	v_cndmask_b32_e64 v2, v2, v17, s0
	v_cndmask_b32_e64 v3, v3, v44, s0
	v_cndmask_b32_e64 v4, v4, v45, s0
	v_cndmask_b32_e64 v5, v7, v46, s0
	v_cndmask_b32_e64 v6, v8, v47, s0
	v_cndmask_b32_e64 v7, v14, v48, s0
	s_barrier
	s_branch .LBB292_4
.LBB292_3:                              ;   in Loop: Header=BB292_4 Depth=2
	v_lshlrev_b32_e32 v0, 3, v38
	v_lshlrev_b32_e32 v1, 3, v36
	;; [unrolled: 1-line block ×4, first 2 shown]
	s_barrier
	buffer_gl0_inv
	ds_store_b64 v0, v[14:15]
	ds_store_b64 v1, v[20:21]
	;; [unrolled: 1-line block ×4, first 2 shown]
	s_waitcnt lgkmcnt(0)
	s_barrier
	buffer_gl0_inv
	ds_load_2addr_b64 v[0:3], v34 offset1:32
	ds_load_2addr_b64 v[4:7], v34 offset0:64 offset1:96
	s_add_u32 s16, s16, 8
	s_addc_u32 s17, s17, 0
	s_waitcnt lgkmcnt(0)
	s_barrier
	s_cbranch_execz .LBB292_1
.LBB292_4:                              ;   Parent Loop BB292_2 Depth=1
                                        ; =>  This Inner Loop Header: Depth=2
	v_dual_mov_b32 v15, v1 :: v_dual_mov_b32 v14, v0
	buffer_gl0_inv
	ds_store_2addr_b64 v22, v[10:11], v[12:13] offset0:1 offset1:2
	ds_store_2addr_b64 v28, v[10:11], v[12:13] offset0:2 offset1:3
	s_waitcnt lgkmcnt(0)
	s_barrier
	v_lshrrev_b64 v[35:36], s16, v[14:15]
	buffer_gl0_inv
	; wave barrier
	v_and_b32_e32 v0, 1, v35
	v_lshlrev_b32_e32 v1, 30, v35
	v_lshlrev_b32_e32 v8, 29, v35
	;; [unrolled: 1-line block ×4, first 2 shown]
	v_add_co_u32 v0, s14, v0, -1
	s_delay_alu instid0(VALU_DEP_1)
	v_cndmask_b32_e64 v17, 0, 1, s14
	v_not_b32_e32 v21, v1
	v_cmp_gt_i32_e64 s14, 0, v1
	v_not_b32_e32 v1, v8
	v_lshlrev_b32_e32 v19, 26, v35
	v_cmp_ne_u32_e32 vcc_lo, 0, v17
	v_ashrrev_i32_e32 v21, 31, v21
	v_lshlrev_b32_e32 v20, 25, v35
	v_ashrrev_i32_e32 v1, 31, v1
	v_lshlrev_b32_e32 v17, 24, v35
	v_xor_b32_e32 v0, vcc_lo, v0
	v_cmp_gt_i32_e32 vcc_lo, 0, v8
	v_not_b32_e32 v8, v16
	v_xor_b32_e32 v21, s14, v21
	v_cmp_gt_i32_e64 s14, 0, v16
	v_and_b32_e32 v0, exec_lo, v0
	v_not_b32_e32 v16, v18
	v_ashrrev_i32_e32 v8, 31, v8
	v_xor_b32_e32 v1, vcc_lo, v1
	v_cmp_gt_i32_e32 vcc_lo, 0, v18
	v_and_b32_e32 v0, v0, v21
	v_not_b32_e32 v18, v19
	v_ashrrev_i32_e32 v16, 31, v16
	v_xor_b32_e32 v8, s14, v8
	v_cmp_gt_i32_e64 s14, 0, v19
	v_and_b32_e32 v0, v0, v1
	v_not_b32_e32 v1, v20
	v_ashrrev_i32_e32 v18, 31, v18
	v_xor_b32_e32 v16, vcc_lo, v16
	v_cmp_gt_i32_e32 vcc_lo, 0, v20
	v_dual_mov_b32 v21, v3 :: v_dual_and_b32 v0, v0, v8
	v_mov_b32_e32 v20, v2
	v_not_b32_e32 v8, v17
	v_ashrrev_i32_e32 v1, 31, v1
	v_xor_b32_e32 v18, s14, v18
	v_and_b32_e32 v0, v0, v16
	v_cmp_gt_i32_e64 s14, 0, v17
	v_ashrrev_i32_e32 v8, 31, v8
	v_xor_b32_e32 v1, vcc_lo, v1
	s_delay_alu instid0(VALU_DEP_4) | instskip(SKIP_1) | instid1(VALU_DEP_4)
	v_dual_mov_b32 v17, v7 :: v_dual_and_b32 v0, v0, v18
	v_mov_b32_e32 v19, v5
	v_xor_b32_e32 v8, s14, v8
	v_mov_b32_e32 v16, v6
	v_mov_b32_e32 v18, v4
	v_and_b32_e32 v0, v0, v1
	v_and_b32_e32 v1, 0xff, v35
	s_delay_alu instid0(VALU_DEP_2) | instskip(NEXT) | instid1(VALU_DEP_2)
	v_and_b32_e32 v0, v0, v8
	v_lshl_add_u32 v1, v1, 1, v29
	s_delay_alu instid0(VALU_DEP_2) | instskip(SKIP_1) | instid1(VALU_DEP_3)
	v_mbcnt_lo_u32_b32 v8, v0, 0
	v_cmp_ne_u32_e64 s14, 0, v0
	v_lshl_add_u32 v35, v1, 2, 8
	s_delay_alu instid0(VALU_DEP_3) | instskip(NEXT) | instid1(VALU_DEP_3)
	v_cmp_eq_u32_e32 vcc_lo, 0, v8
	s_and_b32 s15, s14, vcc_lo
	s_delay_alu instid0(SALU_CYCLE_1)
	s_and_saveexec_b32 s14, s15
	s_cbranch_execz .LBB292_6
; %bb.5:                                ;   in Loop: Header=BB292_4 Depth=2
	v_bcnt_u32_b32 v0, v0, 0
	ds_store_b32 v35, v0
.LBB292_6:                              ;   in Loop: Header=BB292_4 Depth=2
	s_or_b32 exec_lo, exec_lo, s14
	v_lshrrev_b64 v[0:1], s16, v[20:21]
	; wave barrier
	s_delay_alu instid0(VALU_DEP_1)
	v_and_b32_e32 v2, 1, v0
	v_lshlrev_b32_e32 v3, 30, v0
	v_lshlrev_b32_e32 v4, 29, v0
	;; [unrolled: 1-line block ×4, first 2 shown]
	v_add_co_u32 v2, s14, v2, -1
	s_delay_alu instid0(VALU_DEP_1)
	v_cndmask_b32_e64 v6, 0, 1, s14
	v_not_b32_e32 v38, v3
	v_cmp_gt_i32_e64 s14, 0, v3
	v_not_b32_e32 v3, v4
	v_lshlrev_b32_e32 v36, 26, v0
	v_cmp_ne_u32_e32 vcc_lo, 0, v6
	v_ashrrev_i32_e32 v6, 31, v38
	v_lshlrev_b32_e32 v37, 25, v0
	v_ashrrev_i32_e32 v3, 31, v3
	v_and_b32_e32 v1, 0xff, v0
	v_xor_b32_e32 v2, vcc_lo, v2
	v_cmp_gt_i32_e32 vcc_lo, 0, v4
	v_not_b32_e32 v4, v5
	v_xor_b32_e32 v6, s14, v6
	v_cmp_gt_i32_e64 s14, 0, v5
	v_and_b32_e32 v2, exec_lo, v2
	v_not_b32_e32 v5, v7
	v_ashrrev_i32_e32 v4, 31, v4
	v_xor_b32_e32 v3, vcc_lo, v3
	v_cmp_gt_i32_e32 vcc_lo, 0, v7
	v_and_b32_e32 v2, v2, v6
	v_not_b32_e32 v6, v36
	v_ashrrev_i32_e32 v5, 31, v5
	v_xor_b32_e32 v4, s14, v4
	v_lshlrev_b32_e32 v0, 24, v0
	v_and_b32_e32 v2, v2, v3
	v_cmp_gt_i32_e64 s14, 0, v36
	v_not_b32_e32 v3, v37
	v_ashrrev_i32_e32 v6, 31, v6
	v_xor_b32_e32 v5, vcc_lo, v5
	v_and_b32_e32 v2, v2, v4
	v_cmp_gt_i32_e32 vcc_lo, 0, v37
	v_not_b32_e32 v4, v0
	v_ashrrev_i32_e32 v3, 31, v3
	v_xor_b32_e32 v6, s14, v6
	v_and_b32_e32 v2, v2, v5
	v_lshlrev_b32_e32 v1, 1, v1
	v_cmp_gt_i32_e64 s14, 0, v0
	v_ashrrev_i32_e32 v0, 31, v4
	v_xor_b32_e32 v3, vcc_lo, v3
	v_and_b32_e32 v2, v2, v6
	v_add_lshl_u32 v1, v1, v29, 2
	s_delay_alu instid0(VALU_DEP_4) | instskip(NEXT) | instid1(VALU_DEP_3)
	v_xor_b32_e32 v0, s14, v0
	v_and_b32_e32 v2, v2, v3
	ds_load_b32 v36, v1 offset:8
	v_add_nc_u32_e32 v38, 8, v1
	; wave barrier
	v_and_b32_e32 v0, v2, v0
	s_delay_alu instid0(VALU_DEP_1) | instskip(SKIP_1) | instid1(VALU_DEP_2)
	v_mbcnt_lo_u32_b32 v37, v0, 0
	v_cmp_ne_u32_e64 s14, 0, v0
	v_cmp_eq_u32_e32 vcc_lo, 0, v37
	s_delay_alu instid0(VALU_DEP_2) | instskip(NEXT) | instid1(SALU_CYCLE_1)
	s_and_b32 s15, s14, vcc_lo
	s_and_saveexec_b32 s14, s15
	s_cbranch_execz .LBB292_8
; %bb.7:                                ;   in Loop: Header=BB292_4 Depth=2
	s_waitcnt lgkmcnt(0)
	v_bcnt_u32_b32 v0, v0, v36
	ds_store_b32 v38, v0
.LBB292_8:                              ;   in Loop: Header=BB292_4 Depth=2
	s_or_b32 exec_lo, exec_lo, s14
	v_lshrrev_b64 v[0:1], s16, v[18:19]
	; wave barrier
	s_delay_alu instid0(VALU_DEP_1)
	v_and_b32_e32 v2, 1, v0
	v_lshlrev_b32_e32 v3, 30, v0
	v_lshlrev_b32_e32 v4, 29, v0
	;; [unrolled: 1-line block ×4, first 2 shown]
	v_add_co_u32 v2, s14, v2, -1
	s_delay_alu instid0(VALU_DEP_1)
	v_cndmask_b32_e64 v6, 0, 1, s14
	v_not_b32_e32 v41, v3
	v_cmp_gt_i32_e64 s14, 0, v3
	v_not_b32_e32 v3, v4
	v_lshlrev_b32_e32 v39, 26, v0
	v_cmp_ne_u32_e32 vcc_lo, 0, v6
	v_ashrrev_i32_e32 v6, 31, v41
	v_lshlrev_b32_e32 v40, 25, v0
	v_ashrrev_i32_e32 v3, 31, v3
	v_and_b32_e32 v1, 0xff, v0
	v_xor_b32_e32 v2, vcc_lo, v2
	v_cmp_gt_i32_e32 vcc_lo, 0, v4
	v_not_b32_e32 v4, v5
	v_xor_b32_e32 v6, s14, v6
	v_cmp_gt_i32_e64 s14, 0, v5
	v_and_b32_e32 v2, exec_lo, v2
	v_not_b32_e32 v5, v7
	v_ashrrev_i32_e32 v4, 31, v4
	v_xor_b32_e32 v3, vcc_lo, v3
	v_cmp_gt_i32_e32 vcc_lo, 0, v7
	v_and_b32_e32 v2, v2, v6
	v_not_b32_e32 v6, v39
	v_ashrrev_i32_e32 v5, 31, v5
	v_xor_b32_e32 v4, s14, v4
	v_lshlrev_b32_e32 v0, 24, v0
	v_and_b32_e32 v2, v2, v3
	v_cmp_gt_i32_e64 s14, 0, v39
	v_not_b32_e32 v3, v40
	v_ashrrev_i32_e32 v6, 31, v6
	v_xor_b32_e32 v5, vcc_lo, v5
	v_and_b32_e32 v2, v2, v4
	v_cmp_gt_i32_e32 vcc_lo, 0, v40
	v_not_b32_e32 v4, v0
	v_ashrrev_i32_e32 v3, 31, v3
	v_xor_b32_e32 v6, s14, v6
	v_and_b32_e32 v2, v2, v5
	v_lshlrev_b32_e32 v1, 1, v1
	v_cmp_gt_i32_e64 s14, 0, v0
	v_ashrrev_i32_e32 v0, 31, v4
	v_xor_b32_e32 v3, vcc_lo, v3
	v_and_b32_e32 v2, v2, v6
	v_add_lshl_u32 v1, v1, v29, 2
	s_delay_alu instid0(VALU_DEP_4) | instskip(NEXT) | instid1(VALU_DEP_3)
	v_xor_b32_e32 v0, s14, v0
	v_and_b32_e32 v2, v2, v3
	ds_load_b32 v39, v1 offset:8
	v_add_nc_u32_e32 v41, 8, v1
	; wave barrier
	v_and_b32_e32 v0, v2, v0
	s_delay_alu instid0(VALU_DEP_1) | instskip(SKIP_1) | instid1(VALU_DEP_2)
	v_mbcnt_lo_u32_b32 v40, v0, 0
	v_cmp_ne_u32_e64 s14, 0, v0
	v_cmp_eq_u32_e32 vcc_lo, 0, v40
	s_delay_alu instid0(VALU_DEP_2) | instskip(NEXT) | instid1(SALU_CYCLE_1)
	s_and_b32 s15, s14, vcc_lo
	s_and_saveexec_b32 s14, s15
	s_cbranch_execz .LBB292_10
; %bb.9:                                ;   in Loop: Header=BB292_4 Depth=2
	s_waitcnt lgkmcnt(0)
	v_bcnt_u32_b32 v0, v0, v39
	ds_store_b32 v41, v0
.LBB292_10:                             ;   in Loop: Header=BB292_4 Depth=2
	s_or_b32 exec_lo, exec_lo, s14
	v_lshrrev_b64 v[0:1], s16, v[16:17]
	; wave barrier
	s_delay_alu instid0(VALU_DEP_1)
	v_and_b32_e32 v2, 1, v0
	v_lshlrev_b32_e32 v3, 30, v0
	v_lshlrev_b32_e32 v4, 29, v0
	;; [unrolled: 1-line block ×4, first 2 shown]
	v_add_co_u32 v2, s14, v2, -1
	s_delay_alu instid0(VALU_DEP_1)
	v_cndmask_b32_e64 v6, 0, 1, s14
	v_not_b32_e32 v44, v3
	v_cmp_gt_i32_e64 s14, 0, v3
	v_not_b32_e32 v3, v4
	v_lshlrev_b32_e32 v42, 26, v0
	v_cmp_ne_u32_e32 vcc_lo, 0, v6
	v_ashrrev_i32_e32 v6, 31, v44
	v_lshlrev_b32_e32 v43, 25, v0
	v_ashrrev_i32_e32 v3, 31, v3
	v_and_b32_e32 v1, 0xff, v0
	v_xor_b32_e32 v2, vcc_lo, v2
	v_cmp_gt_i32_e32 vcc_lo, 0, v4
	v_not_b32_e32 v4, v5
	v_xor_b32_e32 v6, s14, v6
	v_cmp_gt_i32_e64 s14, 0, v5
	v_and_b32_e32 v2, exec_lo, v2
	v_not_b32_e32 v5, v7
	v_ashrrev_i32_e32 v4, 31, v4
	v_xor_b32_e32 v3, vcc_lo, v3
	v_cmp_gt_i32_e32 vcc_lo, 0, v7
	v_and_b32_e32 v2, v2, v6
	v_not_b32_e32 v6, v42
	v_ashrrev_i32_e32 v5, 31, v5
	v_xor_b32_e32 v4, s14, v4
	v_lshlrev_b32_e32 v0, 24, v0
	v_and_b32_e32 v2, v2, v3
	v_cmp_gt_i32_e64 s14, 0, v42
	v_not_b32_e32 v3, v43
	v_ashrrev_i32_e32 v6, 31, v6
	v_xor_b32_e32 v5, vcc_lo, v5
	v_and_b32_e32 v2, v2, v4
	v_cmp_gt_i32_e32 vcc_lo, 0, v43
	v_not_b32_e32 v4, v0
	v_ashrrev_i32_e32 v3, 31, v3
	v_xor_b32_e32 v6, s14, v6
	v_and_b32_e32 v2, v2, v5
	v_lshlrev_b32_e32 v1, 1, v1
	v_cmp_gt_i32_e64 s14, 0, v0
	v_ashrrev_i32_e32 v0, 31, v4
	v_xor_b32_e32 v3, vcc_lo, v3
	v_and_b32_e32 v2, v2, v6
	v_add_lshl_u32 v1, v1, v29, 2
	s_delay_alu instid0(VALU_DEP_4) | instskip(NEXT) | instid1(VALU_DEP_3)
	v_xor_b32_e32 v0, s14, v0
	v_and_b32_e32 v2, v2, v3
	ds_load_b32 v42, v1 offset:8
	v_add_nc_u32_e32 v44, 8, v1
	; wave barrier
	v_and_b32_e32 v0, v2, v0
	s_delay_alu instid0(VALU_DEP_1) | instskip(SKIP_1) | instid1(VALU_DEP_2)
	v_mbcnt_lo_u32_b32 v43, v0, 0
	v_cmp_ne_u32_e64 s14, 0, v0
	v_cmp_eq_u32_e32 vcc_lo, 0, v43
	s_delay_alu instid0(VALU_DEP_2) | instskip(NEXT) | instid1(SALU_CYCLE_1)
	s_and_b32 s15, s14, vcc_lo
	s_and_saveexec_b32 s14, s15
	s_cbranch_execz .LBB292_12
; %bb.11:                               ;   in Loop: Header=BB292_4 Depth=2
	s_waitcnt lgkmcnt(0)
	v_bcnt_u32_b32 v0, v0, v42
	ds_store_b32 v44, v0
.LBB292_12:                             ;   in Loop: Header=BB292_4 Depth=2
	s_or_b32 exec_lo, exec_lo, s14
	; wave barrier
	s_waitcnt lgkmcnt(0)
	s_barrier
	buffer_gl0_inv
	ds_load_2addr_b64 v[4:7], v22 offset0:1 offset1:2
	ds_load_2addr_b64 v[0:3], v28 offset0:2 offset1:3
	s_waitcnt lgkmcnt(1)
	v_add_nc_u32_e32 v45, v5, v4
	s_delay_alu instid0(VALU_DEP_1) | instskip(SKIP_1) | instid1(VALU_DEP_1)
	v_add3_u32 v45, v45, v6, v7
	s_waitcnt lgkmcnt(0)
	v_add3_u32 v45, v45, v0, v1
	s_delay_alu instid0(VALU_DEP_1) | instskip(NEXT) | instid1(VALU_DEP_1)
	v_add3_u32 v3, v45, v2, v3
	v_mov_b32_dpp v45, v3 row_shr:1 row_mask:0xf bank_mask:0xf
	s_delay_alu instid0(VALU_DEP_1) | instskip(NEXT) | instid1(VALU_DEP_1)
	v_cndmask_b32_e64 v45, v45, 0, s3
	v_add_nc_u32_e32 v3, v45, v3
	s_delay_alu instid0(VALU_DEP_1) | instskip(NEXT) | instid1(VALU_DEP_1)
	v_mov_b32_dpp v45, v3 row_shr:2 row_mask:0xf bank_mask:0xf
	v_cndmask_b32_e64 v45, 0, v45, s4
	s_delay_alu instid0(VALU_DEP_1) | instskip(NEXT) | instid1(VALU_DEP_1)
	v_add_nc_u32_e32 v3, v3, v45
	v_mov_b32_dpp v45, v3 row_shr:4 row_mask:0xf bank_mask:0xf
	s_delay_alu instid0(VALU_DEP_1) | instskip(NEXT) | instid1(VALU_DEP_1)
	v_cndmask_b32_e64 v45, 0, v45, s5
	v_add_nc_u32_e32 v3, v3, v45
	s_delay_alu instid0(VALU_DEP_1) | instskip(NEXT) | instid1(VALU_DEP_1)
	v_mov_b32_dpp v45, v3 row_shr:8 row_mask:0xf bank_mask:0xf
	v_cndmask_b32_e64 v45, 0, v45, s6
	s_delay_alu instid0(VALU_DEP_1) | instskip(SKIP_3) | instid1(VALU_DEP_1)
	v_add_nc_u32_e32 v3, v3, v45
	ds_swizzle_b32 v45, v3 offset:swizzle(BROADCAST,32,15)
	s_waitcnt lgkmcnt(0)
	v_cndmask_b32_e64 v45, v45, 0, s7
	v_add_nc_u32_e32 v3, v3, v45
	s_and_saveexec_b32 s14, s8
	s_cbranch_execz .LBB292_14
; %bb.13:                               ;   in Loop: Header=BB292_4 Depth=2
	ds_store_b32 v31, v3
.LBB292_14:                             ;   in Loop: Header=BB292_4 Depth=2
	s_or_b32 exec_lo, exec_lo, s14
	s_waitcnt lgkmcnt(0)
	s_barrier
	buffer_gl0_inv
	s_and_saveexec_b32 s14, s9
	s_cbranch_execz .LBB292_16
; %bb.15:                               ;   in Loop: Header=BB292_4 Depth=2
	ds_load_b32 v45, v32
	s_waitcnt lgkmcnt(0)
	v_mov_b32_dpp v46, v45 row_shr:1 row_mask:0xf bank_mask:0xf
	s_delay_alu instid0(VALU_DEP_1) | instskip(NEXT) | instid1(VALU_DEP_1)
	v_cndmask_b32_e64 v46, v46, 0, s13
	v_add_nc_u32_e32 v45, v46, v45
	ds_store_b32 v32, v45
.LBB292_16:                             ;   in Loop: Header=BB292_4 Depth=2
	s_or_b32 exec_lo, exec_lo, s14
	v_mov_b32_e32 v45, 0
	s_waitcnt lgkmcnt(0)
	s_barrier
	buffer_gl0_inv
	s_and_saveexec_b32 s14, s10
	s_cbranch_execz .LBB292_18
; %bb.17:                               ;   in Loop: Header=BB292_4 Depth=2
	ds_load_b32 v45, v33
.LBB292_18:                             ;   in Loop: Header=BB292_4 Depth=2
	s_or_b32 exec_lo, exec_lo, s14
	s_waitcnt lgkmcnt(0)
	v_add_nc_u32_e32 v3, v45, v3
	s_cmp_gt_u32 s16, 55
	ds_bpermute_b32 v3, v30, v3
	s_waitcnt lgkmcnt(0)
	v_cndmask_b32_e64 v3, v3, v45, s11
	s_delay_alu instid0(VALU_DEP_1) | instskip(NEXT) | instid1(VALU_DEP_1)
	v_cndmask_b32_e64 v3, v3, 0, s12
	v_add_nc_u32_e32 v4, v3, v4
	s_delay_alu instid0(VALU_DEP_1) | instskip(NEXT) | instid1(VALU_DEP_1)
	v_add_nc_u32_e32 v5, v4, v5
	v_add_nc_u32_e32 v6, v5, v6
	s_delay_alu instid0(VALU_DEP_1) | instskip(NEXT) | instid1(VALU_DEP_1)
	v_add_nc_u32_e32 v45, v6, v7
	;; [unrolled: 3-line block ×3, first 2 shown]
	v_add_nc_u32_e32 v1, v0, v2
	ds_store_2addr_b64 v22, v[3:4], v[5:6] offset0:1 offset1:2
	ds_store_2addr_b64 v28, v[45:46], v[0:1] offset0:2 offset1:3
	s_waitcnt lgkmcnt(0)
	s_barrier
	buffer_gl0_inv
	ds_load_b32 v0, v35
	ds_load_b32 v1, v38
	;; [unrolled: 1-line block ×4, first 2 shown]
	s_waitcnt lgkmcnt(3)
	v_add_nc_u32_e32 v38, v0, v8
	s_waitcnt lgkmcnt(2)
	v_add3_u32 v36, v37, v36, v1
	s_waitcnt lgkmcnt(1)
	v_add3_u32 v35, v40, v39, v2
	;; [unrolled: 2-line block ×3, first 2 shown]
	s_cbranch_scc0 .LBB292_3
; %bb.19:                               ;   in Loop: Header=BB292_2 Depth=1
                                        ; implicit-def: $vgpr6_vgpr7
                                        ; implicit-def: $vgpr2_vgpr3
                                        ; implicit-def: $sgpr16_sgpr17
	s_branch .LBB292_1
.LBB292_20:
	v_lshlrev_b32_e32 v0, 3, v9
	s_add_u32 s0, s18, s20
	s_addc_u32 s1, s19, s21
	s_clause 0x3
	global_store_b64 v0, v[5:6], s[0:1]
	global_store_b64 v0, v[7:8], s[0:1] offset:512
	global_store_b64 v0, v[1:2], s[0:1] offset:1024
	;; [unrolled: 1-line block ×3, first 2 shown]
	s_nop 0
	s_sendmsg sendmsg(MSG_DEALLOC_VGPRS)
	s_endpgm
	.section	.rodata,"a",@progbits
	.p2align	6, 0x0
	.amdhsa_kernel _Z16sort_keys_kernelI22helper_blocked_stripedxLj64ELj4ELj10EEvPKT0_PS1_
		.amdhsa_group_segment_fixed_size 2064
		.amdhsa_private_segment_fixed_size 0
		.amdhsa_kernarg_size 272
		.amdhsa_user_sgpr_count 15
		.amdhsa_user_sgpr_dispatch_ptr 0
		.amdhsa_user_sgpr_queue_ptr 0
		.amdhsa_user_sgpr_kernarg_segment_ptr 1
		.amdhsa_user_sgpr_dispatch_id 0
		.amdhsa_user_sgpr_private_segment_size 0
		.amdhsa_wavefront_size32 1
		.amdhsa_uses_dynamic_stack 0
		.amdhsa_enable_private_segment 0
		.amdhsa_system_sgpr_workgroup_id_x 1
		.amdhsa_system_sgpr_workgroup_id_y 0
		.amdhsa_system_sgpr_workgroup_id_z 0
		.amdhsa_system_sgpr_workgroup_info 0
		.amdhsa_system_vgpr_workitem_id 2
		.amdhsa_next_free_vgpr 49
		.amdhsa_next_free_sgpr 24
		.amdhsa_reserve_vcc 1
		.amdhsa_float_round_mode_32 0
		.amdhsa_float_round_mode_16_64 0
		.amdhsa_float_denorm_mode_32 3
		.amdhsa_float_denorm_mode_16_64 3
		.amdhsa_dx10_clamp 1
		.amdhsa_ieee_mode 1
		.amdhsa_fp16_overflow 0
		.amdhsa_workgroup_processor_mode 1
		.amdhsa_memory_ordered 1
		.amdhsa_forward_progress 0
		.amdhsa_shared_vgpr_count 0
		.amdhsa_exception_fp_ieee_invalid_op 0
		.amdhsa_exception_fp_denorm_src 0
		.amdhsa_exception_fp_ieee_div_zero 0
		.amdhsa_exception_fp_ieee_overflow 0
		.amdhsa_exception_fp_ieee_underflow 0
		.amdhsa_exception_fp_ieee_inexact 0
		.amdhsa_exception_int_div_zero 0
	.end_amdhsa_kernel
	.section	.text._Z16sort_keys_kernelI22helper_blocked_stripedxLj64ELj4ELj10EEvPKT0_PS1_,"axG",@progbits,_Z16sort_keys_kernelI22helper_blocked_stripedxLj64ELj4ELj10EEvPKT0_PS1_,comdat
.Lfunc_end292:
	.size	_Z16sort_keys_kernelI22helper_blocked_stripedxLj64ELj4ELj10EEvPKT0_PS1_, .Lfunc_end292-_Z16sort_keys_kernelI22helper_blocked_stripedxLj64ELj4ELj10EEvPKT0_PS1_
                                        ; -- End function
	.section	.AMDGPU.csdata,"",@progbits
; Kernel info:
; codeLenInByte = 3184
; NumSgprs: 26
; NumVgprs: 49
; ScratchSize: 0
; MemoryBound: 0
; FloatMode: 240
; IeeeMode: 1
; LDSByteSize: 2064 bytes/workgroup (compile time only)
; SGPRBlocks: 3
; VGPRBlocks: 6
; NumSGPRsForWavesPerEU: 26
; NumVGPRsForWavesPerEU: 49
; Occupancy: 16
; WaveLimiterHint : 1
; COMPUTE_PGM_RSRC2:SCRATCH_EN: 0
; COMPUTE_PGM_RSRC2:USER_SGPR: 15
; COMPUTE_PGM_RSRC2:TRAP_HANDLER: 0
; COMPUTE_PGM_RSRC2:TGID_X_EN: 1
; COMPUTE_PGM_RSRC2:TGID_Y_EN: 0
; COMPUTE_PGM_RSRC2:TGID_Z_EN: 0
; COMPUTE_PGM_RSRC2:TIDIG_COMP_CNT: 2
	.section	.text._Z17sort_pairs_kernelI22helper_blocked_stripedxLj64ELj4ELj10EEvPKT0_PS1_,"axG",@progbits,_Z17sort_pairs_kernelI22helper_blocked_stripedxLj64ELj4ELj10EEvPKT0_PS1_,comdat
	.protected	_Z17sort_pairs_kernelI22helper_blocked_stripedxLj64ELj4ELj10EEvPKT0_PS1_ ; -- Begin function _Z17sort_pairs_kernelI22helper_blocked_stripedxLj64ELj4ELj10EEvPKT0_PS1_
	.globl	_Z17sort_pairs_kernelI22helper_blocked_stripedxLj64ELj4ELj10EEvPKT0_PS1_
	.p2align	8
	.type	_Z17sort_pairs_kernelI22helper_blocked_stripedxLj64ELj4ELj10EEvPKT0_PS1_,@function
_Z17sort_pairs_kernelI22helper_blocked_stripedxLj64ELj4ELj10EEvPKT0_PS1_: ; @_Z17sort_pairs_kernelI22helper_blocked_stripedxLj64ELj4ELj10EEvPKT0_PS1_
; %bb.0:
	s_clause 0x1
	s_load_b128 s[16:19], s[0:1], 0x0
	s_load_b32 s13, s[0:1], 0x1c
	v_mbcnt_lo_u32_b32 v10, -1, 0
	s_mov_b32 s23, 0
	s_lshl_b32 s22, s15, 8
	v_bfe_u32 v11, v0, 10, 10
	s_lshl_b64 s[20:21], s[22:23], 3
	v_add_nc_u32_e32 v14, -1, v10
	v_and_b32_e32 v13, 16, v10
	v_and_b32_e32 v15, 1, v10
	;; [unrolled: 1-line block ×4, first 2 shown]
	v_cmp_gt_i32_e32 vcc_lo, 0, v14
	v_and_b32_e32 v18, 0x3ff, v0
	v_cmp_eq_u32_e64 s8, 0, v13
	v_bfe_u32 v0, v0, 20, 10
	v_cmp_eq_u32_e64 s2, 2, v1
	v_cndmask_b32_e32 v13, v14, v10, vcc_lo
	v_lshlrev_b32_e32 v33, 5, v18
	v_lshrrev_b32_e32 v14, 3, v18
	s_waitcnt lgkmcnt(0)
	s_add_u32 s0, s16, s20
	s_addc_u32 s1, s17, s21
	s_lshr_b32 s12, s13, 16
	s_clause 0x1
	global_load_b128 v[6:9], v33, s[0:1]
	global_load_b128 v[2:5], v33, s[0:1] offset:16
	v_mad_u32_u24 v11, v0, s12, v11
	v_and_b32_e32 v40, 4, v14
	v_lshlrev_b32_e32 v35, 2, v18
	s_and_b32 s13, s13, 0xffff
	v_cmp_eq_u32_e64 s12, 0, v15
	v_cmp_eq_u32_e64 s1, 3, v1
	;; [unrolled: 1-line block ×3, first 2 shown]
	v_mad_u64_u32 v[0:1], null, v11, s13, v[18:19]
	v_cmp_eq_u32_e64 s4, 0, v12
	v_cmp_lt_u32_e64 s5, 1, v12
	v_cmp_lt_u32_e64 s6, 3, v12
	;; [unrolled: 1-line block ×3, first 2 shown]
	v_or_b32_e32 v12, 31, v18
	v_and_b32_e32 v34, 28, v10
	v_cmp_eq_u32_e64 s0, 0, v10
	v_and_or_b32 v1, 0x80, v35, v10
	v_cmp_gt_u32_e64 s9, 2, v18
	v_cmp_eq_u32_e64 s13, v12, v18
	v_or_b32_e32 v36, 32, v34
	v_or_b32_e32 v37, 64, v34
	;; [unrolled: 1-line block ×3, first 2 shown]
	v_cmp_lt_u32_e64 s10, 31, v18
	v_cmp_eq_u32_e64 s11, 0, v18
	v_or_b32_e32 v39, 8, v33
	v_lshlrev_b32_e32 v41, 2, v13
	v_mad_i32_i24 v42, 0xffffffe4, v18, v33
	v_add_nc_u32_e32 v43, -4, v40
	v_lshlrev_b32_e32 v44, 3, v1
	v_lshrrev_b32_e32 v45, 5, v0
	s_mov_b32 s22, s23
	s_mov_b32 s16, s23
	;; [unrolled: 1-line block ×4, first 2 shown]
	s_waitcnt vmcnt(1)
	v_add_co_u32 v14, vcc_lo, v6, 1
	v_add_co_ci_u32_e32 v15, vcc_lo, 0, v7, vcc_lo
	v_add_co_u32 v16, vcc_lo, v8, 1
	v_add_co_ci_u32_e32 v17, vcc_lo, 0, v9, vcc_lo
	s_waitcnt vmcnt(0)
	v_add_co_u32 v10, vcc_lo, v2, 1
	v_add_co_ci_u32_e32 v11, vcc_lo, 0, v3, vcc_lo
	v_add_co_u32 v12, vcc_lo, v4, 1
	v_add_co_ci_u32_e32 v13, vcc_lo, 0, v5, vcc_lo
	s_branch .LBB293_2
.LBB293_1:                              ;   in Loop: Header=BB293_2 Depth=1
	v_lshlrev_b32_e32 v0, 3, v50
	s_delay_alu instid0(VALU_DEP_2)
	v_lshlrev_b32_e32 v11, 3, v46
	v_add_nc_u32_e32 v12, v42, v35
	v_lshlrev_b32_e32 v1, 3, v49
	v_lshlrev_b32_e32 v10, 3, v48
	s_barrier
	buffer_gl0_inv
	ds_store_b64 v0, v[16:17]
	ds_store_b64 v1, v[31:32]
	;; [unrolled: 1-line block ×4, first 2 shown]
	s_waitcnt lgkmcnt(0)
	s_barrier
	buffer_gl0_inv
	ds_load_2addr_stride64_b64 v[6:9], v12 offset1:1
	ds_load_2addr_stride64_b64 v[2:5], v12 offset0:2 offset1:3
	s_waitcnt lgkmcnt(0)
	s_barrier
	buffer_gl0_inv
	ds_store_b64 v0, v[23:24]
	ds_store_b64 v1, v[21:22]
	;; [unrolled: 1-line block ×4, first 2 shown]
	s_waitcnt lgkmcnt(0)
	s_barrier
	buffer_gl0_inv
	ds_load_2addr_stride64_b64 v[14:17], v12 offset1:1
	ds_load_2addr_stride64_b64 v[10:13], v12 offset0:2 offset1:3
	s_add_i32 s15, s15, 1
	s_delay_alu instid0(SALU_CYCLE_1)
	s_cmp_lg_u32 s15, 10
	v_xor_b32_e32 v7, 0x80000000, v7
	v_xor_b32_e32 v9, 0x80000000, v9
	;; [unrolled: 1-line block ×4, first 2 shown]
	s_cbranch_scc0 .LBB293_20
.LBB293_2:                              ; =>This Loop Header: Depth=1
                                        ;     Child Loop BB293_4 Depth 2
	v_xor_b32_e32 v7, 0x80000000, v7
	v_xor_b32_e32 v9, 0x80000000, v9
	ds_bpermute_b32 v0, v34, v6
	ds_bpermute_b32 v1, v34, v8
	v_xor_b32_e32 v3, 0x80000000, v3
	ds_bpermute_b32 v19, v34, v7
	ds_bpermute_b32 v20, v34, v9
	;; [unrolled: 1-line block ×6, first 2 shown]
	v_xor_b32_e32 v25, 0x80000000, v5
	ds_bpermute_b32 v5, v36, v6
	ds_bpermute_b32 v26, v36, v8
	;; [unrolled: 1-line block ×11, first 2 shown]
	s_waitcnt lgkmcnt(17)
	v_cndmask_b32_e64 v0, v0, v1, s3
	ds_bpermute_b32 v47, v37, v2
	ds_bpermute_b32 v48, v37, v4
	s_waitcnt lgkmcnt(17)
	v_cndmask_b32_e64 v1, v19, v20, s3
	ds_bpermute_b32 v19, v37, v7
	ds_bpermute_b32 v20, v37, v9
	s_waitcnt lgkmcnt(18)
	v_cndmask_b32_e64 v0, v0, v21, s2
	s_waitcnt lgkmcnt(15)
	v_cndmask_b32_e64 v21, v23, v24, s3
	v_cndmask_b32_e64 v1, v1, v22, s2
	ds_bpermute_b32 v49, v36, v25
	s_waitcnt lgkmcnt(14)
	v_cndmask_b32_e64 v5, v5, v26, s3
	s_waitcnt lgkmcnt(13)
	v_cndmask_b32_e64 v0, v0, v27, s1
	;; [unrolled: 2-line block ×4, first 2 shown]
	ds_bpermute_b32 v7, v38, v7
	ds_bpermute_b32 v9, v38, v9
	;; [unrolled: 1-line block ×7, first 2 shown]
	s_waitcnt lgkmcnt(16)
	v_cndmask_b32_e64 v2, v32, v46, s3
	ds_bpermute_b32 v32, v38, v4
	ds_bpermute_b32 v22, v37, v3
	;; [unrolled: 1-line block ×3, first 2 shown]
	s_waitcnt lgkmcnt(11)
	v_cndmask_b32_e64 v4, v19, v20, s3
	ds_bpermute_b32 v19, v36, v14
	ds_bpermute_b32 v20, v36, v16
	;; [unrolled: 1-line block ×5, first 2 shown]
	v_cndmask_b32_e64 v3, v5, v30, s2
	v_cndmask_b32_e64 v6, v6, v8, s3
	;; [unrolled: 1-line block ×3, first 2 shown]
	ds_bpermute_b32 v30, v37, v17
	s_waitcnt lgkmcnt(14)
	v_cndmask_b32_e64 v7, v7, v9, s3
	v_cndmask_b32_e64 v2, v3, v31, s1
	;; [unrolled: 1-line block ×3, first 2 shown]
	s_waitcnt lgkmcnt(13)
	v_cndmask_b32_e64 v6, v6, v24, s2
	s_waitcnt lgkmcnt(10)
	v_cndmask_b32_e64 v8, v26, v28, s3
	s_waitcnt lgkmcnt(9)
	v_cndmask_b32_e64 v9, v27, v29, s3
	ds_bpermute_b32 v21, v38, v25
	ds_bpermute_b32 v24, v36, v15
	;; [unrolled: 1-line block ×6, first 2 shown]
	s_waitcnt lgkmcnt(10)
	v_cndmask_b32_e64 v19, v19, v20, s3
	ds_bpermute_b32 v20, v36, v10
	ds_bpermute_b32 v14, v38, v14
	;; [unrolled: 1-line block ×5, first 2 shown]
	v_cndmask_b32_e64 v22, v4, v22, s2
	v_cndmask_b32_e64 v6, v6, v32, s1
	;; [unrolled: 1-line block ×3, first 2 shown]
	ds_bpermute_b32 v26, v36, v11
	ds_bpermute_b32 v32, v37, v11
	;; [unrolled: 1-line block ×5, first 2 shown]
	v_cndmask_b32_e64 v4, v5, v48, s1
	s_waitcnt lgkmcnt(19)
	v_cndmask_b32_e64 v5, v22, v23, s1
	s_waitcnt lgkmcnt(18)
	;; [unrolled: 2-line block ×3, first 2 shown]
	v_cndmask_b32_e64 v9, v9, v51, s2
	ds_bpermute_b32 v22, v34, v12
	ds_bpermute_b32 v23, v34, v13
	;; [unrolled: 1-line block ×8, first 2 shown]
	s_waitcnt lgkmcnt(21)
	v_cndmask_b32_e64 v11, v24, v25, s3
	s_waitcnt lgkmcnt(17)
	v_cndmask_b32_e64 v12, v19, v20, s2
	v_cndmask_b32_e64 v13, v28, v30, s3
	;; [unrolled: 1-line block ×3, first 2 shown]
	s_waitcnt lgkmcnt(14)
	v_cndmask_b32_e64 v15, v15, v17, s3
	s_waitcnt lgkmcnt(13)
	v_cndmask_b32_e64 v14, v14, v16, s3
	;; [unrolled: 2-line block ×7, first 2 shown]
	v_cndmask_b32_e64 v7, v7, v21, s1
	s_waitcnt lgkmcnt(7)
	v_cndmask_b32_e64 v8, v8, v22, s1
	s_waitcnt lgkmcnt(6)
	;; [unrolled: 2-line block ×8, first 2 shown]
	v_cndmask_b32_e64 v14, v14, v52, s1
	s_mov_b64 s[24:25], 0
	s_barrier
	s_branch .LBB293_4
.LBB293_3:                              ;   in Loop: Header=BB293_4 Depth=2
	v_lshlrev_b32_e32 v8, 3, v50
	v_lshlrev_b32_e32 v9, 3, v49
	;; [unrolled: 1-line block ×4, first 2 shown]
	s_barrier
	buffer_gl0_inv
	ds_store_b64 v8, v[16:17]
	ds_store_b64 v9, v[31:32]
	;; [unrolled: 1-line block ×4, first 2 shown]
	s_waitcnt lgkmcnt(0)
	s_barrier
	buffer_gl0_inv
	ds_load_2addr_b64 v[0:3], v44 offset1:32
	ds_load_2addr_b64 v[4:7], v44 offset0:64 offset1:96
	s_waitcnt lgkmcnt(0)
	s_barrier
	buffer_gl0_inv
	ds_store_b64 v8, v[23:24]
	ds_store_b64 v9, v[21:22]
	;; [unrolled: 1-line block ×4, first 2 shown]
	s_waitcnt lgkmcnt(0)
	s_barrier
	buffer_gl0_inv
	ds_load_2addr_b64 v[8:11], v44 offset1:32
	ds_load_2addr_b64 v[12:15], v44 offset0:64 offset1:96
	s_add_u32 s24, s24, 8
	s_addc_u32 s25, s25, 0
	s_waitcnt lgkmcnt(0)
	s_barrier
	s_cbranch_execz .LBB293_1
.LBB293_4:                              ;   Parent Loop BB293_2 Depth=1
                                        ; =>  This Inner Loop Header: Depth=2
	v_dual_mov_b32 v17, v1 :: v_dual_mov_b32 v16, v0
	buffer_gl0_inv
	v_mov_b32_e32 v28, v7
	v_mov_b32_e32 v30, v5
	;; [unrolled: 1-line block ×3, first 2 shown]
	v_lshrrev_b64 v[46:47], s24, v[16:17]
	v_mov_b32_e32 v27, v6
	v_mov_b32_e32 v29, v4
	s_delay_alu instid0(VALU_DEP_3)
	v_dual_mov_b32 v31, v2 :: v_dual_and_b32 v0, 1, v46
	v_lshlrev_b32_e32 v1, 30, v46
	v_lshlrev_b32_e32 v19, 29, v46
	;; [unrolled: 1-line block ×4, first 2 shown]
	v_add_co_u32 v0, s14, v0, -1
	s_delay_alu instid0(VALU_DEP_1)
	v_cndmask_b32_e64 v21, 0, 1, s14
	v_not_b32_e32 v25, v1
	v_cmp_gt_i32_e64 s14, 0, v1
	v_not_b32_e32 v1, v19
	v_lshlrev_b32_e32 v23, 26, v46
	v_cmp_ne_u32_e32 vcc_lo, 0, v21
	v_ashrrev_i32_e32 v25, 31, v25
	v_lshlrev_b32_e32 v24, 25, v46
	v_ashrrev_i32_e32 v1, 31, v1
	v_lshlrev_b32_e32 v21, 24, v46
	v_xor_b32_e32 v0, vcc_lo, v0
	v_cmp_gt_i32_e32 vcc_lo, 0, v19
	v_not_b32_e32 v19, v20
	v_xor_b32_e32 v25, s14, v25
	v_cmp_gt_i32_e64 s14, 0, v20
	v_and_b32_e32 v0, exec_lo, v0
	v_not_b32_e32 v20, v22
	v_ashrrev_i32_e32 v19, 31, v19
	v_xor_b32_e32 v1, vcc_lo, v1
	v_cmp_gt_i32_e32 vcc_lo, 0, v22
	v_and_b32_e32 v0, v0, v25
	v_not_b32_e32 v22, v23
	v_ashrrev_i32_e32 v20, 31, v20
	v_xor_b32_e32 v19, s14, v19
	v_cmp_gt_i32_e64 s14, 0, v23
	v_and_b32_e32 v0, v0, v1
	v_not_b32_e32 v1, v24
	v_ashrrev_i32_e32 v22, 31, v22
	v_xor_b32_e32 v20, vcc_lo, v20
	v_mov_b32_e32 v26, v15
	v_dual_mov_b32 v25, v14 :: v_dual_and_b32 v0, v0, v19
	v_cmp_gt_i32_e32 vcc_lo, 0, v24
	v_ashrrev_i32_e32 v1, 31, v1
	v_xor_b32_e32 v22, s14, v22
	s_delay_alu instid0(VALU_DEP_4)
	v_and_b32_e32 v0, v0, v20
	v_mov_b32_e32 v24, v9
	v_not_b32_e32 v19, v21
	v_cmp_gt_i32_e64 s14, 0, v21
	v_xor_b32_e32 v1, vcc_lo, v1
	v_and_b32_e32 v0, v0, v22
	v_and_b32_e32 v5, 0xff, v46
	v_ashrrev_i32_e32 v19, 31, v19
	v_dual_mov_b32 v23, v8 :: v_dual_mov_b32 v22, v11
	s_delay_alu instid0(VALU_DEP_4) | instskip(NEXT) | instid1(VALU_DEP_3)
	v_dual_mov_b32 v1, s22 :: v_dual_and_b32 v0, v0, v1
	v_xor_b32_e32 v3, s14, v19
	v_mov_b32_e32 v20, v13
	v_dual_mov_b32 v2, s23 :: v_dual_mov_b32 v21, v10
	v_mov_b32_e32 v19, v12
	s_delay_alu instid0(VALU_DEP_4)
	v_dual_mov_b32 v3, s16 :: v_dual_and_b32 v0, v0, v3
	v_mov_b32_e32 v4, s17
	ds_store_2addr_b64 v33, v[1:2], v[3:4] offset0:1 offset1:2
	ds_store_2addr_b64 v39, v[1:2], v[3:4] offset0:2 offset1:3
	v_mbcnt_lo_u32_b32 v8, v0, 0
	v_lshl_add_u32 v1, v5, 1, v45
	v_cmp_ne_u32_e64 s14, 0, v0
	s_waitcnt lgkmcnt(0)
	s_barrier
	v_cmp_eq_u32_e32 vcc_lo, 0, v8
	v_lshl_add_u32 v9, v1, 2, 8
	buffer_gl0_inv
	; wave barrier
	s_and_b32 s26, s14, vcc_lo
	s_delay_alu instid0(SALU_CYCLE_1)
	s_and_saveexec_b32 s14, s26
	s_cbranch_execz .LBB293_6
; %bb.5:                                ;   in Loop: Header=BB293_4 Depth=2
	v_bcnt_u32_b32 v0, v0, 0
	ds_store_b32 v9, v0
.LBB293_6:                              ;   in Loop: Header=BB293_4 Depth=2
	s_or_b32 exec_lo, exec_lo, s14
	v_lshrrev_b64 v[0:1], s24, v[31:32]
	; wave barrier
	s_delay_alu instid0(VALU_DEP_1)
	v_and_b32_e32 v2, 1, v0
	v_lshlrev_b32_e32 v3, 30, v0
	v_lshlrev_b32_e32 v4, 29, v0
	;; [unrolled: 1-line block ×4, first 2 shown]
	v_add_co_u32 v2, s14, v2, -1
	s_delay_alu instid0(VALU_DEP_1)
	v_cndmask_b32_e64 v6, 0, 1, s14
	v_not_b32_e32 v12, v3
	v_cmp_gt_i32_e64 s14, 0, v3
	v_not_b32_e32 v3, v4
	v_lshlrev_b32_e32 v10, 26, v0
	v_cmp_ne_u32_e32 vcc_lo, 0, v6
	v_ashrrev_i32_e32 v6, 31, v12
	v_lshlrev_b32_e32 v11, 25, v0
	v_ashrrev_i32_e32 v3, 31, v3
	v_and_b32_e32 v1, 0xff, v0
	v_xor_b32_e32 v2, vcc_lo, v2
	v_cmp_gt_i32_e32 vcc_lo, 0, v4
	v_not_b32_e32 v4, v5
	v_xor_b32_e32 v6, s14, v6
	v_cmp_gt_i32_e64 s14, 0, v5
	v_and_b32_e32 v2, exec_lo, v2
	v_not_b32_e32 v5, v7
	v_ashrrev_i32_e32 v4, 31, v4
	v_xor_b32_e32 v3, vcc_lo, v3
	v_cmp_gt_i32_e32 vcc_lo, 0, v7
	v_and_b32_e32 v2, v2, v6
	v_not_b32_e32 v6, v10
	v_ashrrev_i32_e32 v5, 31, v5
	v_xor_b32_e32 v4, s14, v4
	v_lshlrev_b32_e32 v0, 24, v0
	v_and_b32_e32 v2, v2, v3
	v_cmp_gt_i32_e64 s14, 0, v10
	v_not_b32_e32 v3, v11
	v_ashrrev_i32_e32 v6, 31, v6
	v_xor_b32_e32 v5, vcc_lo, v5
	v_and_b32_e32 v2, v2, v4
	v_cmp_gt_i32_e32 vcc_lo, 0, v11
	v_not_b32_e32 v4, v0
	v_ashrrev_i32_e32 v3, 31, v3
	v_xor_b32_e32 v6, s14, v6
	v_and_b32_e32 v2, v2, v5
	v_lshlrev_b32_e32 v1, 1, v1
	v_cmp_gt_i32_e64 s14, 0, v0
	v_ashrrev_i32_e32 v0, 31, v4
	v_xor_b32_e32 v3, vcc_lo, v3
	v_and_b32_e32 v2, v2, v6
	v_add_lshl_u32 v1, v1, v45, 2
	s_delay_alu instid0(VALU_DEP_4) | instskip(NEXT) | instid1(VALU_DEP_3)
	v_xor_b32_e32 v0, s14, v0
	v_and_b32_e32 v2, v2, v3
	ds_load_b32 v10, v1 offset:8
	v_add_nc_u32_e32 v12, 8, v1
	; wave barrier
	v_and_b32_e32 v0, v2, v0
	s_delay_alu instid0(VALU_DEP_1) | instskip(SKIP_1) | instid1(VALU_DEP_2)
	v_mbcnt_lo_u32_b32 v11, v0, 0
	v_cmp_ne_u32_e64 s14, 0, v0
	v_cmp_eq_u32_e32 vcc_lo, 0, v11
	s_delay_alu instid0(VALU_DEP_2) | instskip(NEXT) | instid1(SALU_CYCLE_1)
	s_and_b32 s26, s14, vcc_lo
	s_and_saveexec_b32 s14, s26
	s_cbranch_execz .LBB293_8
; %bb.7:                                ;   in Loop: Header=BB293_4 Depth=2
	s_waitcnt lgkmcnt(0)
	v_bcnt_u32_b32 v0, v0, v10
	ds_store_b32 v12, v0
.LBB293_8:                              ;   in Loop: Header=BB293_4 Depth=2
	s_or_b32 exec_lo, exec_lo, s14
	v_lshrrev_b64 v[0:1], s24, v[29:30]
	; wave barrier
	s_delay_alu instid0(VALU_DEP_1)
	v_and_b32_e32 v2, 1, v0
	v_lshlrev_b32_e32 v3, 30, v0
	v_lshlrev_b32_e32 v4, 29, v0
	v_lshlrev_b32_e32 v5, 28, v0
	v_lshlrev_b32_e32 v7, 27, v0
	v_add_co_u32 v2, s14, v2, -1
	s_delay_alu instid0(VALU_DEP_1)
	v_cndmask_b32_e64 v6, 0, 1, s14
	v_not_b32_e32 v15, v3
	v_cmp_gt_i32_e64 s14, 0, v3
	v_not_b32_e32 v3, v4
	v_lshlrev_b32_e32 v13, 26, v0
	v_cmp_ne_u32_e32 vcc_lo, 0, v6
	v_ashrrev_i32_e32 v6, 31, v15
	v_lshlrev_b32_e32 v14, 25, v0
	v_ashrrev_i32_e32 v3, 31, v3
	v_and_b32_e32 v1, 0xff, v0
	v_xor_b32_e32 v2, vcc_lo, v2
	v_cmp_gt_i32_e32 vcc_lo, 0, v4
	v_not_b32_e32 v4, v5
	v_xor_b32_e32 v6, s14, v6
	v_cmp_gt_i32_e64 s14, 0, v5
	v_and_b32_e32 v2, exec_lo, v2
	v_not_b32_e32 v5, v7
	v_ashrrev_i32_e32 v4, 31, v4
	v_xor_b32_e32 v3, vcc_lo, v3
	v_cmp_gt_i32_e32 vcc_lo, 0, v7
	v_and_b32_e32 v2, v2, v6
	v_not_b32_e32 v6, v13
	v_ashrrev_i32_e32 v5, 31, v5
	v_xor_b32_e32 v4, s14, v4
	v_lshlrev_b32_e32 v0, 24, v0
	v_and_b32_e32 v2, v2, v3
	v_cmp_gt_i32_e64 s14, 0, v13
	v_not_b32_e32 v3, v14
	v_ashrrev_i32_e32 v6, 31, v6
	v_xor_b32_e32 v5, vcc_lo, v5
	v_and_b32_e32 v2, v2, v4
	v_cmp_gt_i32_e32 vcc_lo, 0, v14
	v_not_b32_e32 v4, v0
	v_ashrrev_i32_e32 v3, 31, v3
	v_xor_b32_e32 v6, s14, v6
	v_and_b32_e32 v2, v2, v5
	v_lshlrev_b32_e32 v1, 1, v1
	v_cmp_gt_i32_e64 s14, 0, v0
	v_ashrrev_i32_e32 v0, 31, v4
	v_xor_b32_e32 v3, vcc_lo, v3
	v_and_b32_e32 v2, v2, v6
	v_add_lshl_u32 v1, v1, v45, 2
	s_delay_alu instid0(VALU_DEP_4) | instskip(NEXT) | instid1(VALU_DEP_3)
	v_xor_b32_e32 v0, s14, v0
	v_and_b32_e32 v2, v2, v3
	ds_load_b32 v13, v1 offset:8
	v_add_nc_u32_e32 v15, 8, v1
	; wave barrier
	v_and_b32_e32 v0, v2, v0
	s_delay_alu instid0(VALU_DEP_1) | instskip(SKIP_1) | instid1(VALU_DEP_2)
	v_mbcnt_lo_u32_b32 v14, v0, 0
	v_cmp_ne_u32_e64 s14, 0, v0
	v_cmp_eq_u32_e32 vcc_lo, 0, v14
	s_delay_alu instid0(VALU_DEP_2) | instskip(NEXT) | instid1(SALU_CYCLE_1)
	s_and_b32 s26, s14, vcc_lo
	s_and_saveexec_b32 s14, s26
	s_cbranch_execz .LBB293_10
; %bb.9:                                ;   in Loop: Header=BB293_4 Depth=2
	s_waitcnt lgkmcnt(0)
	v_bcnt_u32_b32 v0, v0, v13
	ds_store_b32 v15, v0
.LBB293_10:                             ;   in Loop: Header=BB293_4 Depth=2
	s_or_b32 exec_lo, exec_lo, s14
	v_lshrrev_b64 v[0:1], s24, v[27:28]
	; wave barrier
	s_delay_alu instid0(VALU_DEP_1)
	v_and_b32_e32 v2, 1, v0
	v_lshlrev_b32_e32 v3, 30, v0
	v_lshlrev_b32_e32 v4, 29, v0
	;; [unrolled: 1-line block ×4, first 2 shown]
	v_add_co_u32 v2, s14, v2, -1
	s_delay_alu instid0(VALU_DEP_1)
	v_cndmask_b32_e64 v6, 0, 1, s14
	v_not_b32_e32 v48, v3
	v_cmp_gt_i32_e64 s14, 0, v3
	v_not_b32_e32 v3, v4
	v_lshlrev_b32_e32 v46, 26, v0
	v_cmp_ne_u32_e32 vcc_lo, 0, v6
	v_ashrrev_i32_e32 v6, 31, v48
	v_lshlrev_b32_e32 v47, 25, v0
	v_ashrrev_i32_e32 v3, 31, v3
	v_and_b32_e32 v1, 0xff, v0
	v_xor_b32_e32 v2, vcc_lo, v2
	v_cmp_gt_i32_e32 vcc_lo, 0, v4
	v_not_b32_e32 v4, v5
	v_xor_b32_e32 v6, s14, v6
	v_cmp_gt_i32_e64 s14, 0, v5
	v_and_b32_e32 v2, exec_lo, v2
	v_not_b32_e32 v5, v7
	v_ashrrev_i32_e32 v4, 31, v4
	v_xor_b32_e32 v3, vcc_lo, v3
	v_cmp_gt_i32_e32 vcc_lo, 0, v7
	v_and_b32_e32 v2, v2, v6
	v_not_b32_e32 v6, v46
	v_ashrrev_i32_e32 v5, 31, v5
	v_xor_b32_e32 v4, s14, v4
	v_lshlrev_b32_e32 v0, 24, v0
	v_and_b32_e32 v2, v2, v3
	v_cmp_gt_i32_e64 s14, 0, v46
	v_not_b32_e32 v3, v47
	v_ashrrev_i32_e32 v6, 31, v6
	v_xor_b32_e32 v5, vcc_lo, v5
	v_and_b32_e32 v2, v2, v4
	v_cmp_gt_i32_e32 vcc_lo, 0, v47
	v_not_b32_e32 v4, v0
	v_ashrrev_i32_e32 v3, 31, v3
	v_xor_b32_e32 v6, s14, v6
	v_and_b32_e32 v2, v2, v5
	v_lshlrev_b32_e32 v1, 1, v1
	v_cmp_gt_i32_e64 s14, 0, v0
	v_ashrrev_i32_e32 v0, 31, v4
	v_xor_b32_e32 v3, vcc_lo, v3
	v_and_b32_e32 v2, v2, v6
	v_add_lshl_u32 v1, v1, v45, 2
	s_delay_alu instid0(VALU_DEP_4) | instskip(NEXT) | instid1(VALU_DEP_3)
	v_xor_b32_e32 v0, s14, v0
	v_and_b32_e32 v2, v2, v3
	ds_load_b32 v46, v1 offset:8
	v_add_nc_u32_e32 v48, 8, v1
	; wave barrier
	v_and_b32_e32 v0, v2, v0
	s_delay_alu instid0(VALU_DEP_1) | instskip(SKIP_1) | instid1(VALU_DEP_2)
	v_mbcnt_lo_u32_b32 v47, v0, 0
	v_cmp_ne_u32_e64 s14, 0, v0
	v_cmp_eq_u32_e32 vcc_lo, 0, v47
	s_delay_alu instid0(VALU_DEP_2) | instskip(NEXT) | instid1(SALU_CYCLE_1)
	s_and_b32 s26, s14, vcc_lo
	s_and_saveexec_b32 s14, s26
	s_cbranch_execz .LBB293_12
; %bb.11:                               ;   in Loop: Header=BB293_4 Depth=2
	s_waitcnt lgkmcnt(0)
	v_bcnt_u32_b32 v0, v0, v46
	ds_store_b32 v48, v0
.LBB293_12:                             ;   in Loop: Header=BB293_4 Depth=2
	s_or_b32 exec_lo, exec_lo, s14
	; wave barrier
	s_waitcnt lgkmcnt(0)
	s_barrier
	buffer_gl0_inv
	ds_load_2addr_b64 v[4:7], v33 offset0:1 offset1:2
	ds_load_2addr_b64 v[0:3], v39 offset0:2 offset1:3
	s_waitcnt lgkmcnt(1)
	v_add_nc_u32_e32 v49, v5, v4
	s_delay_alu instid0(VALU_DEP_1) | instskip(SKIP_1) | instid1(VALU_DEP_1)
	v_add3_u32 v49, v49, v6, v7
	s_waitcnt lgkmcnt(0)
	v_add3_u32 v49, v49, v0, v1
	s_delay_alu instid0(VALU_DEP_1) | instskip(NEXT) | instid1(VALU_DEP_1)
	v_add3_u32 v3, v49, v2, v3
	v_mov_b32_dpp v49, v3 row_shr:1 row_mask:0xf bank_mask:0xf
	s_delay_alu instid0(VALU_DEP_1) | instskip(NEXT) | instid1(VALU_DEP_1)
	v_cndmask_b32_e64 v49, v49, 0, s4
	v_add_nc_u32_e32 v3, v49, v3
	s_delay_alu instid0(VALU_DEP_1) | instskip(NEXT) | instid1(VALU_DEP_1)
	v_mov_b32_dpp v49, v3 row_shr:2 row_mask:0xf bank_mask:0xf
	v_cndmask_b32_e64 v49, 0, v49, s5
	s_delay_alu instid0(VALU_DEP_1) | instskip(NEXT) | instid1(VALU_DEP_1)
	v_add_nc_u32_e32 v3, v3, v49
	v_mov_b32_dpp v49, v3 row_shr:4 row_mask:0xf bank_mask:0xf
	s_delay_alu instid0(VALU_DEP_1) | instskip(NEXT) | instid1(VALU_DEP_1)
	v_cndmask_b32_e64 v49, 0, v49, s6
	v_add_nc_u32_e32 v3, v3, v49
	s_delay_alu instid0(VALU_DEP_1) | instskip(NEXT) | instid1(VALU_DEP_1)
	v_mov_b32_dpp v49, v3 row_shr:8 row_mask:0xf bank_mask:0xf
	v_cndmask_b32_e64 v49, 0, v49, s7
	s_delay_alu instid0(VALU_DEP_1) | instskip(SKIP_3) | instid1(VALU_DEP_1)
	v_add_nc_u32_e32 v3, v3, v49
	ds_swizzle_b32 v49, v3 offset:swizzle(BROADCAST,32,15)
	s_waitcnt lgkmcnt(0)
	v_cndmask_b32_e64 v49, v49, 0, s8
	v_add_nc_u32_e32 v3, v3, v49
	s_and_saveexec_b32 s14, s13
	s_cbranch_execz .LBB293_14
; %bb.13:                               ;   in Loop: Header=BB293_4 Depth=2
	ds_store_b32 v40, v3
.LBB293_14:                             ;   in Loop: Header=BB293_4 Depth=2
	s_or_b32 exec_lo, exec_lo, s14
	s_waitcnt lgkmcnt(0)
	s_barrier
	buffer_gl0_inv
	s_and_saveexec_b32 s14, s9
	s_cbranch_execz .LBB293_16
; %bb.15:                               ;   in Loop: Header=BB293_4 Depth=2
	ds_load_b32 v49, v42
	s_waitcnt lgkmcnt(0)
	v_mov_b32_dpp v50, v49 row_shr:1 row_mask:0xf bank_mask:0xf
	s_delay_alu instid0(VALU_DEP_1) | instskip(NEXT) | instid1(VALU_DEP_1)
	v_cndmask_b32_e64 v50, v50, 0, s12
	v_add_nc_u32_e32 v49, v50, v49
	ds_store_b32 v42, v49
.LBB293_16:                             ;   in Loop: Header=BB293_4 Depth=2
	s_or_b32 exec_lo, exec_lo, s14
	v_mov_b32_e32 v49, 0
	s_waitcnt lgkmcnt(0)
	s_barrier
	buffer_gl0_inv
	s_and_saveexec_b32 s14, s10
	s_cbranch_execz .LBB293_18
; %bb.17:                               ;   in Loop: Header=BB293_4 Depth=2
	ds_load_b32 v49, v43
.LBB293_18:                             ;   in Loop: Header=BB293_4 Depth=2
	s_or_b32 exec_lo, exec_lo, s14
	s_waitcnt lgkmcnt(0)
	v_add_nc_u32_e32 v3, v49, v3
	s_cmp_gt_u32 s24, 55
	ds_bpermute_b32 v3, v41, v3
	s_waitcnt lgkmcnt(0)
	v_cndmask_b32_e64 v3, v3, v49, s0
	s_delay_alu instid0(VALU_DEP_1) | instskip(NEXT) | instid1(VALU_DEP_1)
	v_cndmask_b32_e64 v3, v3, 0, s11
	v_add_nc_u32_e32 v4, v3, v4
	s_delay_alu instid0(VALU_DEP_1) | instskip(NEXT) | instid1(VALU_DEP_1)
	v_add_nc_u32_e32 v5, v4, v5
	v_add_nc_u32_e32 v6, v5, v6
	s_delay_alu instid0(VALU_DEP_1) | instskip(NEXT) | instid1(VALU_DEP_1)
	v_add_nc_u32_e32 v49, v6, v7
	;; [unrolled: 3-line block ×3, first 2 shown]
	v_add_nc_u32_e32 v1, v0, v2
	ds_store_2addr_b64 v33, v[3:4], v[5:6] offset0:1 offset1:2
	ds_store_2addr_b64 v39, v[49:50], v[0:1] offset0:2 offset1:3
	s_waitcnt lgkmcnt(0)
	s_barrier
	buffer_gl0_inv
	ds_load_b32 v0, v9
	ds_load_b32 v1, v12
	;; [unrolled: 1-line block ×4, first 2 shown]
	s_waitcnt lgkmcnt(3)
	v_add_nc_u32_e32 v50, v0, v8
	s_waitcnt lgkmcnt(2)
	v_add3_u32 v49, v11, v10, v1
	s_waitcnt lgkmcnt(1)
	v_add3_u32 v48, v14, v13, v2
	;; [unrolled: 2-line block ×3, first 2 shown]
	s_cbranch_scc0 .LBB293_3
; %bb.19:                               ;   in Loop: Header=BB293_2 Depth=1
                                        ; implicit-def: $vgpr6_vgpr7
                                        ; implicit-def: $vgpr2_vgpr3
                                        ; implicit-def: $vgpr8_vgpr9
                                        ; implicit-def: $vgpr12_vgpr13
                                        ; implicit-def: $sgpr24_sgpr25
	s_branch .LBB293_1
.LBB293_20:
	s_waitcnt lgkmcnt(1)
	v_add_co_u32 v0, vcc_lo, v14, v6
	v_add_co_ci_u32_e32 v1, vcc_lo, v15, v7, vcc_lo
	v_add_co_u32 v6, vcc_lo, v16, v8
	v_add_co_ci_u32_e32 v7, vcc_lo, v17, v9, vcc_lo
	s_waitcnt lgkmcnt(0)
	v_add_co_u32 v2, vcc_lo, v10, v2
	v_add_co_ci_u32_e32 v3, vcc_lo, v11, v3, vcc_lo
	v_lshlrev_b32_e32 v8, 3, v18
	v_add_co_u32 v4, vcc_lo, v12, v4
	s_add_u32 s0, s18, s20
	v_add_co_ci_u32_e32 v5, vcc_lo, v13, v5, vcc_lo
	s_addc_u32 s1, s19, s21
	s_clause 0x3
	global_store_b64 v8, v[0:1], s[0:1]
	global_store_b64 v8, v[6:7], s[0:1] offset:512
	global_store_b64 v8, v[2:3], s[0:1] offset:1024
	global_store_b64 v8, v[4:5], s[0:1] offset:1536
	s_nop 0
	s_sendmsg sendmsg(MSG_DEALLOC_VGPRS)
	s_endpgm
	.section	.rodata,"a",@progbits
	.p2align	6, 0x0
	.amdhsa_kernel _Z17sort_pairs_kernelI22helper_blocked_stripedxLj64ELj4ELj10EEvPKT0_PS1_
		.amdhsa_group_segment_fixed_size 2064
		.amdhsa_private_segment_fixed_size 0
		.amdhsa_kernarg_size 272
		.amdhsa_user_sgpr_count 15
		.amdhsa_user_sgpr_dispatch_ptr 0
		.amdhsa_user_sgpr_queue_ptr 0
		.amdhsa_user_sgpr_kernarg_segment_ptr 1
		.amdhsa_user_sgpr_dispatch_id 0
		.amdhsa_user_sgpr_private_segment_size 0
		.amdhsa_wavefront_size32 1
		.amdhsa_uses_dynamic_stack 0
		.amdhsa_enable_private_segment 0
		.amdhsa_system_sgpr_workgroup_id_x 1
		.amdhsa_system_sgpr_workgroup_id_y 0
		.amdhsa_system_sgpr_workgroup_id_z 0
		.amdhsa_system_sgpr_workgroup_info 0
		.amdhsa_system_vgpr_workitem_id 2
		.amdhsa_next_free_vgpr 53
		.amdhsa_next_free_sgpr 27
		.amdhsa_reserve_vcc 1
		.amdhsa_float_round_mode_32 0
		.amdhsa_float_round_mode_16_64 0
		.amdhsa_float_denorm_mode_32 3
		.amdhsa_float_denorm_mode_16_64 3
		.amdhsa_dx10_clamp 1
		.amdhsa_ieee_mode 1
		.amdhsa_fp16_overflow 0
		.amdhsa_workgroup_processor_mode 1
		.amdhsa_memory_ordered 1
		.amdhsa_forward_progress 0
		.amdhsa_shared_vgpr_count 0
		.amdhsa_exception_fp_ieee_invalid_op 0
		.amdhsa_exception_fp_denorm_src 0
		.amdhsa_exception_fp_ieee_div_zero 0
		.amdhsa_exception_fp_ieee_overflow 0
		.amdhsa_exception_fp_ieee_underflow 0
		.amdhsa_exception_fp_ieee_inexact 0
		.amdhsa_exception_int_div_zero 0
	.end_amdhsa_kernel
	.section	.text._Z17sort_pairs_kernelI22helper_blocked_stripedxLj64ELj4ELj10EEvPKT0_PS1_,"axG",@progbits,_Z17sort_pairs_kernelI22helper_blocked_stripedxLj64ELj4ELj10EEvPKT0_PS1_,comdat
.Lfunc_end293:
	.size	_Z17sort_pairs_kernelI22helper_blocked_stripedxLj64ELj4ELj10EEvPKT0_PS1_, .Lfunc_end293-_Z17sort_pairs_kernelI22helper_blocked_stripedxLj64ELj4ELj10EEvPKT0_PS1_
                                        ; -- End function
	.section	.AMDGPU.csdata,"",@progbits
; Kernel info:
; codeLenInByte = 4016
; NumSgprs: 29
; NumVgprs: 53
; ScratchSize: 0
; MemoryBound: 0
; FloatMode: 240
; IeeeMode: 1
; LDSByteSize: 2064 bytes/workgroup (compile time only)
; SGPRBlocks: 3
; VGPRBlocks: 6
; NumSGPRsForWavesPerEU: 29
; NumVGPRsForWavesPerEU: 53
; Occupancy: 16
; WaveLimiterHint : 1
; COMPUTE_PGM_RSRC2:SCRATCH_EN: 0
; COMPUTE_PGM_RSRC2:USER_SGPR: 15
; COMPUTE_PGM_RSRC2:TRAP_HANDLER: 0
; COMPUTE_PGM_RSRC2:TGID_X_EN: 1
; COMPUTE_PGM_RSRC2:TGID_Y_EN: 0
; COMPUTE_PGM_RSRC2:TGID_Z_EN: 0
; COMPUTE_PGM_RSRC2:TIDIG_COMP_CNT: 2
	.section	.text._Z16sort_keys_kernelI22helper_blocked_stripedxLj64ELj8ELj10EEvPKT0_PS1_,"axG",@progbits,_Z16sort_keys_kernelI22helper_blocked_stripedxLj64ELj8ELj10EEvPKT0_PS1_,comdat
	.protected	_Z16sort_keys_kernelI22helper_blocked_stripedxLj64ELj8ELj10EEvPKT0_PS1_ ; -- Begin function _Z16sort_keys_kernelI22helper_blocked_stripedxLj64ELj8ELj10EEvPKT0_PS1_
	.globl	_Z16sort_keys_kernelI22helper_blocked_stripedxLj64ELj8ELj10EEvPKT0_PS1_
	.p2align	8
	.type	_Z16sort_keys_kernelI22helper_blocked_stripedxLj64ELj8ELj10EEvPKT0_PS1_,@function
_Z16sort_keys_kernelI22helper_blocked_stripedxLj64ELj8ELj10EEvPKT0_PS1_: ; @_Z16sort_keys_kernelI22helper_blocked_stripedxLj64ELj8ELj10EEvPKT0_PS1_
; %bb.0:
	s_clause 0x1
	s_load_b128 s[16:19], s[0:1], 0x0
	s_load_b32 s2, s[0:1], 0x1c
	v_and_b32_e32 v17, 0x3ff, v0
	s_mov_b32 s13, 0
	s_lshl_b32 s12, s15, 9
	v_mbcnt_lo_u32_b32 v20, -1, 0
	s_lshl_b64 s[14:15], s[12:13], 3
	v_lshlrev_b32_e32 v13, 6, v17
	v_bfe_u32 v18, v0, 10, 10
	v_bfe_u32 v0, v0, 20, 10
	v_lshlrev_b32_e32 v32, 3, v17
	v_and_b32_e32 v21, 32, v17
	v_lshlrev_b32_e32 v33, 5, v17
	v_cmp_gt_u32_e64 s6, 2, v17
	v_cmp_lt_u32_e64 s7, 31, v17
	v_cmp_eq_u32_e64 s8, 0, v20
	v_or_b32_e32 v22, v20, v21
	v_or_b32_e32 v21, 31, v21
	v_mad_i32_i24 v40, 0xffffffe4, v17, v33
	v_or_b32_e32 v36, 8, v33
	s_waitcnt lgkmcnt(0)
	s_add_u32 s0, s16, s14
	s_addc_u32 s1, s17, s15
	v_lshlrev_b32_e32 v34, 6, v22
	s_clause 0x3
	global_load_b128 v[1:4], v13, s[0:1] offset:48
	global_load_b128 v[5:8], v13, s[0:1] offset:32
	global_load_b128 v[9:12], v13, s[0:1] offset:16
	global_load_b128 v[13:16], v13, s[0:1]
	s_lshr_b32 s0, s2, 16
	v_cmp_eq_u32_e64 s5, v21, v17
	v_mad_u32_u24 v0, v0, s0, v18
	s_and_b32 s0, s2, 0xffff
	v_cmp_eq_u32_e64 s9, 0, v17
	s_mov_b32 s12, s13
	s_mov_b32 s16, s13
	v_mad_u64_u32 v[18:19], null, v0, s0, v[17:18]
	v_and_or_b32 v0, 0x100, v32, v20
	v_and_b32_e32 v19, 15, v20
	s_mov_b32 s17, s13
	s_mov_b32 s22, s13
	s_delay_alu instid0(VALU_DEP_2) | instskip(NEXT) | instid1(VALU_DEP_4)
	v_lshlrev_b32_e32 v35, 3, v0
	v_lshrrev_b32_e32 v37, 5, v18
	v_add_nc_u32_e32 v18, -1, v20
	v_and_b32_e32 v0, 16, v20
	v_cmp_eq_u32_e64 s0, 0, v19
	v_cmp_lt_u32_e64 s1, 1, v19
	v_cmp_lt_u32_e64 s2, 3, v19
	v_cmp_gt_i32_e32 vcc_lo, 0, v18
	v_cmp_eq_u32_e64 s4, 0, v0
	v_cmp_lt_u32_e64 s3, 7, v19
	v_cndmask_b32_e32 v0, v18, v20, vcc_lo
	v_lshrrev_b32_e32 v18, 3, v17
	s_delay_alu instid0(VALU_DEP_2) | instskip(SKIP_1) | instid1(VALU_DEP_3)
	v_lshlrev_b32_e32 v38, 2, v0
	v_and_b32_e32 v0, 1, v20
	v_and_b32_e32 v39, 4, v18
	v_lshlrev_b32_e32 v18, 2, v17
	s_delay_alu instid0(VALU_DEP_3) | instskip(NEXT) | instid1(VALU_DEP_3)
	v_cmp_eq_u32_e64 s10, 0, v0
	v_add_nc_u32_e32 v41, -4, v39
	s_delay_alu instid0(VALU_DEP_3)
	v_add_nc_u32_e32 v42, v40, v18
	s_branch .LBB294_2
.LBB294_1:                              ;   in Loop: Header=BB294_2 Depth=1
	v_lshlrev_b32_e32 v0, 3, v57
	v_lshlrev_b32_e32 v1, 3, v54
	;; [unrolled: 1-line block ×3, first 2 shown]
	s_barrier
	buffer_gl0_inv
	ds_store_b64 v0, v[16:17]
	ds_store_b64 v1, v[30:31]
	;; [unrolled: 1-line block ×3, first 2 shown]
	v_lshlrev_b32_e32 v0, 3, v48
	v_lshlrev_b32_e32 v1, 3, v46
	;; [unrolled: 1-line block ×5, first 2 shown]
	ds_store_b64 v0, v[26:27]
	ds_store_b64 v1, v[24:25]
	;; [unrolled: 1-line block ×5, first 2 shown]
	s_waitcnt lgkmcnt(0)
	s_barrier
	buffer_gl0_inv
	ds_load_2addr_stride64_b64 v[13:16], v42 offset1:1
	ds_load_2addr_stride64_b64 v[9:12], v42 offset0:2 offset1:3
	ds_load_2addr_stride64_b64 v[5:8], v42 offset0:4 offset1:5
	;; [unrolled: 1-line block ×3, first 2 shown]
	s_add_i32 s22, s22, 1
	s_delay_alu instid0(SALU_CYCLE_1)
	s_cmp_eq_u32 s22, 10
	s_waitcnt lgkmcnt(3)
	v_xor_b32_e32 v14, 0x80000000, v14
	v_xor_b32_e32 v16, 0x80000000, v16
	s_waitcnt lgkmcnt(2)
	v_xor_b32_e32 v10, 0x80000000, v10
	v_xor_b32_e32 v12, 0x80000000, v12
	;; [unrolled: 3-line block ×4, first 2 shown]
	s_cbranch_scc1 .LBB294_28
.LBB294_2:                              ; =>This Loop Header: Depth=1
                                        ;     Child Loop BB294_4 Depth 2
	s_waitcnt vmcnt(0)
	v_xor_b32_e32 v14, 0x80000000, v14
	v_xor_b32_e32 v16, 0x80000000, v16
	v_xor_b32_e32 v10, 0x80000000, v10
	v_xor_b32_e32 v12, 0x80000000, v12
	v_xor_b32_e32 v6, 0x80000000, v6
	v_xor_b32_e32 v8, 0x80000000, v8
	v_xor_b32_e32 v2, 0x80000000, v2
	v_xor_b32_e32 v4, 0x80000000, v4
	ds_store_2addr_b64 v34, v[13:14], v[15:16] offset1:1
	ds_store_2addr_b64 v34, v[9:10], v[11:12] offset0:2 offset1:3
	ds_store_2addr_b64 v34, v[5:6], v[7:8] offset0:4 offset1:5
	;; [unrolled: 1-line block ×3, first 2 shown]
	; wave barrier
	ds_load_2addr_b64 v[0:3], v35 offset1:32
	ds_load_2addr_b64 v[4:7], v35 offset0:64 offset1:96
	ds_load_2addr_b64 v[8:11], v35 offset0:128 offset1:160
	;; [unrolled: 1-line block ×3, first 2 shown]
	s_mov_b64 s[20:21], 0
	s_waitcnt lgkmcnt(0)
	s_barrier
	buffer_gl0_inv
	; wave barrier
	s_barrier
	s_branch .LBB294_4
.LBB294_3:                              ;   in Loop: Header=BB294_4 Depth=2
	v_lshlrev_b32_e32 v0, 3, v57
	v_lshlrev_b32_e32 v1, 3, v54
	;; [unrolled: 1-line block ×3, first 2 shown]
	s_barrier
	buffer_gl0_inv
	ds_store_b64 v0, v[16:17]
	ds_store_b64 v1, v[30:31]
	ds_store_b64 v2, v[28:29]
	v_lshlrev_b32_e32 v0, 3, v48
	v_lshlrev_b32_e32 v1, 3, v46
	;; [unrolled: 1-line block ×5, first 2 shown]
	ds_store_b64 v0, v[26:27]
	ds_store_b64 v1, v[24:25]
	;; [unrolled: 1-line block ×5, first 2 shown]
	s_waitcnt lgkmcnt(0)
	s_barrier
	buffer_gl0_inv
	ds_load_2addr_b64 v[0:3], v35 offset1:32
	ds_load_2addr_b64 v[4:7], v35 offset0:64 offset1:96
	ds_load_2addr_b64 v[8:11], v35 offset0:128 offset1:160
	;; [unrolled: 1-line block ×3, first 2 shown]
	s_add_u32 s20, s20, 8
	s_addc_u32 s21, s21, 0
	s_waitcnt lgkmcnt(0)
	s_barrier
	s_cbranch_execz .LBB294_1
.LBB294_4:                              ;   Parent Loop BB294_2 Depth=1
                                        ; =>  This Inner Loop Header: Depth=2
	v_dual_mov_b32 v17, v1 :: v_dual_mov_b32 v16, v0
	buffer_gl0_inv
	v_mov_b32_e32 v27, v7
	v_dual_mov_b32 v29, v5 :: v_dual_mov_b32 v28, v4
	v_lshrrev_b64 v[43:44], s20, v[16:17]
	v_mov_b32_e32 v4, s12
	v_mov_b32_e32 v26, v6
	v_dual_mov_b32 v6, s16 :: v_dual_mov_b32 v5, s13
	s_delay_alu instid0(VALU_DEP_4)
	v_dual_mov_b32 v7, s17 :: v_dual_and_b32 v0, 1, v43
	v_lshlrev_b32_e32 v1, 30, v43
	v_lshlrev_b32_e32 v18, 29, v43
	;; [unrolled: 1-line block ×4, first 2 shown]
	v_add_co_u32 v0, s11, v0, -1
	s_delay_alu instid0(VALU_DEP_1)
	v_cndmask_b32_e64 v20, 0, 1, s11
	v_not_b32_e32 v24, v1
	v_cmp_gt_i32_e64 s11, 0, v1
	v_not_b32_e32 v1, v18
	v_lshlrev_b32_e32 v22, 26, v43
	v_cmp_ne_u32_e32 vcc_lo, 0, v20
	v_ashrrev_i32_e32 v24, 31, v24
	v_lshlrev_b32_e32 v23, 25, v43
	v_ashrrev_i32_e32 v1, 31, v1
	v_lshlrev_b32_e32 v20, 24, v43
	v_xor_b32_e32 v0, vcc_lo, v0
	v_cmp_gt_i32_e32 vcc_lo, 0, v18
	v_not_b32_e32 v18, v19
	v_xor_b32_e32 v24, s11, v24
	v_cmp_gt_i32_e64 s11, 0, v19
	v_and_b32_e32 v0, exec_lo, v0
	v_not_b32_e32 v19, v21
	v_ashrrev_i32_e32 v18, 31, v18
	v_xor_b32_e32 v1, vcc_lo, v1
	v_cmp_gt_i32_e32 vcc_lo, 0, v21
	v_and_b32_e32 v0, v0, v24
	v_not_b32_e32 v21, v22
	v_ashrrev_i32_e32 v19, 31, v19
	v_xor_b32_e32 v18, s11, v18
	v_cmp_gt_i32_e64 s11, 0, v22
	v_and_b32_e32 v0, v0, v1
	v_not_b32_e32 v1, v23
	v_ashrrev_i32_e32 v21, 31, v21
	v_xor_b32_e32 v19, vcc_lo, v19
	v_cmp_gt_i32_e32 vcc_lo, 0, v23
	v_and_b32_e32 v0, v0, v18
	v_ashrrev_i32_e32 v1, 31, v1
	v_xor_b32_e32 v21, s11, v21
	v_mov_b32_e32 v23, v11
	v_not_b32_e32 v18, v20
	v_dual_mov_b32 v31, v3 :: v_dual_and_b32 v0, v0, v19
	v_cmp_gt_i32_e64 s11, 0, v20
	v_xor_b32_e32 v1, vcc_lo, v1
	s_delay_alu instid0(VALU_DEP_4) | instskip(NEXT) | instid1(VALU_DEP_4)
	v_ashrrev_i32_e32 v24, 31, v18
	v_and_b32_e32 v0, v0, v21
	v_dual_mov_b32 v22, v10 :: v_dual_mov_b32 v19, v15
	v_mov_b32_e32 v21, v13
	s_delay_alu instid0(VALU_DEP_4) | instskip(NEXT) | instid1(VALU_DEP_4)
	v_xor_b32_e32 v10, s11, v24
	v_and_b32_e32 v0, v0, v1
	v_and_b32_e32 v1, 0xff, v43
	v_dual_mov_b32 v25, v9 :: v_dual_mov_b32 v24, v8
	v_mov_b32_e32 v18, v14
	s_delay_alu instid0(VALU_DEP_4) | instskip(NEXT) | instid1(VALU_DEP_4)
	v_and_b32_e32 v0, v0, v10
	v_lshl_add_u32 v1, v1, 1, v37
	v_mov_b32_e32 v20, v12
	v_mov_b32_e32 v30, v2
	ds_store_2addr_b64 v33, v[4:5], v[6:7] offset0:1 offset1:2
	ds_store_2addr_b64 v36, v[4:5], v[6:7] offset0:2 offset1:3
	v_mbcnt_lo_u32_b32 v8, v0, 0
	v_cmp_ne_u32_e64 s11, 0, v0
	v_lshl_add_u32 v9, v1, 2, 8
	s_waitcnt lgkmcnt(0)
	s_barrier
	v_cmp_eq_u32_e32 vcc_lo, 0, v8
	buffer_gl0_inv
	; wave barrier
	s_and_b32 s23, s11, vcc_lo
	s_delay_alu instid0(SALU_CYCLE_1)
	s_and_saveexec_b32 s11, s23
	s_cbranch_execz .LBB294_6
; %bb.5:                                ;   in Loop: Header=BB294_4 Depth=2
	v_bcnt_u32_b32 v0, v0, 0
	ds_store_b32 v9, v0
.LBB294_6:                              ;   in Loop: Header=BB294_4 Depth=2
	s_or_b32 exec_lo, exec_lo, s11
	v_lshrrev_b64 v[0:1], s20, v[30:31]
	; wave barrier
	s_delay_alu instid0(VALU_DEP_1)
	v_and_b32_e32 v2, 1, v0
	v_lshlrev_b32_e32 v3, 30, v0
	v_lshlrev_b32_e32 v4, 29, v0
	v_lshlrev_b32_e32 v5, 28, v0
	v_lshlrev_b32_e32 v7, 27, v0
	v_add_co_u32 v2, s11, v2, -1
	s_delay_alu instid0(VALU_DEP_1)
	v_cndmask_b32_e64 v6, 0, 1, s11
	v_not_b32_e32 v12, v3
	v_cmp_gt_i32_e64 s11, 0, v3
	v_not_b32_e32 v3, v4
	v_lshlrev_b32_e32 v10, 26, v0
	v_cmp_ne_u32_e32 vcc_lo, 0, v6
	v_ashrrev_i32_e32 v6, 31, v12
	v_lshlrev_b32_e32 v11, 25, v0
	v_ashrrev_i32_e32 v3, 31, v3
	v_and_b32_e32 v1, 0xff, v0
	v_xor_b32_e32 v2, vcc_lo, v2
	v_cmp_gt_i32_e32 vcc_lo, 0, v4
	v_not_b32_e32 v4, v5
	v_xor_b32_e32 v6, s11, v6
	v_cmp_gt_i32_e64 s11, 0, v5
	v_and_b32_e32 v2, exec_lo, v2
	v_not_b32_e32 v5, v7
	v_ashrrev_i32_e32 v4, 31, v4
	v_xor_b32_e32 v3, vcc_lo, v3
	v_cmp_gt_i32_e32 vcc_lo, 0, v7
	v_and_b32_e32 v2, v2, v6
	v_not_b32_e32 v6, v10
	v_ashrrev_i32_e32 v5, 31, v5
	v_xor_b32_e32 v4, s11, v4
	v_lshlrev_b32_e32 v0, 24, v0
	v_and_b32_e32 v2, v2, v3
	v_cmp_gt_i32_e64 s11, 0, v10
	v_not_b32_e32 v3, v11
	v_ashrrev_i32_e32 v6, 31, v6
	v_xor_b32_e32 v5, vcc_lo, v5
	v_and_b32_e32 v2, v2, v4
	v_cmp_gt_i32_e32 vcc_lo, 0, v11
	v_not_b32_e32 v4, v0
	v_ashrrev_i32_e32 v3, 31, v3
	v_xor_b32_e32 v6, s11, v6
	v_and_b32_e32 v2, v2, v5
	v_lshlrev_b32_e32 v1, 1, v1
	v_cmp_gt_i32_e64 s11, 0, v0
	v_ashrrev_i32_e32 v0, 31, v4
	v_xor_b32_e32 v3, vcc_lo, v3
	v_and_b32_e32 v2, v2, v6
	v_add_lshl_u32 v1, v1, v37, 2
	s_delay_alu instid0(VALU_DEP_4) | instskip(NEXT) | instid1(VALU_DEP_3)
	v_xor_b32_e32 v0, s11, v0
	v_and_b32_e32 v2, v2, v3
	ds_load_b32 v10, v1 offset:8
	v_add_nc_u32_e32 v12, 8, v1
	; wave barrier
	v_and_b32_e32 v0, v2, v0
	s_delay_alu instid0(VALU_DEP_1) | instskip(SKIP_1) | instid1(VALU_DEP_2)
	v_mbcnt_lo_u32_b32 v11, v0, 0
	v_cmp_ne_u32_e64 s11, 0, v0
	v_cmp_eq_u32_e32 vcc_lo, 0, v11
	s_delay_alu instid0(VALU_DEP_2) | instskip(NEXT) | instid1(SALU_CYCLE_1)
	s_and_b32 s23, s11, vcc_lo
	s_and_saveexec_b32 s11, s23
	s_cbranch_execz .LBB294_8
; %bb.7:                                ;   in Loop: Header=BB294_4 Depth=2
	s_waitcnt lgkmcnt(0)
	v_bcnt_u32_b32 v0, v0, v10
	ds_store_b32 v12, v0
.LBB294_8:                              ;   in Loop: Header=BB294_4 Depth=2
	s_or_b32 exec_lo, exec_lo, s11
	v_lshrrev_b64 v[0:1], s20, v[28:29]
	; wave barrier
	s_delay_alu instid0(VALU_DEP_1)
	v_and_b32_e32 v2, 1, v0
	v_lshlrev_b32_e32 v3, 30, v0
	v_lshlrev_b32_e32 v4, 29, v0
	;; [unrolled: 1-line block ×4, first 2 shown]
	v_add_co_u32 v2, s11, v2, -1
	s_delay_alu instid0(VALU_DEP_1)
	v_cndmask_b32_e64 v6, 0, 1, s11
	v_not_b32_e32 v15, v3
	v_cmp_gt_i32_e64 s11, 0, v3
	v_not_b32_e32 v3, v4
	v_lshlrev_b32_e32 v13, 26, v0
	v_cmp_ne_u32_e32 vcc_lo, 0, v6
	v_ashrrev_i32_e32 v6, 31, v15
	v_lshlrev_b32_e32 v14, 25, v0
	v_ashrrev_i32_e32 v3, 31, v3
	v_and_b32_e32 v1, 0xff, v0
	v_xor_b32_e32 v2, vcc_lo, v2
	v_cmp_gt_i32_e32 vcc_lo, 0, v4
	v_not_b32_e32 v4, v5
	v_xor_b32_e32 v6, s11, v6
	v_cmp_gt_i32_e64 s11, 0, v5
	v_and_b32_e32 v2, exec_lo, v2
	v_not_b32_e32 v5, v7
	v_ashrrev_i32_e32 v4, 31, v4
	v_xor_b32_e32 v3, vcc_lo, v3
	v_cmp_gt_i32_e32 vcc_lo, 0, v7
	v_and_b32_e32 v2, v2, v6
	v_not_b32_e32 v6, v13
	v_ashrrev_i32_e32 v5, 31, v5
	v_xor_b32_e32 v4, s11, v4
	v_lshlrev_b32_e32 v0, 24, v0
	v_and_b32_e32 v2, v2, v3
	v_cmp_gt_i32_e64 s11, 0, v13
	v_not_b32_e32 v3, v14
	v_ashrrev_i32_e32 v6, 31, v6
	v_xor_b32_e32 v5, vcc_lo, v5
	v_and_b32_e32 v2, v2, v4
	v_cmp_gt_i32_e32 vcc_lo, 0, v14
	v_not_b32_e32 v4, v0
	v_ashrrev_i32_e32 v3, 31, v3
	v_xor_b32_e32 v6, s11, v6
	v_and_b32_e32 v2, v2, v5
	v_lshlrev_b32_e32 v1, 1, v1
	v_cmp_gt_i32_e64 s11, 0, v0
	v_ashrrev_i32_e32 v0, 31, v4
	v_xor_b32_e32 v3, vcc_lo, v3
	v_and_b32_e32 v2, v2, v6
	v_add_lshl_u32 v1, v1, v37, 2
	s_delay_alu instid0(VALU_DEP_4) | instskip(NEXT) | instid1(VALU_DEP_3)
	v_xor_b32_e32 v0, s11, v0
	v_and_b32_e32 v2, v2, v3
	ds_load_b32 v13, v1 offset:8
	v_add_nc_u32_e32 v15, 8, v1
	; wave barrier
	v_and_b32_e32 v0, v2, v0
	s_delay_alu instid0(VALU_DEP_1) | instskip(SKIP_1) | instid1(VALU_DEP_2)
	v_mbcnt_lo_u32_b32 v14, v0, 0
	v_cmp_ne_u32_e64 s11, 0, v0
	v_cmp_eq_u32_e32 vcc_lo, 0, v14
	s_delay_alu instid0(VALU_DEP_2) | instskip(NEXT) | instid1(SALU_CYCLE_1)
	s_and_b32 s23, s11, vcc_lo
	s_and_saveexec_b32 s11, s23
	s_cbranch_execz .LBB294_10
; %bb.9:                                ;   in Loop: Header=BB294_4 Depth=2
	s_waitcnt lgkmcnt(0)
	v_bcnt_u32_b32 v0, v0, v13
	ds_store_b32 v15, v0
.LBB294_10:                             ;   in Loop: Header=BB294_4 Depth=2
	s_or_b32 exec_lo, exec_lo, s11
	v_lshrrev_b64 v[0:1], s20, v[26:27]
	; wave barrier
	s_delay_alu instid0(VALU_DEP_1)
	v_and_b32_e32 v2, 1, v0
	v_lshlrev_b32_e32 v3, 30, v0
	v_lshlrev_b32_e32 v4, 29, v0
	;; [unrolled: 1-line block ×4, first 2 shown]
	v_add_co_u32 v2, s11, v2, -1
	s_delay_alu instid0(VALU_DEP_1)
	v_cndmask_b32_e64 v6, 0, 1, s11
	v_not_b32_e32 v45, v3
	v_cmp_gt_i32_e64 s11, 0, v3
	v_not_b32_e32 v3, v4
	v_lshlrev_b32_e32 v43, 26, v0
	v_cmp_ne_u32_e32 vcc_lo, 0, v6
	v_ashrrev_i32_e32 v6, 31, v45
	v_lshlrev_b32_e32 v44, 25, v0
	v_ashrrev_i32_e32 v3, 31, v3
	v_and_b32_e32 v1, 0xff, v0
	v_xor_b32_e32 v2, vcc_lo, v2
	v_cmp_gt_i32_e32 vcc_lo, 0, v4
	v_not_b32_e32 v4, v5
	v_xor_b32_e32 v6, s11, v6
	v_cmp_gt_i32_e64 s11, 0, v5
	v_and_b32_e32 v2, exec_lo, v2
	v_not_b32_e32 v5, v7
	v_ashrrev_i32_e32 v4, 31, v4
	v_xor_b32_e32 v3, vcc_lo, v3
	v_cmp_gt_i32_e32 vcc_lo, 0, v7
	v_and_b32_e32 v2, v2, v6
	v_not_b32_e32 v6, v43
	v_ashrrev_i32_e32 v5, 31, v5
	v_xor_b32_e32 v4, s11, v4
	v_lshlrev_b32_e32 v0, 24, v0
	v_and_b32_e32 v2, v2, v3
	v_cmp_gt_i32_e64 s11, 0, v43
	v_not_b32_e32 v3, v44
	v_ashrrev_i32_e32 v6, 31, v6
	v_xor_b32_e32 v5, vcc_lo, v5
	v_and_b32_e32 v2, v2, v4
	v_cmp_gt_i32_e32 vcc_lo, 0, v44
	v_not_b32_e32 v4, v0
	v_ashrrev_i32_e32 v3, 31, v3
	v_xor_b32_e32 v6, s11, v6
	v_and_b32_e32 v2, v2, v5
	v_lshlrev_b32_e32 v1, 1, v1
	v_cmp_gt_i32_e64 s11, 0, v0
	v_ashrrev_i32_e32 v0, 31, v4
	v_xor_b32_e32 v3, vcc_lo, v3
	v_and_b32_e32 v2, v2, v6
	v_add_lshl_u32 v1, v1, v37, 2
	s_delay_alu instid0(VALU_DEP_4) | instskip(NEXT) | instid1(VALU_DEP_3)
	v_xor_b32_e32 v0, s11, v0
	v_and_b32_e32 v2, v2, v3
	ds_load_b32 v43, v1 offset:8
	v_add_nc_u32_e32 v45, 8, v1
	; wave barrier
	v_and_b32_e32 v0, v2, v0
	s_delay_alu instid0(VALU_DEP_1) | instskip(SKIP_1) | instid1(VALU_DEP_2)
	v_mbcnt_lo_u32_b32 v44, v0, 0
	v_cmp_ne_u32_e64 s11, 0, v0
	v_cmp_eq_u32_e32 vcc_lo, 0, v44
	s_delay_alu instid0(VALU_DEP_2) | instskip(NEXT) | instid1(SALU_CYCLE_1)
	s_and_b32 s23, s11, vcc_lo
	s_and_saveexec_b32 s11, s23
	s_cbranch_execz .LBB294_12
; %bb.11:                               ;   in Loop: Header=BB294_4 Depth=2
	s_waitcnt lgkmcnt(0)
	v_bcnt_u32_b32 v0, v0, v43
	ds_store_b32 v45, v0
.LBB294_12:                             ;   in Loop: Header=BB294_4 Depth=2
	s_or_b32 exec_lo, exec_lo, s11
	v_lshrrev_b64 v[0:1], s20, v[24:25]
	; wave barrier
	s_delay_alu instid0(VALU_DEP_1)
	v_and_b32_e32 v2, 1, v0
	v_lshlrev_b32_e32 v3, 30, v0
	v_lshlrev_b32_e32 v4, 29, v0
	;; [unrolled: 1-line block ×4, first 2 shown]
	v_add_co_u32 v2, s11, v2, -1
	s_delay_alu instid0(VALU_DEP_1)
	v_cndmask_b32_e64 v6, 0, 1, s11
	v_not_b32_e32 v48, v3
	v_cmp_gt_i32_e64 s11, 0, v3
	v_not_b32_e32 v3, v4
	v_lshlrev_b32_e32 v46, 26, v0
	v_cmp_ne_u32_e32 vcc_lo, 0, v6
	v_ashrrev_i32_e32 v6, 31, v48
	v_lshlrev_b32_e32 v47, 25, v0
	v_ashrrev_i32_e32 v3, 31, v3
	v_and_b32_e32 v1, 0xff, v0
	v_xor_b32_e32 v2, vcc_lo, v2
	v_cmp_gt_i32_e32 vcc_lo, 0, v4
	v_not_b32_e32 v4, v5
	v_xor_b32_e32 v6, s11, v6
	v_cmp_gt_i32_e64 s11, 0, v5
	v_and_b32_e32 v2, exec_lo, v2
	v_not_b32_e32 v5, v7
	v_ashrrev_i32_e32 v4, 31, v4
	v_xor_b32_e32 v3, vcc_lo, v3
	v_cmp_gt_i32_e32 vcc_lo, 0, v7
	v_and_b32_e32 v2, v2, v6
	v_not_b32_e32 v6, v46
	v_ashrrev_i32_e32 v5, 31, v5
	v_xor_b32_e32 v4, s11, v4
	v_lshlrev_b32_e32 v0, 24, v0
	v_and_b32_e32 v2, v2, v3
	v_cmp_gt_i32_e64 s11, 0, v46
	v_not_b32_e32 v3, v47
	v_ashrrev_i32_e32 v6, 31, v6
	v_xor_b32_e32 v5, vcc_lo, v5
	v_and_b32_e32 v2, v2, v4
	v_cmp_gt_i32_e32 vcc_lo, 0, v47
	v_not_b32_e32 v4, v0
	v_ashrrev_i32_e32 v3, 31, v3
	v_xor_b32_e32 v6, s11, v6
	v_and_b32_e32 v2, v2, v5
	v_lshlrev_b32_e32 v1, 1, v1
	v_cmp_gt_i32_e64 s11, 0, v0
	v_ashrrev_i32_e32 v0, 31, v4
	v_xor_b32_e32 v3, vcc_lo, v3
	v_and_b32_e32 v2, v2, v6
	v_add_lshl_u32 v1, v1, v37, 2
	s_delay_alu instid0(VALU_DEP_4) | instskip(NEXT) | instid1(VALU_DEP_3)
	v_xor_b32_e32 v0, s11, v0
	v_and_b32_e32 v2, v2, v3
	ds_load_b32 v46, v1 offset:8
	v_add_nc_u32_e32 v48, 8, v1
	; wave barrier
	v_and_b32_e32 v0, v2, v0
	s_delay_alu instid0(VALU_DEP_1) | instskip(SKIP_1) | instid1(VALU_DEP_2)
	v_mbcnt_lo_u32_b32 v47, v0, 0
	v_cmp_ne_u32_e64 s11, 0, v0
	v_cmp_eq_u32_e32 vcc_lo, 0, v47
	s_delay_alu instid0(VALU_DEP_2) | instskip(NEXT) | instid1(SALU_CYCLE_1)
	s_and_b32 s23, s11, vcc_lo
	s_and_saveexec_b32 s11, s23
	s_cbranch_execz .LBB294_14
; %bb.13:                               ;   in Loop: Header=BB294_4 Depth=2
	s_waitcnt lgkmcnt(0)
	v_bcnt_u32_b32 v0, v0, v46
	ds_store_b32 v48, v0
.LBB294_14:                             ;   in Loop: Header=BB294_4 Depth=2
	s_or_b32 exec_lo, exec_lo, s11
	v_lshrrev_b64 v[0:1], s20, v[22:23]
	; wave barrier
	s_delay_alu instid0(VALU_DEP_1)
	v_and_b32_e32 v2, 1, v0
	v_lshlrev_b32_e32 v3, 30, v0
	v_lshlrev_b32_e32 v4, 29, v0
	;; [unrolled: 1-line block ×4, first 2 shown]
	v_add_co_u32 v2, s11, v2, -1
	s_delay_alu instid0(VALU_DEP_1)
	v_cndmask_b32_e64 v6, 0, 1, s11
	v_not_b32_e32 v51, v3
	v_cmp_gt_i32_e64 s11, 0, v3
	v_not_b32_e32 v3, v4
	v_lshlrev_b32_e32 v49, 26, v0
	v_cmp_ne_u32_e32 vcc_lo, 0, v6
	v_ashrrev_i32_e32 v6, 31, v51
	v_lshlrev_b32_e32 v50, 25, v0
	v_ashrrev_i32_e32 v3, 31, v3
	v_and_b32_e32 v1, 0xff, v0
	v_xor_b32_e32 v2, vcc_lo, v2
	v_cmp_gt_i32_e32 vcc_lo, 0, v4
	v_not_b32_e32 v4, v5
	v_xor_b32_e32 v6, s11, v6
	v_cmp_gt_i32_e64 s11, 0, v5
	v_and_b32_e32 v2, exec_lo, v2
	v_not_b32_e32 v5, v7
	v_ashrrev_i32_e32 v4, 31, v4
	v_xor_b32_e32 v3, vcc_lo, v3
	v_cmp_gt_i32_e32 vcc_lo, 0, v7
	v_and_b32_e32 v2, v2, v6
	v_not_b32_e32 v6, v49
	v_ashrrev_i32_e32 v5, 31, v5
	v_xor_b32_e32 v4, s11, v4
	v_lshlrev_b32_e32 v0, 24, v0
	v_and_b32_e32 v2, v2, v3
	v_cmp_gt_i32_e64 s11, 0, v49
	v_not_b32_e32 v3, v50
	v_ashrrev_i32_e32 v6, 31, v6
	v_xor_b32_e32 v5, vcc_lo, v5
	v_and_b32_e32 v2, v2, v4
	v_cmp_gt_i32_e32 vcc_lo, 0, v50
	v_not_b32_e32 v4, v0
	v_ashrrev_i32_e32 v3, 31, v3
	v_xor_b32_e32 v6, s11, v6
	v_and_b32_e32 v2, v2, v5
	v_lshlrev_b32_e32 v1, 1, v1
	v_cmp_gt_i32_e64 s11, 0, v0
	v_ashrrev_i32_e32 v0, 31, v4
	v_xor_b32_e32 v3, vcc_lo, v3
	v_and_b32_e32 v2, v2, v6
	v_add_lshl_u32 v1, v1, v37, 2
	s_delay_alu instid0(VALU_DEP_4) | instskip(NEXT) | instid1(VALU_DEP_3)
	v_xor_b32_e32 v0, s11, v0
	v_and_b32_e32 v2, v2, v3
	ds_load_b32 v49, v1 offset:8
	v_add_nc_u32_e32 v51, 8, v1
	; wave barrier
	v_and_b32_e32 v0, v2, v0
	s_delay_alu instid0(VALU_DEP_1) | instskip(SKIP_1) | instid1(VALU_DEP_2)
	v_mbcnt_lo_u32_b32 v50, v0, 0
	v_cmp_ne_u32_e64 s11, 0, v0
	v_cmp_eq_u32_e32 vcc_lo, 0, v50
	s_delay_alu instid0(VALU_DEP_2) | instskip(NEXT) | instid1(SALU_CYCLE_1)
	s_and_b32 s23, s11, vcc_lo
	s_and_saveexec_b32 s11, s23
	s_cbranch_execz .LBB294_16
; %bb.15:                               ;   in Loop: Header=BB294_4 Depth=2
	s_waitcnt lgkmcnt(0)
	v_bcnt_u32_b32 v0, v0, v49
	ds_store_b32 v51, v0
.LBB294_16:                             ;   in Loop: Header=BB294_4 Depth=2
	s_or_b32 exec_lo, exec_lo, s11
	v_lshrrev_b64 v[0:1], s20, v[20:21]
	; wave barrier
	s_delay_alu instid0(VALU_DEP_1)
	v_and_b32_e32 v2, 1, v0
	v_lshlrev_b32_e32 v3, 30, v0
	v_lshlrev_b32_e32 v4, 29, v0
	;; [unrolled: 1-line block ×4, first 2 shown]
	v_add_co_u32 v2, s11, v2, -1
	s_delay_alu instid0(VALU_DEP_1)
	v_cndmask_b32_e64 v6, 0, 1, s11
	v_not_b32_e32 v54, v3
	v_cmp_gt_i32_e64 s11, 0, v3
	v_not_b32_e32 v3, v4
	v_lshlrev_b32_e32 v52, 26, v0
	v_cmp_ne_u32_e32 vcc_lo, 0, v6
	v_ashrrev_i32_e32 v6, 31, v54
	v_lshlrev_b32_e32 v53, 25, v0
	v_ashrrev_i32_e32 v3, 31, v3
	v_and_b32_e32 v1, 0xff, v0
	v_xor_b32_e32 v2, vcc_lo, v2
	v_cmp_gt_i32_e32 vcc_lo, 0, v4
	v_not_b32_e32 v4, v5
	v_xor_b32_e32 v6, s11, v6
	v_cmp_gt_i32_e64 s11, 0, v5
	v_and_b32_e32 v2, exec_lo, v2
	v_not_b32_e32 v5, v7
	v_ashrrev_i32_e32 v4, 31, v4
	v_xor_b32_e32 v3, vcc_lo, v3
	v_cmp_gt_i32_e32 vcc_lo, 0, v7
	v_and_b32_e32 v2, v2, v6
	v_not_b32_e32 v6, v52
	v_ashrrev_i32_e32 v5, 31, v5
	v_xor_b32_e32 v4, s11, v4
	v_lshlrev_b32_e32 v0, 24, v0
	v_and_b32_e32 v2, v2, v3
	v_cmp_gt_i32_e64 s11, 0, v52
	v_not_b32_e32 v3, v53
	v_ashrrev_i32_e32 v6, 31, v6
	v_xor_b32_e32 v5, vcc_lo, v5
	v_and_b32_e32 v2, v2, v4
	v_cmp_gt_i32_e32 vcc_lo, 0, v53
	v_not_b32_e32 v4, v0
	v_ashrrev_i32_e32 v3, 31, v3
	v_xor_b32_e32 v6, s11, v6
	v_and_b32_e32 v2, v2, v5
	v_lshlrev_b32_e32 v1, 1, v1
	v_cmp_gt_i32_e64 s11, 0, v0
	v_ashrrev_i32_e32 v0, 31, v4
	v_xor_b32_e32 v3, vcc_lo, v3
	v_and_b32_e32 v2, v2, v6
	v_add_lshl_u32 v1, v1, v37, 2
	s_delay_alu instid0(VALU_DEP_4) | instskip(NEXT) | instid1(VALU_DEP_3)
	v_xor_b32_e32 v0, s11, v0
	v_and_b32_e32 v2, v2, v3
	ds_load_b32 v52, v1 offset:8
	v_add_nc_u32_e32 v54, 8, v1
	; wave barrier
	v_and_b32_e32 v0, v2, v0
	s_delay_alu instid0(VALU_DEP_1) | instskip(SKIP_1) | instid1(VALU_DEP_2)
	v_mbcnt_lo_u32_b32 v53, v0, 0
	v_cmp_ne_u32_e64 s11, 0, v0
	v_cmp_eq_u32_e32 vcc_lo, 0, v53
	s_delay_alu instid0(VALU_DEP_2) | instskip(NEXT) | instid1(SALU_CYCLE_1)
	s_and_b32 s23, s11, vcc_lo
	s_and_saveexec_b32 s11, s23
	s_cbranch_execz .LBB294_18
; %bb.17:                               ;   in Loop: Header=BB294_4 Depth=2
	s_waitcnt lgkmcnt(0)
	v_bcnt_u32_b32 v0, v0, v52
	ds_store_b32 v54, v0
.LBB294_18:                             ;   in Loop: Header=BB294_4 Depth=2
	s_or_b32 exec_lo, exec_lo, s11
	v_lshrrev_b64 v[0:1], s20, v[18:19]
	; wave barrier
	s_delay_alu instid0(VALU_DEP_1)
	v_and_b32_e32 v2, 1, v0
	v_lshlrev_b32_e32 v3, 30, v0
	v_lshlrev_b32_e32 v4, 29, v0
	;; [unrolled: 1-line block ×4, first 2 shown]
	v_add_co_u32 v2, s11, v2, -1
	s_delay_alu instid0(VALU_DEP_1)
	v_cndmask_b32_e64 v6, 0, 1, s11
	v_not_b32_e32 v57, v3
	v_cmp_gt_i32_e64 s11, 0, v3
	v_not_b32_e32 v3, v4
	v_lshlrev_b32_e32 v55, 26, v0
	v_cmp_ne_u32_e32 vcc_lo, 0, v6
	v_ashrrev_i32_e32 v6, 31, v57
	v_lshlrev_b32_e32 v56, 25, v0
	v_ashrrev_i32_e32 v3, 31, v3
	v_and_b32_e32 v1, 0xff, v0
	v_xor_b32_e32 v2, vcc_lo, v2
	v_cmp_gt_i32_e32 vcc_lo, 0, v4
	v_not_b32_e32 v4, v5
	v_xor_b32_e32 v6, s11, v6
	v_cmp_gt_i32_e64 s11, 0, v5
	v_and_b32_e32 v2, exec_lo, v2
	v_not_b32_e32 v5, v7
	v_ashrrev_i32_e32 v4, 31, v4
	v_xor_b32_e32 v3, vcc_lo, v3
	v_cmp_gt_i32_e32 vcc_lo, 0, v7
	v_and_b32_e32 v2, v2, v6
	v_not_b32_e32 v6, v55
	v_ashrrev_i32_e32 v5, 31, v5
	v_xor_b32_e32 v4, s11, v4
	v_lshlrev_b32_e32 v0, 24, v0
	v_and_b32_e32 v2, v2, v3
	v_cmp_gt_i32_e64 s11, 0, v55
	v_not_b32_e32 v3, v56
	v_ashrrev_i32_e32 v6, 31, v6
	v_xor_b32_e32 v5, vcc_lo, v5
	v_and_b32_e32 v2, v2, v4
	v_cmp_gt_i32_e32 vcc_lo, 0, v56
	v_not_b32_e32 v4, v0
	v_ashrrev_i32_e32 v3, 31, v3
	v_xor_b32_e32 v6, s11, v6
	v_and_b32_e32 v2, v2, v5
	v_lshlrev_b32_e32 v1, 1, v1
	v_cmp_gt_i32_e64 s11, 0, v0
	v_ashrrev_i32_e32 v0, 31, v4
	v_xor_b32_e32 v3, vcc_lo, v3
	v_and_b32_e32 v2, v2, v6
	v_add_lshl_u32 v1, v1, v37, 2
	s_delay_alu instid0(VALU_DEP_4) | instskip(NEXT) | instid1(VALU_DEP_3)
	v_xor_b32_e32 v0, s11, v0
	v_and_b32_e32 v2, v2, v3
	ds_load_b32 v55, v1 offset:8
	v_add_nc_u32_e32 v57, 8, v1
	; wave barrier
	v_and_b32_e32 v0, v2, v0
	s_delay_alu instid0(VALU_DEP_1) | instskip(SKIP_1) | instid1(VALU_DEP_2)
	v_mbcnt_lo_u32_b32 v56, v0, 0
	v_cmp_ne_u32_e64 s11, 0, v0
	v_cmp_eq_u32_e32 vcc_lo, 0, v56
	s_delay_alu instid0(VALU_DEP_2) | instskip(NEXT) | instid1(SALU_CYCLE_1)
	s_and_b32 s23, s11, vcc_lo
	s_and_saveexec_b32 s11, s23
	s_cbranch_execz .LBB294_20
; %bb.19:                               ;   in Loop: Header=BB294_4 Depth=2
	s_waitcnt lgkmcnt(0)
	v_bcnt_u32_b32 v0, v0, v55
	ds_store_b32 v57, v0
.LBB294_20:                             ;   in Loop: Header=BB294_4 Depth=2
	s_or_b32 exec_lo, exec_lo, s11
	; wave barrier
	s_waitcnt lgkmcnt(0)
	s_barrier
	buffer_gl0_inv
	ds_load_2addr_b64 v[4:7], v33 offset0:1 offset1:2
	ds_load_2addr_b64 v[0:3], v36 offset0:2 offset1:3
	s_waitcnt lgkmcnt(1)
	v_add_nc_u32_e32 v58, v5, v4
	s_delay_alu instid0(VALU_DEP_1) | instskip(SKIP_1) | instid1(VALU_DEP_1)
	v_add3_u32 v58, v58, v6, v7
	s_waitcnt lgkmcnt(0)
	v_add3_u32 v58, v58, v0, v1
	s_delay_alu instid0(VALU_DEP_1) | instskip(NEXT) | instid1(VALU_DEP_1)
	v_add3_u32 v3, v58, v2, v3
	v_mov_b32_dpp v58, v3 row_shr:1 row_mask:0xf bank_mask:0xf
	s_delay_alu instid0(VALU_DEP_1) | instskip(NEXT) | instid1(VALU_DEP_1)
	v_cndmask_b32_e64 v58, v58, 0, s0
	v_add_nc_u32_e32 v3, v58, v3
	s_delay_alu instid0(VALU_DEP_1) | instskip(NEXT) | instid1(VALU_DEP_1)
	v_mov_b32_dpp v58, v3 row_shr:2 row_mask:0xf bank_mask:0xf
	v_cndmask_b32_e64 v58, 0, v58, s1
	s_delay_alu instid0(VALU_DEP_1) | instskip(NEXT) | instid1(VALU_DEP_1)
	v_add_nc_u32_e32 v3, v3, v58
	v_mov_b32_dpp v58, v3 row_shr:4 row_mask:0xf bank_mask:0xf
	s_delay_alu instid0(VALU_DEP_1) | instskip(NEXT) | instid1(VALU_DEP_1)
	v_cndmask_b32_e64 v58, 0, v58, s2
	v_add_nc_u32_e32 v3, v3, v58
	s_delay_alu instid0(VALU_DEP_1) | instskip(NEXT) | instid1(VALU_DEP_1)
	v_mov_b32_dpp v58, v3 row_shr:8 row_mask:0xf bank_mask:0xf
	v_cndmask_b32_e64 v58, 0, v58, s3
	s_delay_alu instid0(VALU_DEP_1) | instskip(SKIP_3) | instid1(VALU_DEP_1)
	v_add_nc_u32_e32 v3, v3, v58
	ds_swizzle_b32 v58, v3 offset:swizzle(BROADCAST,32,15)
	s_waitcnt lgkmcnt(0)
	v_cndmask_b32_e64 v58, v58, 0, s4
	v_add_nc_u32_e32 v3, v3, v58
	s_and_saveexec_b32 s11, s5
	s_cbranch_execz .LBB294_22
; %bb.21:                               ;   in Loop: Header=BB294_4 Depth=2
	ds_store_b32 v39, v3
.LBB294_22:                             ;   in Loop: Header=BB294_4 Depth=2
	s_or_b32 exec_lo, exec_lo, s11
	s_waitcnt lgkmcnt(0)
	s_barrier
	buffer_gl0_inv
	s_and_saveexec_b32 s11, s6
	s_cbranch_execz .LBB294_24
; %bb.23:                               ;   in Loop: Header=BB294_4 Depth=2
	ds_load_b32 v58, v40
	s_waitcnt lgkmcnt(0)
	v_mov_b32_dpp v59, v58 row_shr:1 row_mask:0xf bank_mask:0xf
	s_delay_alu instid0(VALU_DEP_1) | instskip(NEXT) | instid1(VALU_DEP_1)
	v_cndmask_b32_e64 v59, v59, 0, s10
	v_add_nc_u32_e32 v58, v59, v58
	ds_store_b32 v40, v58
.LBB294_24:                             ;   in Loop: Header=BB294_4 Depth=2
	s_or_b32 exec_lo, exec_lo, s11
	v_mov_b32_e32 v58, 0
	s_waitcnt lgkmcnt(0)
	s_barrier
	buffer_gl0_inv
	s_and_saveexec_b32 s11, s7
	s_cbranch_execz .LBB294_26
; %bb.25:                               ;   in Loop: Header=BB294_4 Depth=2
	ds_load_b32 v58, v41
.LBB294_26:                             ;   in Loop: Header=BB294_4 Depth=2
	s_or_b32 exec_lo, exec_lo, s11
	s_waitcnt lgkmcnt(0)
	v_add_nc_u32_e32 v3, v58, v3
	s_cmp_gt_u32 s20, 55
	ds_bpermute_b32 v3, v38, v3
	s_waitcnt lgkmcnt(0)
	v_cndmask_b32_e64 v3, v3, v58, s8
	s_delay_alu instid0(VALU_DEP_1) | instskip(NEXT) | instid1(VALU_DEP_1)
	v_cndmask_b32_e64 v3, v3, 0, s9
	v_add_nc_u32_e32 v4, v3, v4
	s_delay_alu instid0(VALU_DEP_1) | instskip(NEXT) | instid1(VALU_DEP_1)
	v_add_nc_u32_e32 v5, v4, v5
	v_add_nc_u32_e32 v6, v5, v6
	s_delay_alu instid0(VALU_DEP_1) | instskip(NEXT) | instid1(VALU_DEP_1)
	v_add_nc_u32_e32 v58, v6, v7
	v_add_nc_u32_e32 v59, v58, v0
	s_delay_alu instid0(VALU_DEP_1) | instskip(NEXT) | instid1(VALU_DEP_1)
	v_add_nc_u32_e32 v0, v59, v1
	v_add_nc_u32_e32 v1, v0, v2
	ds_store_2addr_b64 v33, v[3:4], v[5:6] offset0:1 offset1:2
	ds_store_2addr_b64 v36, v[58:59], v[0:1] offset0:2 offset1:3
	s_waitcnt lgkmcnt(0)
	s_barrier
	buffer_gl0_inv
	ds_load_b32 v0, v9
	ds_load_b32 v1, v12
	;; [unrolled: 1-line block ×8, first 2 shown]
	s_waitcnt lgkmcnt(7)
	v_add_nc_u32_e32 v57, v0, v8
	s_waitcnt lgkmcnt(6)
	v_add3_u32 v54, v11, v10, v1
	s_waitcnt lgkmcnt(5)
	v_add3_u32 v51, v14, v13, v2
	s_waitcnt lgkmcnt(4)
	v_add3_u32 v48, v44, v43, v3
	s_waitcnt lgkmcnt(3)
	v_add3_u32 v46, v47, v46, v4
	s_waitcnt lgkmcnt(2)
	v_add3_u32 v45, v50, v49, v5
	s_waitcnt lgkmcnt(1)
	v_add3_u32 v44, v53, v52, v6
	s_waitcnt lgkmcnt(0)
	v_add3_u32 v43, v56, v55, v7
	s_cbranch_scc0 .LBB294_3
; %bb.27:                               ;   in Loop: Header=BB294_2 Depth=1
                                        ; implicit-def: $vgpr14_vgpr15
                                        ; implicit-def: $vgpr10_vgpr11
                                        ; implicit-def: $vgpr6_vgpr7
                                        ; implicit-def: $vgpr2_vgpr3
                                        ; implicit-def: $sgpr20_sgpr21
	s_branch .LBB294_1
.LBB294_28:
	s_add_u32 s0, s18, s14
	s_addc_u32 s1, s19, s15
	s_clause 0x7
	global_store_b64 v32, v[13:14], s[0:1]
	global_store_b64 v32, v[15:16], s[0:1] offset:512
	global_store_b64 v32, v[9:10], s[0:1] offset:1024
	;; [unrolled: 1-line block ×7, first 2 shown]
	s_nop 0
	s_sendmsg sendmsg(MSG_DEALLOC_VGPRS)
	s_endpgm
	.section	.rodata,"a",@progbits
	.p2align	6, 0x0
	.amdhsa_kernel _Z16sort_keys_kernelI22helper_blocked_stripedxLj64ELj8ELj10EEvPKT0_PS1_
		.amdhsa_group_segment_fixed_size 4096
		.amdhsa_private_segment_fixed_size 0
		.amdhsa_kernarg_size 272
		.amdhsa_user_sgpr_count 15
		.amdhsa_user_sgpr_dispatch_ptr 0
		.amdhsa_user_sgpr_queue_ptr 0
		.amdhsa_user_sgpr_kernarg_segment_ptr 1
		.amdhsa_user_sgpr_dispatch_id 0
		.amdhsa_user_sgpr_private_segment_size 0
		.amdhsa_wavefront_size32 1
		.amdhsa_uses_dynamic_stack 0
		.amdhsa_enable_private_segment 0
		.amdhsa_system_sgpr_workgroup_id_x 1
		.amdhsa_system_sgpr_workgroup_id_y 0
		.amdhsa_system_sgpr_workgroup_id_z 0
		.amdhsa_system_sgpr_workgroup_info 0
		.amdhsa_system_vgpr_workitem_id 2
		.amdhsa_next_free_vgpr 60
		.amdhsa_next_free_sgpr 24
		.amdhsa_reserve_vcc 1
		.amdhsa_float_round_mode_32 0
		.amdhsa_float_round_mode_16_64 0
		.amdhsa_float_denorm_mode_32 3
		.amdhsa_float_denorm_mode_16_64 3
		.amdhsa_dx10_clamp 1
		.amdhsa_ieee_mode 1
		.amdhsa_fp16_overflow 0
		.amdhsa_workgroup_processor_mode 1
		.amdhsa_memory_ordered 1
		.amdhsa_forward_progress 0
		.amdhsa_shared_vgpr_count 0
		.amdhsa_exception_fp_ieee_invalid_op 0
		.amdhsa_exception_fp_denorm_src 0
		.amdhsa_exception_fp_ieee_div_zero 0
		.amdhsa_exception_fp_ieee_overflow 0
		.amdhsa_exception_fp_ieee_underflow 0
		.amdhsa_exception_fp_ieee_inexact 0
		.amdhsa_exception_int_div_zero 0
	.end_amdhsa_kernel
	.section	.text._Z16sort_keys_kernelI22helper_blocked_stripedxLj64ELj8ELj10EEvPKT0_PS1_,"axG",@progbits,_Z16sort_keys_kernelI22helper_blocked_stripedxLj64ELj8ELj10EEvPKT0_PS1_,comdat
.Lfunc_end294:
	.size	_Z16sort_keys_kernelI22helper_blocked_stripedxLj64ELj8ELj10EEvPKT0_PS1_, .Lfunc_end294-_Z16sort_keys_kernelI22helper_blocked_stripedxLj64ELj8ELj10EEvPKT0_PS1_
                                        ; -- End function
	.section	.AMDGPU.csdata,"",@progbits
; Kernel info:
; codeLenInByte = 4436
; NumSgprs: 26
; NumVgprs: 60
; ScratchSize: 0
; MemoryBound: 0
; FloatMode: 240
; IeeeMode: 1
; LDSByteSize: 4096 bytes/workgroup (compile time only)
; SGPRBlocks: 3
; VGPRBlocks: 7
; NumSGPRsForWavesPerEU: 26
; NumVGPRsForWavesPerEU: 60
; Occupancy: 16
; WaveLimiterHint : 1
; COMPUTE_PGM_RSRC2:SCRATCH_EN: 0
; COMPUTE_PGM_RSRC2:USER_SGPR: 15
; COMPUTE_PGM_RSRC2:TRAP_HANDLER: 0
; COMPUTE_PGM_RSRC2:TGID_X_EN: 1
; COMPUTE_PGM_RSRC2:TGID_Y_EN: 0
; COMPUTE_PGM_RSRC2:TGID_Z_EN: 0
; COMPUTE_PGM_RSRC2:TIDIG_COMP_CNT: 2
	.section	.text._Z17sort_pairs_kernelI22helper_blocked_stripedxLj64ELj8ELj10EEvPKT0_PS1_,"axG",@progbits,_Z17sort_pairs_kernelI22helper_blocked_stripedxLj64ELj8ELj10EEvPKT0_PS1_,comdat
	.protected	_Z17sort_pairs_kernelI22helper_blocked_stripedxLj64ELj8ELj10EEvPKT0_PS1_ ; -- Begin function _Z17sort_pairs_kernelI22helper_blocked_stripedxLj64ELj8ELj10EEvPKT0_PS1_
	.globl	_Z17sort_pairs_kernelI22helper_blocked_stripedxLj64ELj8ELj10EEvPKT0_PS1_
	.p2align	8
	.type	_Z17sort_pairs_kernelI22helper_blocked_stripedxLj64ELj8ELj10EEvPKT0_PS1_,@function
_Z17sort_pairs_kernelI22helper_blocked_stripedxLj64ELj8ELj10EEvPKT0_PS1_: ; @_Z17sort_pairs_kernelI22helper_blocked_stripedxLj64ELj8ELj10EEvPKT0_PS1_
; %bb.0:
	s_clause 0x1
	s_load_b128 s[16:19], s[0:1], 0x0
	s_load_b32 s10, s[0:1], 0x1c
	v_mbcnt_lo_u32_b32 v18, -1, 0
	s_mov_b32 s21, 0
	s_lshl_b32 s20, s15, 9
	v_bfe_u32 v19, v0, 10, 10
	s_lshl_b64 s[12:13], s[20:21], 3
	v_add_nc_u32_e32 v22, -1, v18
	v_and_b32_e32 v20, 15, v18
	v_and_b32_e32 v23, 1, v18
	;; [unrolled: 1-line block ×3, first 2 shown]
	s_mov_b32 s20, s21
	v_cmp_gt_i32_e32 vcc_lo, 0, v22
	v_and_b32_e32 v17, 0x3ff, v0
	v_cmp_lt_u32_e64 s2, 1, v20
	v_cmp_lt_u32_e64 s3, 3, v20
	;; [unrolled: 1-line block ×3, first 2 shown]
	v_bfe_u32 v0, v0, 20, 10
	v_lshlrev_b32_e32 v1, 6, v17
	v_cmp_eq_u32_e64 s9, 0, v23
	s_waitcnt lgkmcnt(0)
	s_add_u32 s0, s16, s12
	s_addc_u32 s1, s17, s13
	s_lshr_b32 s11, s10, 16
	s_clause 0x3
	global_load_b128 v[13:16], v1, s[0:1]
	global_load_b128 v[9:12], v1, s[0:1] offset:16
	global_load_b128 v[5:8], v1, s[0:1] offset:32
	;; [unrolled: 1-line block ×3, first 2 shown]
	v_cmp_eq_u32_e64 s1, 0, v20
	v_dual_cndmask_b32 v20, v22, v18 :: v_dual_lshlrev_b32 v65, 3, v17
	v_and_b32_e32 v24, 32, v17
	v_mad_u32_u24 v0, v0, s11, v19
	s_and_b32 s10, s10, 0xffff
	v_cmp_eq_u32_e64 s0, 0, v18
	v_and_or_b32 v25, 0x100, v65, v18
	v_or_b32_e32 v23, v18, v24
	v_mad_u64_u32 v[18:19], null, v0, s10, v[17:18]
	v_lshlrev_b32_e32 v66, 5, v17
	v_cmp_eq_u32_e64 s5, 0, v21
	v_lshrrev_b32_e32 v21, 3, v17
	v_or_b32_e32 v24, 31, v24
	v_cmp_gt_u32_e64 s6, 2, v17
	v_cmp_lt_u32_e64 s7, 31, v17
	v_cmp_eq_u32_e64 s8, 0, v17
	v_lshlrev_b32_e32 v22, 2, v17
	v_and_b32_e32 v69, 4, v21
	v_mad_i32_i24 v70, 0xffffffe4, v17, v66
	v_cmp_eq_u32_e64 s10, v24, v17
	v_lshrrev_b32_e32 v74, 5, v18
	v_or_b32_e32 v67, 8, v66
	v_lshlrev_b32_e32 v68, 2, v20
	v_lshlrev_b32_e32 v71, 6, v23
	;; [unrolled: 1-line block ×3, first 2 shown]
	v_add_nc_u32_e32 v73, -4, v69
	v_add_nc_u32_e32 v75, v70, v22
	s_mov_b32 s14, s21
	s_mov_b32 s15, s21
	;; [unrolled: 1-line block ×3, first 2 shown]
	s_waitcnt vmcnt(3)
	v_add_co_u32 v41, vcc_lo, v13, 1
	v_add_co_ci_u32_e32 v42, vcc_lo, 0, v14, vcc_lo
	v_add_co_u32 v43, vcc_lo, v15, 1
	v_add_co_ci_u32_e32 v44, vcc_lo, 0, v16, vcc_lo
	s_waitcnt vmcnt(2)
	v_add_co_u32 v37, vcc_lo, v9, 1
	v_add_co_ci_u32_e32 v38, vcc_lo, 0, v10, vcc_lo
	v_add_co_u32 v39, vcc_lo, v11, 1
	v_add_co_ci_u32_e32 v40, vcc_lo, 0, v12, vcc_lo
	;; [unrolled: 5-line block ×4, first 2 shown]
	s_branch .LBB295_2
.LBB295_1:                              ;   in Loop: Header=BB295_2 Depth=1
	v_lshlrev_b32_e32 v0, 3, v82
	v_lshlrev_b32_e32 v23, 3, v79
	;; [unrolled: 1-line block ×8, first 2 shown]
	s_barrier
	buffer_gl0_inv
	ds_store_b64 v0, v[29:30]
	ds_store_b64 v21, v[43:44]
	;; [unrolled: 1-line block ×8, first 2 shown]
	s_waitcnt lgkmcnt(0)
	s_barrier
	buffer_gl0_inv
	ds_load_2addr_stride64_b64 v[13:16], v75 offset1:1
	ds_load_2addr_stride64_b64 v[9:12], v75 offset0:2 offset1:3
	ds_load_2addr_stride64_b64 v[5:8], v75 offset0:4 offset1:5
	;; [unrolled: 1-line block ×3, first 2 shown]
	s_waitcnt lgkmcnt(0)
	s_barrier
	buffer_gl0_inv
	ds_store_b64 v0, v[63:64]
	ds_store_b64 v21, v[61:62]
	;; [unrolled: 1-line block ×8, first 2 shown]
	s_waitcnt lgkmcnt(0)
	s_barrier
	buffer_gl0_inv
	ds_load_2addr_stride64_b64 v[41:44], v75 offset1:1
	ds_load_2addr_stride64_b64 v[37:40], v75 offset0:2 offset1:3
	ds_load_2addr_stride64_b64 v[29:32], v75 offset0:4 offset1:5
	;; [unrolled: 1-line block ×3, first 2 shown]
	s_add_i32 s22, s22, 1
	s_delay_alu instid0(SALU_CYCLE_1)
	s_cmp_eq_u32 s22, 10
	v_xor_b32_e32 v14, 0x80000000, v14
	v_xor_b32_e32 v16, 0x80000000, v16
	;; [unrolled: 1-line block ×8, first 2 shown]
	s_cbranch_scc1 .LBB295_28
.LBB295_2:                              ; =>This Loop Header: Depth=1
                                        ;     Child Loop BB295_4 Depth 2
	v_xor_b32_e32 v14, 0x80000000, v14
	v_xor_b32_e32 v16, 0x80000000, v16
	;; [unrolled: 1-line block ×8, first 2 shown]
	ds_store_2addr_b64 v71, v[13:14], v[15:16] offset1:1
	ds_store_2addr_b64 v71, v[9:10], v[11:12] offset0:2 offset1:3
	ds_store_2addr_b64 v71, v[5:6], v[7:8] offset0:4 offset1:5
	;; [unrolled: 1-line block ×3, first 2 shown]
	; wave barrier
	ds_load_2addr_b64 v[21:24], v72 offset1:32
	ds_load_2addr_b64 v[25:28], v72 offset0:64 offset1:96
	ds_load_2addr_b64 v[33:36], v72 offset0:128 offset1:160
	;; [unrolled: 1-line block ×3, first 2 shown]
	; wave barrier
	s_waitcnt lgkmcnt(11)
	ds_store_2addr_b64 v71, v[41:42], v[43:44] offset1:1
	s_waitcnt lgkmcnt(11)
	ds_store_2addr_b64 v71, v[37:38], v[39:40] offset0:2 offset1:3
	s_waitcnt lgkmcnt(11)
	ds_store_2addr_b64 v71, v[29:30], v[31:32] offset0:4 offset1:5
	;; [unrolled: 2-line block ×3, first 2 shown]
	; wave barrier
	ds_load_2addr_b64 v[0:3], v72 offset1:32
	ds_load_2addr_b64 v[4:7], v72 offset0:64 offset1:96
	ds_load_2addr_b64 v[8:11], v72 offset0:128 offset1:160
	;; [unrolled: 1-line block ×3, first 2 shown]
	s_mov_b64 s[16:17], 0
	s_waitcnt lgkmcnt(0)
	s_barrier
	s_branch .LBB295_4
.LBB295_3:                              ;   in Loop: Header=BB295_4 Depth=2
	v_lshlrev_b32_e32 v0, 3, v82
	v_lshlrev_b32_e32 v3, 3, v79
	;; [unrolled: 1-line block ×8, first 2 shown]
	s_barrier
	buffer_gl0_inv
	ds_store_b64 v0, v[29:30]
	ds_store_b64 v1, v[43:44]
	ds_store_b64 v2, v[41:42]
	ds_store_b64 v3, v[39:40]
	ds_store_b64 v4, v[37:38]
	ds_store_b64 v5, v[31:32]
	ds_store_b64 v6, v[18:19]
	ds_store_b64 v7, v[16:17]
	s_waitcnt lgkmcnt(0)
	s_barrier
	buffer_gl0_inv
	ds_load_2addr_b64 v[21:24], v72 offset1:32
	ds_load_2addr_b64 v[25:28], v72 offset0:64 offset1:96
	ds_load_2addr_b64 v[33:36], v72 offset0:128 offset1:160
	;; [unrolled: 1-line block ×3, first 2 shown]
	s_waitcnt lgkmcnt(0)
	s_barrier
	buffer_gl0_inv
	ds_store_b64 v0, v[63:64]
	ds_store_b64 v1, v[61:62]
	;; [unrolled: 1-line block ×8, first 2 shown]
	s_waitcnt lgkmcnt(0)
	s_barrier
	buffer_gl0_inv
	ds_load_2addr_b64 v[0:3], v72 offset1:32
	ds_load_2addr_b64 v[4:7], v72 offset0:64 offset1:96
	ds_load_2addr_b64 v[8:11], v72 offset0:128 offset1:160
	;; [unrolled: 1-line block ×3, first 2 shown]
	s_add_u32 s16, s16, 8
	s_addc_u32 s17, s17, 0
	s_waitcnt lgkmcnt(0)
	s_barrier
	s_cbranch_execz .LBB295_1
.LBB295_4:                              ;   Parent Loop BB295_2 Depth=1
                                        ; =>  This Inner Loop Header: Depth=2
	v_dual_mov_b32 v30, v22 :: v_dual_mov_b32 v29, v21
	v_dual_mov_b32 v42, v26 :: v_dual_mov_b32 v41, v25
	;; [unrolled: 1-line block ×3, first 2 shown]
	s_delay_alu instid0(VALU_DEP_3) | instskip(SKIP_2) | instid1(VALU_DEP_3)
	v_lshrrev_b64 v[20:21], s16, v[29:30]
	v_dual_mov_b32 v44, v24 :: v_dual_mov_b32 v43, v23
	v_dual_mov_b32 v40, v28 :: v_dual_mov_b32 v39, v27
	v_dual_mov_b32 v50, v15 :: v_dual_and_b32 v21, 1, v20
	v_dual_mov_b32 v49, v14 :: v_dual_lshlrev_b32 v22, 30, v20
	v_dual_mov_b32 v52, v13 :: v_dual_lshlrev_b32 v23, 29, v20
	s_delay_alu instid0(VALU_DEP_3) | instskip(NEXT) | instid1(VALU_DEP_1)
	v_add_co_u32 v21, s11, v21, -1
	v_cndmask_b32_e64 v25, 0, 1, s11
	s_delay_alu instid0(VALU_DEP_4) | instskip(SKIP_2) | instid1(VALU_DEP_4)
	v_not_b32_e32 v33, v22
	v_dual_mov_b32 v51, v12 :: v_dual_lshlrev_b32 v24, 28, v20
	v_cmp_gt_i32_e64 s11, 0, v22
	v_cmp_ne_u32_e32 vcc_lo, 0, v25
	v_not_b32_e32 v22, v23
	v_ashrrev_i32_e32 v33, 31, v33
	v_lshlrev_b32_e32 v26, 27, v20
	v_dual_mov_b32 v54, v11 :: v_dual_lshlrev_b32 v27, 26, v20
	v_xor_b32_e32 v21, vcc_lo, v21
	v_cmp_gt_i32_e32 vcc_lo, 0, v23
	v_not_b32_e32 v23, v24
	v_ashrrev_i32_e32 v22, 31, v22
	v_xor_b32_e32 v33, s11, v33
	v_dual_mov_b32 v58, v7 :: v_dual_and_b32 v21, exec_lo, v21
	v_cmp_gt_i32_e64 s11, 0, v24
	v_ashrrev_i32_e32 v23, 31, v23
	v_xor_b32_e32 v22, vcc_lo, v22
	s_delay_alu instid0(VALU_DEP_4)
	v_dual_mov_b32 v62, v3 :: v_dual_and_b32 v21, v21, v33
	v_mov_b32_e32 v53, v10
	v_not_b32_e32 v24, v26
	v_lshlrev_b32_e32 v28, 25, v20
	v_cmp_gt_i32_e32 vcc_lo, 0, v26
	v_not_b32_e32 v26, v27
	v_xor_b32_e32 v23, s11, v23
	v_ashrrev_i32_e32 v24, 31, v24
	v_and_b32_e32 v21, v21, v22
	v_dual_mov_b32 v57, v6 :: v_dual_mov_b32 v60, v5
	v_dual_mov_b32 v56, v9 :: v_dual_lshlrev_b32 v25, 24, v20
	v_mov_b32_e32 v59, v4
	v_dual_mov_b32 v61, v2 :: v_dual_mov_b32 v64, v1
	v_mov_b32_e32 v3, s20
	v_cmp_gt_i32_e64 s11, 0, v27
	v_ashrrev_i32_e32 v26, 31, v26
	v_xor_b32_e32 v24, vcc_lo, v24
	v_mov_b32_e32 v55, v8
	v_not_b32_e32 v22, v28
	v_dual_mov_b32 v4, s21 :: v_dual_and_b32 v21, v21, v23
	v_dual_mov_b32 v5, s14 :: v_dual_mov_b32 v6, s15
	v_cmp_gt_i32_e32 vcc_lo, 0, v28
	v_not_b32_e32 v23, v25
	v_ashrrev_i32_e32 v22, 31, v22
	v_xor_b32_e32 v26, s11, v26
	v_and_b32_e32 v21, v21, v24
	v_cmp_gt_i32_e64 s11, 0, v25
	v_ashrrev_i32_e32 v14, 31, v23
	v_xor_b32_e32 v15, vcc_lo, v22
	v_mov_b32_e32 v63, v0
	v_and_b32_e32 v21, v21, v26
	v_and_b32_e32 v0, 0xff, v20
	v_xor_b32_e32 v8, s11, v14
	v_dual_mov_b32 v16, v47 :: v_dual_mov_b32 v17, v48
	s_delay_alu instid0(VALU_DEP_4) | instskip(NEXT) | instid1(VALU_DEP_4)
	v_and_b32_e32 v9, v21, v15
	v_lshl_add_u32 v0, v0, 1, v74
	v_dual_mov_b32 v18, v45 :: v_dual_mov_b32 v19, v46
	v_dual_mov_b32 v31, v35 :: v_dual_mov_b32 v32, v36
	s_delay_alu instid0(VALU_DEP_4) | instskip(NEXT) | instid1(VALU_DEP_4)
	v_and_b32_e32 v2, v9, v8
	v_lshl_add_u32 v9, v0, 2, 8
	buffer_gl0_inv
	ds_store_2addr_b64 v66, v[3:4], v[5:6] offset0:1 offset1:2
	ds_store_2addr_b64 v67, v[3:4], v[5:6] offset0:2 offset1:3
	s_waitcnt lgkmcnt(0)
	v_mbcnt_lo_u32_b32 v8, v2, 0
	v_cmp_ne_u32_e64 s11, 0, v2
	s_barrier
	buffer_gl0_inv
	v_cmp_eq_u32_e32 vcc_lo, 0, v8
	; wave barrier
	s_and_b32 s23, s11, vcc_lo
	s_delay_alu instid0(SALU_CYCLE_1)
	s_and_saveexec_b32 s11, s23
	s_cbranch_execz .LBB295_6
; %bb.5:                                ;   in Loop: Header=BB295_4 Depth=2
	v_bcnt_u32_b32 v0, v2, 0
	ds_store_b32 v9, v0
.LBB295_6:                              ;   in Loop: Header=BB295_4 Depth=2
	s_or_b32 exec_lo, exec_lo, s11
	v_lshrrev_b64 v[0:1], s16, v[43:44]
	; wave barrier
	s_delay_alu instid0(VALU_DEP_1)
	v_and_b32_e32 v2, 1, v0
	v_lshlrev_b32_e32 v3, 30, v0
	v_lshlrev_b32_e32 v4, 29, v0
	;; [unrolled: 1-line block ×4, first 2 shown]
	v_add_co_u32 v2, s11, v2, -1
	s_delay_alu instid0(VALU_DEP_1)
	v_cndmask_b32_e64 v6, 0, 1, s11
	v_not_b32_e32 v12, v3
	v_cmp_gt_i32_e64 s11, 0, v3
	v_not_b32_e32 v3, v4
	v_lshlrev_b32_e32 v10, 26, v0
	v_cmp_ne_u32_e32 vcc_lo, 0, v6
	v_ashrrev_i32_e32 v6, 31, v12
	v_lshlrev_b32_e32 v11, 25, v0
	v_ashrrev_i32_e32 v3, 31, v3
	v_and_b32_e32 v1, 0xff, v0
	v_xor_b32_e32 v2, vcc_lo, v2
	v_cmp_gt_i32_e32 vcc_lo, 0, v4
	v_not_b32_e32 v4, v5
	v_xor_b32_e32 v6, s11, v6
	v_cmp_gt_i32_e64 s11, 0, v5
	v_and_b32_e32 v2, exec_lo, v2
	v_not_b32_e32 v5, v7
	v_ashrrev_i32_e32 v4, 31, v4
	v_xor_b32_e32 v3, vcc_lo, v3
	v_cmp_gt_i32_e32 vcc_lo, 0, v7
	v_and_b32_e32 v2, v2, v6
	v_not_b32_e32 v6, v10
	v_ashrrev_i32_e32 v5, 31, v5
	v_xor_b32_e32 v4, s11, v4
	v_lshlrev_b32_e32 v0, 24, v0
	v_and_b32_e32 v2, v2, v3
	v_cmp_gt_i32_e64 s11, 0, v10
	v_not_b32_e32 v3, v11
	v_ashrrev_i32_e32 v6, 31, v6
	v_xor_b32_e32 v5, vcc_lo, v5
	v_and_b32_e32 v2, v2, v4
	v_cmp_gt_i32_e32 vcc_lo, 0, v11
	v_not_b32_e32 v4, v0
	v_ashrrev_i32_e32 v3, 31, v3
	v_xor_b32_e32 v6, s11, v6
	v_and_b32_e32 v2, v2, v5
	v_lshlrev_b32_e32 v1, 1, v1
	v_cmp_gt_i32_e64 s11, 0, v0
	v_ashrrev_i32_e32 v0, 31, v4
	v_xor_b32_e32 v3, vcc_lo, v3
	v_and_b32_e32 v2, v2, v6
	v_add_lshl_u32 v1, v1, v74, 2
	s_delay_alu instid0(VALU_DEP_4) | instskip(NEXT) | instid1(VALU_DEP_3)
	v_xor_b32_e32 v0, s11, v0
	v_and_b32_e32 v2, v2, v3
	ds_load_b32 v10, v1 offset:8
	v_add_nc_u32_e32 v12, 8, v1
	; wave barrier
	v_and_b32_e32 v0, v2, v0
	s_delay_alu instid0(VALU_DEP_1) | instskip(SKIP_1) | instid1(VALU_DEP_2)
	v_mbcnt_lo_u32_b32 v11, v0, 0
	v_cmp_ne_u32_e64 s11, 0, v0
	v_cmp_eq_u32_e32 vcc_lo, 0, v11
	s_delay_alu instid0(VALU_DEP_2) | instskip(NEXT) | instid1(SALU_CYCLE_1)
	s_and_b32 s23, s11, vcc_lo
	s_and_saveexec_b32 s11, s23
	s_cbranch_execz .LBB295_8
; %bb.7:                                ;   in Loop: Header=BB295_4 Depth=2
	s_waitcnt lgkmcnt(0)
	v_bcnt_u32_b32 v0, v0, v10
	ds_store_b32 v12, v0
.LBB295_8:                              ;   in Loop: Header=BB295_4 Depth=2
	s_or_b32 exec_lo, exec_lo, s11
	v_lshrrev_b64 v[0:1], s16, v[41:42]
	; wave barrier
	s_delay_alu instid0(VALU_DEP_1)
	v_and_b32_e32 v2, 1, v0
	v_lshlrev_b32_e32 v3, 30, v0
	v_lshlrev_b32_e32 v4, 29, v0
	;; [unrolled: 1-line block ×4, first 2 shown]
	v_add_co_u32 v2, s11, v2, -1
	s_delay_alu instid0(VALU_DEP_1)
	v_cndmask_b32_e64 v6, 0, 1, s11
	v_not_b32_e32 v15, v3
	v_cmp_gt_i32_e64 s11, 0, v3
	v_not_b32_e32 v3, v4
	v_lshlrev_b32_e32 v13, 26, v0
	v_cmp_ne_u32_e32 vcc_lo, 0, v6
	v_ashrrev_i32_e32 v6, 31, v15
	v_lshlrev_b32_e32 v14, 25, v0
	v_ashrrev_i32_e32 v3, 31, v3
	v_and_b32_e32 v1, 0xff, v0
	v_xor_b32_e32 v2, vcc_lo, v2
	v_cmp_gt_i32_e32 vcc_lo, 0, v4
	v_not_b32_e32 v4, v5
	v_xor_b32_e32 v6, s11, v6
	v_cmp_gt_i32_e64 s11, 0, v5
	v_and_b32_e32 v2, exec_lo, v2
	v_not_b32_e32 v5, v7
	v_ashrrev_i32_e32 v4, 31, v4
	v_xor_b32_e32 v3, vcc_lo, v3
	v_cmp_gt_i32_e32 vcc_lo, 0, v7
	v_and_b32_e32 v2, v2, v6
	v_not_b32_e32 v6, v13
	v_ashrrev_i32_e32 v5, 31, v5
	v_xor_b32_e32 v4, s11, v4
	v_lshlrev_b32_e32 v0, 24, v0
	v_and_b32_e32 v2, v2, v3
	v_cmp_gt_i32_e64 s11, 0, v13
	v_not_b32_e32 v3, v14
	v_ashrrev_i32_e32 v6, 31, v6
	v_xor_b32_e32 v5, vcc_lo, v5
	v_and_b32_e32 v2, v2, v4
	v_cmp_gt_i32_e32 vcc_lo, 0, v14
	v_not_b32_e32 v4, v0
	v_ashrrev_i32_e32 v3, 31, v3
	v_xor_b32_e32 v6, s11, v6
	v_and_b32_e32 v2, v2, v5
	v_lshlrev_b32_e32 v1, 1, v1
	v_cmp_gt_i32_e64 s11, 0, v0
	v_ashrrev_i32_e32 v0, 31, v4
	v_xor_b32_e32 v3, vcc_lo, v3
	v_and_b32_e32 v2, v2, v6
	v_add_lshl_u32 v1, v1, v74, 2
	s_delay_alu instid0(VALU_DEP_4) | instskip(NEXT) | instid1(VALU_DEP_3)
	v_xor_b32_e32 v0, s11, v0
	v_and_b32_e32 v2, v2, v3
	ds_load_b32 v13, v1 offset:8
	v_add_nc_u32_e32 v15, 8, v1
	; wave barrier
	v_and_b32_e32 v0, v2, v0
	s_delay_alu instid0(VALU_DEP_1) | instskip(SKIP_1) | instid1(VALU_DEP_2)
	v_mbcnt_lo_u32_b32 v14, v0, 0
	v_cmp_ne_u32_e64 s11, 0, v0
	v_cmp_eq_u32_e32 vcc_lo, 0, v14
	s_delay_alu instid0(VALU_DEP_2) | instskip(NEXT) | instid1(SALU_CYCLE_1)
	s_and_b32 s23, s11, vcc_lo
	s_and_saveexec_b32 s11, s23
	s_cbranch_execz .LBB295_10
; %bb.9:                                ;   in Loop: Header=BB295_4 Depth=2
	s_waitcnt lgkmcnt(0)
	v_bcnt_u32_b32 v0, v0, v13
	ds_store_b32 v15, v0
.LBB295_10:                             ;   in Loop: Header=BB295_4 Depth=2
	s_or_b32 exec_lo, exec_lo, s11
	v_lshrrev_b64 v[0:1], s16, v[39:40]
	; wave barrier
	s_delay_alu instid0(VALU_DEP_1)
	v_and_b32_e32 v2, 1, v0
	v_lshlrev_b32_e32 v3, 30, v0
	v_lshlrev_b32_e32 v4, 29, v0
	;; [unrolled: 1-line block ×4, first 2 shown]
	v_add_co_u32 v2, s11, v2, -1
	s_delay_alu instid0(VALU_DEP_1)
	v_cndmask_b32_e64 v6, 0, 1, s11
	v_not_b32_e32 v22, v3
	v_cmp_gt_i32_e64 s11, 0, v3
	v_not_b32_e32 v3, v4
	v_lshlrev_b32_e32 v20, 26, v0
	v_cmp_ne_u32_e32 vcc_lo, 0, v6
	v_ashrrev_i32_e32 v6, 31, v22
	v_lshlrev_b32_e32 v21, 25, v0
	v_ashrrev_i32_e32 v3, 31, v3
	v_and_b32_e32 v1, 0xff, v0
	v_xor_b32_e32 v2, vcc_lo, v2
	v_cmp_gt_i32_e32 vcc_lo, 0, v4
	v_not_b32_e32 v4, v5
	v_xor_b32_e32 v6, s11, v6
	v_cmp_gt_i32_e64 s11, 0, v5
	v_and_b32_e32 v2, exec_lo, v2
	v_not_b32_e32 v5, v7
	v_ashrrev_i32_e32 v4, 31, v4
	v_xor_b32_e32 v3, vcc_lo, v3
	v_cmp_gt_i32_e32 vcc_lo, 0, v7
	v_and_b32_e32 v2, v2, v6
	v_not_b32_e32 v6, v20
	v_ashrrev_i32_e32 v5, 31, v5
	v_xor_b32_e32 v4, s11, v4
	v_lshlrev_b32_e32 v0, 24, v0
	v_and_b32_e32 v2, v2, v3
	v_cmp_gt_i32_e64 s11, 0, v20
	v_not_b32_e32 v3, v21
	v_ashrrev_i32_e32 v6, 31, v6
	v_xor_b32_e32 v5, vcc_lo, v5
	v_and_b32_e32 v2, v2, v4
	v_cmp_gt_i32_e32 vcc_lo, 0, v21
	v_not_b32_e32 v4, v0
	v_ashrrev_i32_e32 v3, 31, v3
	v_xor_b32_e32 v6, s11, v6
	v_and_b32_e32 v2, v2, v5
	v_lshlrev_b32_e32 v1, 1, v1
	v_cmp_gt_i32_e64 s11, 0, v0
	v_ashrrev_i32_e32 v0, 31, v4
	v_xor_b32_e32 v3, vcc_lo, v3
	v_and_b32_e32 v2, v2, v6
	v_add_lshl_u32 v1, v1, v74, 2
	s_delay_alu instid0(VALU_DEP_4) | instskip(NEXT) | instid1(VALU_DEP_3)
	v_xor_b32_e32 v0, s11, v0
	v_and_b32_e32 v2, v2, v3
	ds_load_b32 v20, v1 offset:8
	v_add_nc_u32_e32 v22, 8, v1
	; wave barrier
	v_and_b32_e32 v0, v2, v0
	s_delay_alu instid0(VALU_DEP_1) | instskip(SKIP_1) | instid1(VALU_DEP_2)
	v_mbcnt_lo_u32_b32 v21, v0, 0
	v_cmp_ne_u32_e64 s11, 0, v0
	v_cmp_eq_u32_e32 vcc_lo, 0, v21
	s_delay_alu instid0(VALU_DEP_2) | instskip(NEXT) | instid1(SALU_CYCLE_1)
	s_and_b32 s23, s11, vcc_lo
	s_and_saveexec_b32 s11, s23
	s_cbranch_execz .LBB295_12
; %bb.11:                               ;   in Loop: Header=BB295_4 Depth=2
	s_waitcnt lgkmcnt(0)
	v_bcnt_u32_b32 v0, v0, v20
	ds_store_b32 v22, v0
.LBB295_12:                             ;   in Loop: Header=BB295_4 Depth=2
	s_or_b32 exec_lo, exec_lo, s11
	v_lshrrev_b64 v[0:1], s16, v[37:38]
	; wave barrier
	s_delay_alu instid0(VALU_DEP_1)
	v_and_b32_e32 v2, 1, v0
	v_lshlrev_b32_e32 v3, 30, v0
	v_lshlrev_b32_e32 v4, 29, v0
	;; [unrolled: 1-line block ×4, first 2 shown]
	v_add_co_u32 v2, s11, v2, -1
	s_delay_alu instid0(VALU_DEP_1)
	v_cndmask_b32_e64 v6, 0, 1, s11
	v_not_b32_e32 v25, v3
	v_cmp_gt_i32_e64 s11, 0, v3
	v_not_b32_e32 v3, v4
	v_lshlrev_b32_e32 v23, 26, v0
	v_cmp_ne_u32_e32 vcc_lo, 0, v6
	v_ashrrev_i32_e32 v6, 31, v25
	v_lshlrev_b32_e32 v24, 25, v0
	v_ashrrev_i32_e32 v3, 31, v3
	v_and_b32_e32 v1, 0xff, v0
	v_xor_b32_e32 v2, vcc_lo, v2
	v_cmp_gt_i32_e32 vcc_lo, 0, v4
	v_not_b32_e32 v4, v5
	v_xor_b32_e32 v6, s11, v6
	v_cmp_gt_i32_e64 s11, 0, v5
	v_and_b32_e32 v2, exec_lo, v2
	v_not_b32_e32 v5, v7
	v_ashrrev_i32_e32 v4, 31, v4
	v_xor_b32_e32 v3, vcc_lo, v3
	v_cmp_gt_i32_e32 vcc_lo, 0, v7
	v_and_b32_e32 v2, v2, v6
	v_not_b32_e32 v6, v23
	v_ashrrev_i32_e32 v5, 31, v5
	v_xor_b32_e32 v4, s11, v4
	v_lshlrev_b32_e32 v0, 24, v0
	v_and_b32_e32 v2, v2, v3
	v_cmp_gt_i32_e64 s11, 0, v23
	v_not_b32_e32 v3, v24
	v_ashrrev_i32_e32 v6, 31, v6
	v_xor_b32_e32 v5, vcc_lo, v5
	v_and_b32_e32 v2, v2, v4
	v_cmp_gt_i32_e32 vcc_lo, 0, v24
	v_not_b32_e32 v4, v0
	v_ashrrev_i32_e32 v3, 31, v3
	v_xor_b32_e32 v6, s11, v6
	v_and_b32_e32 v2, v2, v5
	v_lshlrev_b32_e32 v1, 1, v1
	v_cmp_gt_i32_e64 s11, 0, v0
	v_ashrrev_i32_e32 v0, 31, v4
	v_xor_b32_e32 v3, vcc_lo, v3
	v_and_b32_e32 v2, v2, v6
	v_add_lshl_u32 v1, v1, v74, 2
	s_delay_alu instid0(VALU_DEP_4) | instskip(NEXT) | instid1(VALU_DEP_3)
	v_xor_b32_e32 v0, s11, v0
	v_and_b32_e32 v2, v2, v3
	ds_load_b32 v23, v1 offset:8
	v_add_nc_u32_e32 v25, 8, v1
	; wave barrier
	v_and_b32_e32 v0, v2, v0
	s_delay_alu instid0(VALU_DEP_1) | instskip(SKIP_1) | instid1(VALU_DEP_2)
	v_mbcnt_lo_u32_b32 v24, v0, 0
	v_cmp_ne_u32_e64 s11, 0, v0
	v_cmp_eq_u32_e32 vcc_lo, 0, v24
	s_delay_alu instid0(VALU_DEP_2) | instskip(NEXT) | instid1(SALU_CYCLE_1)
	s_and_b32 s23, s11, vcc_lo
	s_and_saveexec_b32 s11, s23
	s_cbranch_execz .LBB295_14
; %bb.13:                               ;   in Loop: Header=BB295_4 Depth=2
	s_waitcnt lgkmcnt(0)
	v_bcnt_u32_b32 v0, v0, v23
	ds_store_b32 v25, v0
.LBB295_14:                             ;   in Loop: Header=BB295_4 Depth=2
	s_or_b32 exec_lo, exec_lo, s11
	v_lshrrev_b64 v[0:1], s16, v[31:32]
	; wave barrier
	s_delay_alu instid0(VALU_DEP_1)
	v_and_b32_e32 v2, 1, v0
	v_lshlrev_b32_e32 v3, 30, v0
	v_lshlrev_b32_e32 v4, 29, v0
	v_lshlrev_b32_e32 v5, 28, v0
	v_lshlrev_b32_e32 v7, 27, v0
	v_add_co_u32 v2, s11, v2, -1
	s_delay_alu instid0(VALU_DEP_1)
	v_cndmask_b32_e64 v6, 0, 1, s11
	v_not_b32_e32 v28, v3
	v_cmp_gt_i32_e64 s11, 0, v3
	v_not_b32_e32 v3, v4
	v_lshlrev_b32_e32 v26, 26, v0
	v_cmp_ne_u32_e32 vcc_lo, 0, v6
	v_ashrrev_i32_e32 v6, 31, v28
	v_lshlrev_b32_e32 v27, 25, v0
	v_ashrrev_i32_e32 v3, 31, v3
	v_and_b32_e32 v1, 0xff, v0
	v_xor_b32_e32 v2, vcc_lo, v2
	v_cmp_gt_i32_e32 vcc_lo, 0, v4
	v_not_b32_e32 v4, v5
	v_xor_b32_e32 v6, s11, v6
	v_cmp_gt_i32_e64 s11, 0, v5
	v_and_b32_e32 v2, exec_lo, v2
	v_not_b32_e32 v5, v7
	v_ashrrev_i32_e32 v4, 31, v4
	v_xor_b32_e32 v3, vcc_lo, v3
	v_cmp_gt_i32_e32 vcc_lo, 0, v7
	v_and_b32_e32 v2, v2, v6
	v_not_b32_e32 v6, v26
	v_ashrrev_i32_e32 v5, 31, v5
	v_xor_b32_e32 v4, s11, v4
	v_lshlrev_b32_e32 v0, 24, v0
	v_and_b32_e32 v2, v2, v3
	v_cmp_gt_i32_e64 s11, 0, v26
	v_not_b32_e32 v3, v27
	v_ashrrev_i32_e32 v6, 31, v6
	v_xor_b32_e32 v5, vcc_lo, v5
	v_and_b32_e32 v2, v2, v4
	v_cmp_gt_i32_e32 vcc_lo, 0, v27
	v_not_b32_e32 v4, v0
	v_ashrrev_i32_e32 v3, 31, v3
	v_xor_b32_e32 v6, s11, v6
	v_and_b32_e32 v2, v2, v5
	v_lshlrev_b32_e32 v1, 1, v1
	v_cmp_gt_i32_e64 s11, 0, v0
	v_ashrrev_i32_e32 v0, 31, v4
	v_xor_b32_e32 v3, vcc_lo, v3
	v_and_b32_e32 v2, v2, v6
	v_add_lshl_u32 v1, v1, v74, 2
	s_delay_alu instid0(VALU_DEP_4) | instskip(NEXT) | instid1(VALU_DEP_3)
	v_xor_b32_e32 v0, s11, v0
	v_and_b32_e32 v2, v2, v3
	ds_load_b32 v26, v1 offset:8
	v_add_nc_u32_e32 v28, 8, v1
	; wave barrier
	v_and_b32_e32 v0, v2, v0
	s_delay_alu instid0(VALU_DEP_1) | instskip(SKIP_1) | instid1(VALU_DEP_2)
	v_mbcnt_lo_u32_b32 v27, v0, 0
	v_cmp_ne_u32_e64 s11, 0, v0
	v_cmp_eq_u32_e32 vcc_lo, 0, v27
	s_delay_alu instid0(VALU_DEP_2) | instskip(NEXT) | instid1(SALU_CYCLE_1)
	s_and_b32 s23, s11, vcc_lo
	s_and_saveexec_b32 s11, s23
	s_cbranch_execz .LBB295_16
; %bb.15:                               ;   in Loop: Header=BB295_4 Depth=2
	s_waitcnt lgkmcnt(0)
	v_bcnt_u32_b32 v0, v0, v26
	ds_store_b32 v28, v0
.LBB295_16:                             ;   in Loop: Header=BB295_4 Depth=2
	s_or_b32 exec_lo, exec_lo, s11
	v_lshrrev_b64 v[0:1], s16, v[18:19]
	; wave barrier
	s_delay_alu instid0(VALU_DEP_1)
	v_and_b32_e32 v2, 1, v0
	v_lshlrev_b32_e32 v3, 30, v0
	v_lshlrev_b32_e32 v4, 29, v0
	;; [unrolled: 1-line block ×4, first 2 shown]
	v_add_co_u32 v2, s11, v2, -1
	s_delay_alu instid0(VALU_DEP_1)
	v_cndmask_b32_e64 v6, 0, 1, s11
	v_not_b32_e32 v35, v3
	v_cmp_gt_i32_e64 s11, 0, v3
	v_not_b32_e32 v3, v4
	v_lshlrev_b32_e32 v33, 26, v0
	v_cmp_ne_u32_e32 vcc_lo, 0, v6
	v_ashrrev_i32_e32 v6, 31, v35
	v_lshlrev_b32_e32 v34, 25, v0
	v_ashrrev_i32_e32 v3, 31, v3
	v_and_b32_e32 v1, 0xff, v0
	v_xor_b32_e32 v2, vcc_lo, v2
	v_cmp_gt_i32_e32 vcc_lo, 0, v4
	v_not_b32_e32 v4, v5
	v_xor_b32_e32 v6, s11, v6
	v_cmp_gt_i32_e64 s11, 0, v5
	v_and_b32_e32 v2, exec_lo, v2
	v_not_b32_e32 v5, v7
	v_ashrrev_i32_e32 v4, 31, v4
	v_xor_b32_e32 v3, vcc_lo, v3
	v_cmp_gt_i32_e32 vcc_lo, 0, v7
	v_and_b32_e32 v2, v2, v6
	v_not_b32_e32 v6, v33
	v_ashrrev_i32_e32 v5, 31, v5
	v_xor_b32_e32 v4, s11, v4
	v_lshlrev_b32_e32 v0, 24, v0
	v_and_b32_e32 v2, v2, v3
	v_cmp_gt_i32_e64 s11, 0, v33
	v_not_b32_e32 v3, v34
	v_ashrrev_i32_e32 v6, 31, v6
	v_xor_b32_e32 v5, vcc_lo, v5
	v_and_b32_e32 v2, v2, v4
	v_cmp_gt_i32_e32 vcc_lo, 0, v34
	v_not_b32_e32 v4, v0
	v_ashrrev_i32_e32 v3, 31, v3
	v_xor_b32_e32 v6, s11, v6
	v_and_b32_e32 v2, v2, v5
	v_lshlrev_b32_e32 v1, 1, v1
	v_cmp_gt_i32_e64 s11, 0, v0
	v_ashrrev_i32_e32 v0, 31, v4
	v_xor_b32_e32 v3, vcc_lo, v3
	v_and_b32_e32 v2, v2, v6
	v_add_lshl_u32 v1, v1, v74, 2
	s_delay_alu instid0(VALU_DEP_4) | instskip(NEXT) | instid1(VALU_DEP_3)
	v_xor_b32_e32 v0, s11, v0
	v_and_b32_e32 v2, v2, v3
	ds_load_b32 v33, v1 offset:8
	v_add_nc_u32_e32 v35, 8, v1
	; wave barrier
	v_and_b32_e32 v0, v2, v0
	s_delay_alu instid0(VALU_DEP_1) | instskip(SKIP_1) | instid1(VALU_DEP_2)
	v_mbcnt_lo_u32_b32 v34, v0, 0
	v_cmp_ne_u32_e64 s11, 0, v0
	v_cmp_eq_u32_e32 vcc_lo, 0, v34
	s_delay_alu instid0(VALU_DEP_2) | instskip(NEXT) | instid1(SALU_CYCLE_1)
	s_and_b32 s23, s11, vcc_lo
	s_and_saveexec_b32 s11, s23
	s_cbranch_execz .LBB295_18
; %bb.17:                               ;   in Loop: Header=BB295_4 Depth=2
	s_waitcnt lgkmcnt(0)
	v_bcnt_u32_b32 v0, v0, v33
	ds_store_b32 v35, v0
.LBB295_18:                             ;   in Loop: Header=BB295_4 Depth=2
	s_or_b32 exec_lo, exec_lo, s11
	v_lshrrev_b64 v[0:1], s16, v[16:17]
	; wave barrier
	s_delay_alu instid0(VALU_DEP_1)
	v_and_b32_e32 v2, 1, v0
	v_lshlrev_b32_e32 v3, 30, v0
	v_lshlrev_b32_e32 v4, 29, v0
	;; [unrolled: 1-line block ×4, first 2 shown]
	v_add_co_u32 v2, s11, v2, -1
	s_delay_alu instid0(VALU_DEP_1)
	v_cndmask_b32_e64 v6, 0, 1, s11
	v_not_b32_e32 v46, v3
	v_cmp_gt_i32_e64 s11, 0, v3
	v_not_b32_e32 v3, v4
	v_lshlrev_b32_e32 v36, 26, v0
	v_cmp_ne_u32_e32 vcc_lo, 0, v6
	v_ashrrev_i32_e32 v6, 31, v46
	v_lshlrev_b32_e32 v45, 25, v0
	v_ashrrev_i32_e32 v3, 31, v3
	v_and_b32_e32 v1, 0xff, v0
	v_xor_b32_e32 v2, vcc_lo, v2
	v_cmp_gt_i32_e32 vcc_lo, 0, v4
	v_not_b32_e32 v4, v5
	v_xor_b32_e32 v6, s11, v6
	v_cmp_gt_i32_e64 s11, 0, v5
	v_and_b32_e32 v2, exec_lo, v2
	v_not_b32_e32 v5, v7
	v_ashrrev_i32_e32 v4, 31, v4
	v_xor_b32_e32 v3, vcc_lo, v3
	v_cmp_gt_i32_e32 vcc_lo, 0, v7
	v_and_b32_e32 v2, v2, v6
	v_not_b32_e32 v6, v36
	v_ashrrev_i32_e32 v5, 31, v5
	v_xor_b32_e32 v4, s11, v4
	v_lshlrev_b32_e32 v0, 24, v0
	v_and_b32_e32 v2, v2, v3
	v_cmp_gt_i32_e64 s11, 0, v36
	v_not_b32_e32 v3, v45
	v_ashrrev_i32_e32 v6, 31, v6
	v_xor_b32_e32 v5, vcc_lo, v5
	v_and_b32_e32 v2, v2, v4
	v_cmp_gt_i32_e32 vcc_lo, 0, v45
	v_not_b32_e32 v4, v0
	v_ashrrev_i32_e32 v3, 31, v3
	v_xor_b32_e32 v6, s11, v6
	v_and_b32_e32 v2, v2, v5
	v_lshlrev_b32_e32 v1, 1, v1
	v_cmp_gt_i32_e64 s11, 0, v0
	v_ashrrev_i32_e32 v0, 31, v4
	v_xor_b32_e32 v3, vcc_lo, v3
	v_and_b32_e32 v2, v2, v6
	v_add_lshl_u32 v1, v1, v74, 2
	s_delay_alu instid0(VALU_DEP_4) | instskip(NEXT) | instid1(VALU_DEP_3)
	v_xor_b32_e32 v0, s11, v0
	v_and_b32_e32 v2, v2, v3
	ds_load_b32 v36, v1 offset:8
	v_add_nc_u32_e32 v46, 8, v1
	; wave barrier
	v_and_b32_e32 v0, v2, v0
	s_delay_alu instid0(VALU_DEP_1) | instskip(SKIP_1) | instid1(VALU_DEP_2)
	v_mbcnt_lo_u32_b32 v45, v0, 0
	v_cmp_ne_u32_e64 s11, 0, v0
	v_cmp_eq_u32_e32 vcc_lo, 0, v45
	s_delay_alu instid0(VALU_DEP_2) | instskip(NEXT) | instid1(SALU_CYCLE_1)
	s_and_b32 s23, s11, vcc_lo
	s_and_saveexec_b32 s11, s23
	s_cbranch_execz .LBB295_20
; %bb.19:                               ;   in Loop: Header=BB295_4 Depth=2
	s_waitcnt lgkmcnt(0)
	v_bcnt_u32_b32 v0, v0, v36
	ds_store_b32 v46, v0
.LBB295_20:                             ;   in Loop: Header=BB295_4 Depth=2
	s_or_b32 exec_lo, exec_lo, s11
	; wave barrier
	s_waitcnt lgkmcnt(0)
	s_barrier
	buffer_gl0_inv
	ds_load_2addr_b64 v[4:7], v66 offset0:1 offset1:2
	ds_load_2addr_b64 v[0:3], v67 offset0:2 offset1:3
	s_waitcnt lgkmcnt(1)
	v_add_nc_u32_e32 v47, v5, v4
	s_delay_alu instid0(VALU_DEP_1) | instskip(SKIP_1) | instid1(VALU_DEP_1)
	v_add3_u32 v47, v47, v6, v7
	s_waitcnt lgkmcnt(0)
	v_add3_u32 v47, v47, v0, v1
	s_delay_alu instid0(VALU_DEP_1) | instskip(NEXT) | instid1(VALU_DEP_1)
	v_add3_u32 v3, v47, v2, v3
	v_mov_b32_dpp v47, v3 row_shr:1 row_mask:0xf bank_mask:0xf
	s_delay_alu instid0(VALU_DEP_1) | instskip(NEXT) | instid1(VALU_DEP_1)
	v_cndmask_b32_e64 v47, v47, 0, s1
	v_add_nc_u32_e32 v3, v47, v3
	s_delay_alu instid0(VALU_DEP_1) | instskip(NEXT) | instid1(VALU_DEP_1)
	v_mov_b32_dpp v47, v3 row_shr:2 row_mask:0xf bank_mask:0xf
	v_cndmask_b32_e64 v47, 0, v47, s2
	s_delay_alu instid0(VALU_DEP_1) | instskip(NEXT) | instid1(VALU_DEP_1)
	v_add_nc_u32_e32 v3, v3, v47
	v_mov_b32_dpp v47, v3 row_shr:4 row_mask:0xf bank_mask:0xf
	s_delay_alu instid0(VALU_DEP_1) | instskip(NEXT) | instid1(VALU_DEP_1)
	v_cndmask_b32_e64 v47, 0, v47, s3
	v_add_nc_u32_e32 v3, v3, v47
	s_delay_alu instid0(VALU_DEP_1) | instskip(NEXT) | instid1(VALU_DEP_1)
	v_mov_b32_dpp v47, v3 row_shr:8 row_mask:0xf bank_mask:0xf
	v_cndmask_b32_e64 v47, 0, v47, s4
	s_delay_alu instid0(VALU_DEP_1) | instskip(SKIP_3) | instid1(VALU_DEP_1)
	v_add_nc_u32_e32 v3, v3, v47
	ds_swizzle_b32 v47, v3 offset:swizzle(BROADCAST,32,15)
	s_waitcnt lgkmcnt(0)
	v_cndmask_b32_e64 v47, v47, 0, s5
	v_add_nc_u32_e32 v3, v3, v47
	s_and_saveexec_b32 s11, s10
	s_cbranch_execz .LBB295_22
; %bb.21:                               ;   in Loop: Header=BB295_4 Depth=2
	ds_store_b32 v69, v3
.LBB295_22:                             ;   in Loop: Header=BB295_4 Depth=2
	s_or_b32 exec_lo, exec_lo, s11
	s_waitcnt lgkmcnt(0)
	s_barrier
	buffer_gl0_inv
	s_and_saveexec_b32 s11, s6
	s_cbranch_execz .LBB295_24
; %bb.23:                               ;   in Loop: Header=BB295_4 Depth=2
	ds_load_b32 v47, v70
	s_waitcnt lgkmcnt(0)
	v_mov_b32_dpp v48, v47 row_shr:1 row_mask:0xf bank_mask:0xf
	s_delay_alu instid0(VALU_DEP_1) | instskip(NEXT) | instid1(VALU_DEP_1)
	v_cndmask_b32_e64 v48, v48, 0, s9
	v_add_nc_u32_e32 v47, v48, v47
	ds_store_b32 v70, v47
.LBB295_24:                             ;   in Loop: Header=BB295_4 Depth=2
	s_or_b32 exec_lo, exec_lo, s11
	v_mov_b32_e32 v47, 0
	s_waitcnt lgkmcnt(0)
	s_barrier
	buffer_gl0_inv
	s_and_saveexec_b32 s11, s7
	s_cbranch_execz .LBB295_26
; %bb.25:                               ;   in Loop: Header=BB295_4 Depth=2
	ds_load_b32 v47, v73
.LBB295_26:                             ;   in Loop: Header=BB295_4 Depth=2
	s_or_b32 exec_lo, exec_lo, s11
	s_waitcnt lgkmcnt(0)
	v_add_nc_u32_e32 v3, v47, v3
	s_cmp_gt_u32 s16, 55
	ds_bpermute_b32 v3, v68, v3
	s_waitcnt lgkmcnt(0)
	v_cndmask_b32_e64 v3, v3, v47, s0
	s_delay_alu instid0(VALU_DEP_1) | instskip(NEXT) | instid1(VALU_DEP_1)
	v_cndmask_b32_e64 v3, v3, 0, s8
	v_add_nc_u32_e32 v4, v3, v4
	s_delay_alu instid0(VALU_DEP_1) | instskip(NEXT) | instid1(VALU_DEP_1)
	v_add_nc_u32_e32 v5, v4, v5
	v_add_nc_u32_e32 v6, v5, v6
	s_delay_alu instid0(VALU_DEP_1) | instskip(NEXT) | instid1(VALU_DEP_1)
	v_add_nc_u32_e32 v47, v6, v7
	;; [unrolled: 3-line block ×3, first 2 shown]
	v_add_nc_u32_e32 v1, v0, v2
	ds_store_2addr_b64 v66, v[3:4], v[5:6] offset0:1 offset1:2
	ds_store_2addr_b64 v67, v[47:48], v[0:1] offset0:2 offset1:3
	s_waitcnt lgkmcnt(0)
	s_barrier
	buffer_gl0_inv
	ds_load_b32 v0, v9
	ds_load_b32 v1, v12
	;; [unrolled: 1-line block ×8, first 2 shown]
	s_waitcnt lgkmcnt(7)
	v_add_nc_u32_e32 v82, v0, v8
	s_waitcnt lgkmcnt(6)
	v_add3_u32 v81, v11, v10, v1
	s_waitcnt lgkmcnt(5)
	v_add3_u32 v80, v14, v13, v2
	;; [unrolled: 2-line block ×7, first 2 shown]
	s_cbranch_scc0 .LBB295_3
; %bb.27:                               ;   in Loop: Header=BB295_2 Depth=1
                                        ; implicit-def: $vgpr47_vgpr48
                                        ; implicit-def: $vgpr35_vgpr36
                                        ; implicit-def: $vgpr27_vgpr28
                                        ; implicit-def: $vgpr23_vgpr24
                                        ; implicit-def: $vgpr14_vgpr15
                                        ; implicit-def: $vgpr10_vgpr11
                                        ; implicit-def: $vgpr6_vgpr7
                                        ; implicit-def: $vgpr2_vgpr3
                                        ; implicit-def: $sgpr16_sgpr17
	s_branch .LBB295_1
.LBB295_28:
	s_waitcnt lgkmcnt(3)
	v_add_co_u32 v13, vcc_lo, v13, v41
	v_add_co_ci_u32_e32 v14, vcc_lo, v14, v42, vcc_lo
	v_add_co_u32 v15, vcc_lo, v15, v43
	v_add_co_ci_u32_e32 v16, vcc_lo, v16, v44, vcc_lo
	s_waitcnt lgkmcnt(2)
	v_add_co_u32 v9, vcc_lo, v9, v37
	v_add_co_ci_u32_e32 v10, vcc_lo, v10, v38, vcc_lo
	v_add_co_u32 v11, vcc_lo, v11, v39
	v_add_co_ci_u32_e32 v12, vcc_lo, v12, v40, vcc_lo
	;; [unrolled: 5-line block ×3, first 2 shown]
	s_waitcnt lgkmcnt(0)
	v_add_co_u32 v0, vcc_lo, v1, v17
	v_add_co_ci_u32_e32 v1, vcc_lo, v2, v18, vcc_lo
	s_add_u32 s0, s18, s12
	s_addc_u32 s1, s19, s13
	v_add_co_u32 v2, vcc_lo, v3, v19
	v_add_co_ci_u32_e32 v3, vcc_lo, v4, v20, vcc_lo
	s_clause 0x7
	global_store_b64 v65, v[13:14], s[0:1]
	global_store_b64 v65, v[15:16], s[0:1] offset:512
	global_store_b64 v65, v[9:10], s[0:1] offset:1024
	;; [unrolled: 1-line block ×7, first 2 shown]
	s_nop 0
	s_sendmsg sendmsg(MSG_DEALLOC_VGPRS)
	s_endpgm
	.section	.rodata,"a",@progbits
	.p2align	6, 0x0
	.amdhsa_kernel _Z17sort_pairs_kernelI22helper_blocked_stripedxLj64ELj8ELj10EEvPKT0_PS1_
		.amdhsa_group_segment_fixed_size 4096
		.amdhsa_private_segment_fixed_size 0
		.amdhsa_kernarg_size 272
		.amdhsa_user_sgpr_count 15
		.amdhsa_user_sgpr_dispatch_ptr 0
		.amdhsa_user_sgpr_queue_ptr 0
		.amdhsa_user_sgpr_kernarg_segment_ptr 1
		.amdhsa_user_sgpr_dispatch_id 0
		.amdhsa_user_sgpr_private_segment_size 0
		.amdhsa_wavefront_size32 1
		.amdhsa_uses_dynamic_stack 0
		.amdhsa_enable_private_segment 0
		.amdhsa_system_sgpr_workgroup_id_x 1
		.amdhsa_system_sgpr_workgroup_id_y 0
		.amdhsa_system_sgpr_workgroup_id_z 0
		.amdhsa_system_sgpr_workgroup_info 0
		.amdhsa_system_vgpr_workitem_id 2
		.amdhsa_next_free_vgpr 83
		.amdhsa_next_free_sgpr 24
		.amdhsa_reserve_vcc 1
		.amdhsa_float_round_mode_32 0
		.amdhsa_float_round_mode_16_64 0
		.amdhsa_float_denorm_mode_32 3
		.amdhsa_float_denorm_mode_16_64 3
		.amdhsa_dx10_clamp 1
		.amdhsa_ieee_mode 1
		.amdhsa_fp16_overflow 0
		.amdhsa_workgroup_processor_mode 1
		.amdhsa_memory_ordered 1
		.amdhsa_forward_progress 0
		.amdhsa_shared_vgpr_count 0
		.amdhsa_exception_fp_ieee_invalid_op 0
		.amdhsa_exception_fp_denorm_src 0
		.amdhsa_exception_fp_ieee_div_zero 0
		.amdhsa_exception_fp_ieee_overflow 0
		.amdhsa_exception_fp_ieee_underflow 0
		.amdhsa_exception_fp_ieee_inexact 0
		.amdhsa_exception_int_div_zero 0
	.end_amdhsa_kernel
	.section	.text._Z17sort_pairs_kernelI22helper_blocked_stripedxLj64ELj8ELj10EEvPKT0_PS1_,"axG",@progbits,_Z17sort_pairs_kernelI22helper_blocked_stripedxLj64ELj8ELj10EEvPKT0_PS1_,comdat
.Lfunc_end295:
	.size	_Z17sort_pairs_kernelI22helper_blocked_stripedxLj64ELj8ELj10EEvPKT0_PS1_, .Lfunc_end295-_Z17sort_pairs_kernelI22helper_blocked_stripedxLj64ELj8ELj10EEvPKT0_PS1_
                                        ; -- End function
	.section	.AMDGPU.csdata,"",@progbits
; Kernel info:
; codeLenInByte = 5016
; NumSgprs: 26
; NumVgprs: 83
; ScratchSize: 0
; MemoryBound: 0
; FloatMode: 240
; IeeeMode: 1
; LDSByteSize: 4096 bytes/workgroup (compile time only)
; SGPRBlocks: 3
; VGPRBlocks: 10
; NumSGPRsForWavesPerEU: 26
; NumVGPRsForWavesPerEU: 83
; Occupancy: 16
; WaveLimiterHint : 1
; COMPUTE_PGM_RSRC2:SCRATCH_EN: 0
; COMPUTE_PGM_RSRC2:USER_SGPR: 15
; COMPUTE_PGM_RSRC2:TRAP_HANDLER: 0
; COMPUTE_PGM_RSRC2:TGID_X_EN: 1
; COMPUTE_PGM_RSRC2:TGID_Y_EN: 0
; COMPUTE_PGM_RSRC2:TGID_Z_EN: 0
; COMPUTE_PGM_RSRC2:TIDIG_COMP_CNT: 2
	.section	.text._Z16sort_keys_kernelI22helper_blocked_stripedxLj128ELj1ELj10EEvPKT0_PS1_,"axG",@progbits,_Z16sort_keys_kernelI22helper_blocked_stripedxLj128ELj1ELj10EEvPKT0_PS1_,comdat
	.protected	_Z16sort_keys_kernelI22helper_blocked_stripedxLj128ELj1ELj10EEvPKT0_PS1_ ; -- Begin function _Z16sort_keys_kernelI22helper_blocked_stripedxLj128ELj1ELj10EEvPKT0_PS1_
	.globl	_Z16sort_keys_kernelI22helper_blocked_stripedxLj128ELj1ELj10EEvPKT0_PS1_
	.p2align	8
	.type	_Z16sort_keys_kernelI22helper_blocked_stripedxLj128ELj1ELj10EEvPKT0_PS1_,@function
_Z16sort_keys_kernelI22helper_blocked_stripedxLj128ELj1ELj10EEvPKT0_PS1_: ; @_Z16sort_keys_kernelI22helper_blocked_stripedxLj128ELj1ELj10EEvPKT0_PS1_
; %bb.0:
	s_clause 0x1
	s_load_b128 s[16:19], s[0:1], 0x0
	s_load_b32 s11, s[0:1], 0x1c
	v_and_b32_e32 v8, 0x3ff, v0
	s_mov_b32 s13, 0
	s_lshl_b32 s12, s15, 7
	v_mbcnt_lo_u32_b32 v5, -1, 0
	s_lshl_b64 s[14:15], s[12:13], 3
	v_lshlrev_b32_e32 v1, 3, v8
	s_mov_b32 s12, s13
	v_bfe_u32 v3, v0, 10, 10
	v_bfe_u32 v0, v0, 20, 10
	v_dual_mov_b32 v11, s12 :: v_dual_and_b32 v4, 15, v5
	v_and_b32_e32 v6, 16, v5
	v_dual_mov_b32 v12, s13 :: v_dual_add_nc_u32 v7, -1, v5
	v_and_b32_e32 v13, 3, v5
	s_delay_alu instid0(VALU_DEP_4) | instskip(NEXT) | instid1(VALU_DEP_4)
	v_cmp_lt_u32_e64 s2, 1, v4
	v_cmp_eq_u32_e64 s5, 0, v6
	s_delay_alu instid0(VALU_DEP_4)
	v_cmp_gt_i32_e32 vcc_lo, 0, v7
	s_waitcnt lgkmcnt(0)
	s_add_u32 s0, s16, s14
	s_addc_u32 s1, s17, s15
	s_lshr_b32 s12, s11, 16
	global_load_b64 v[1:2], v1, s[0:1]
	s_mov_b32 s1, s13
	s_mov_b32 s0, s13
	s_delay_alu instid0(SALU_CYCLE_1)
	v_dual_mov_b32 v10, s1 :: v_dual_mov_b32 v9, s0
	v_mad_u32_u24 v0, v0, s12, v3
	v_lshlrev_b32_e32 v15, 5, v8
	v_dual_cndmask_b32 v7, v7, v5 :: v_dual_and_b32 v6, 0x60, v8
	v_lshrrev_b32_e32 v14, 3, v8
	s_and_b32 s11, s11, 0xffff
	v_cmp_eq_u32_e64 s1, 0, v4
	v_cmp_lt_u32_e64 s3, 3, v4
	v_cmp_lt_u32_e64 s4, 7, v4
	v_mad_u64_u32 v[3:4], null, v0, s11, v[8:9]
	v_cmp_eq_u32_e64 s9, 0, v13
	v_cmp_lt_u32_e64 s10, 1, v13
	v_lshlrev_b32_e32 v13, 2, v8
	v_or_b32_e32 v20, 31, v6
	v_and_b32_e32 v17, 12, v14
	v_or_b32_e32 v0, v5, v6
	v_mad_i32_i24 v19, 0xffffffe4, v8, v15
	v_cmp_eq_u32_e64 s0, 0, v5
	v_cmp_gt_u32_e64 s6, 4, v8
	v_cmp_lt_u32_e64 s7, 31, v8
	v_cmp_eq_u32_e64 s8, 0, v8
	v_or_b32_e32 v16, 16, v15
	v_lshlrev_b32_e32 v18, 2, v7
	v_cmp_eq_u32_e64 s11, v20, v8
	v_add_nc_u32_e32 v20, -4, v17
	v_lshlrev_b32_e32 v21, 3, v0
	v_lshrrev_b32_e32 v22, 5, v3
	v_add_nc_u32_e32 v23, v19, v13
	s_waitcnt vmcnt(0)
	v_xor_b32_e32 v2, 0x80000000, v2
	s_branch .LBB296_2
.LBB296_1:                              ;   in Loop: Header=BB296_2 Depth=1
	s_delay_alu instid0(VALU_DEP_1)
	v_lshlrev_b32_e32 v0, 3, v0
	s_barrier
	buffer_gl0_inv
	s_add_i32 s13, s13, 1
	ds_store_b64 v0, v[13:14]
	s_waitcnt lgkmcnt(0)
	s_barrier
	buffer_gl0_inv
	ds_load_b64 v[1:2], v23
	s_cmp_eq_u32 s13, 10
	s_cbranch_scc1 .LBB296_14
.LBB296_2:                              ; =>This Loop Header: Depth=1
                                        ;     Child Loop BB296_4 Depth 2
	s_mov_b64 s[16:17], 0
	s_branch .LBB296_4
.LBB296_3:                              ;   in Loop: Header=BB296_4 Depth=2
	s_delay_alu instid0(VALU_DEP_1)
	v_lshlrev_b32_e32 v1, 3, v0
	s_barrier
	buffer_gl0_inv
	s_add_u32 s16, s16, 8
	ds_store_b64 v1, v[13:14]
	s_waitcnt lgkmcnt(0)
	s_barrier
	buffer_gl0_inv
	ds_load_b64 v[1:2], v21
	s_addc_u32 s17, s17, 0
	s_waitcnt lgkmcnt(0)
	s_barrier
	buffer_gl0_inv
	s_cbranch_execz .LBB296_1
.LBB296_4:                              ;   Parent Loop BB296_2 Depth=1
                                        ; =>  This Inner Loop Header: Depth=2
	s_waitcnt lgkmcnt(0)
	v_dual_mov_b32 v14, v2 :: v_dual_mov_b32 v13, v1
	ds_store_2addr_b64 v15, v[11:12], v[9:10] offset0:2 offset1:3
	ds_store_2addr_b64 v16, v[11:12], v[9:10] offset0:2 offset1:3
	s_waitcnt lgkmcnt(0)
	s_barrier
	buffer_gl0_inv
	v_lshrrev_b64 v[1:2], s16, v[13:14]
	; wave barrier
	s_delay_alu instid0(VALU_DEP_1)
	v_and_b32_e32 v0, 1, v1
	v_lshlrev_b32_e32 v2, 30, v1
	v_lshlrev_b32_e32 v3, 29, v1
	;; [unrolled: 1-line block ×4, first 2 shown]
	v_add_co_u32 v0, s12, v0, -1
	s_delay_alu instid0(VALU_DEP_1)
	v_cndmask_b32_e64 v5, 0, 1, s12
	v_not_b32_e32 v25, v2
	v_cmp_gt_i32_e64 s12, 0, v2
	v_not_b32_e32 v2, v3
	v_lshlrev_b32_e32 v7, 26, v1
	v_cmp_ne_u32_e32 vcc_lo, 0, v5
	v_ashrrev_i32_e32 v25, 31, v25
	v_lshlrev_b32_e32 v24, 25, v1
	v_ashrrev_i32_e32 v2, 31, v2
	v_lshlrev_b32_e32 v5, 24, v1
	v_xor_b32_e32 v0, vcc_lo, v0
	v_cmp_gt_i32_e32 vcc_lo, 0, v3
	v_not_b32_e32 v3, v4
	v_xor_b32_e32 v25, s12, v25
	v_cmp_gt_i32_e64 s12, 0, v4
	v_and_b32_e32 v0, exec_lo, v0
	v_not_b32_e32 v4, v6
	v_ashrrev_i32_e32 v3, 31, v3
	v_xor_b32_e32 v2, vcc_lo, v2
	v_cmp_gt_i32_e32 vcc_lo, 0, v6
	v_and_b32_e32 v0, v0, v25
	v_not_b32_e32 v6, v7
	v_ashrrev_i32_e32 v4, 31, v4
	v_xor_b32_e32 v3, s12, v3
	v_cmp_gt_i32_e64 s12, 0, v7
	v_and_b32_e32 v0, v0, v2
	v_not_b32_e32 v2, v24
	v_ashrrev_i32_e32 v6, 31, v6
	v_xor_b32_e32 v4, vcc_lo, v4
	v_cmp_gt_i32_e32 vcc_lo, 0, v24
	v_and_b32_e32 v0, v0, v3
	v_not_b32_e32 v3, v5
	v_ashrrev_i32_e32 v2, 31, v2
	v_xor_b32_e32 v6, s12, v6
	v_cmp_gt_i32_e64 s12, 0, v5
	v_and_b32_e32 v0, v0, v4
	v_ashrrev_i32_e32 v3, 31, v3
	v_xor_b32_e32 v2, vcc_lo, v2
	v_and_b32_e32 v1, 0xff, v1
	s_delay_alu instid0(VALU_DEP_4) | instskip(NEXT) | instid1(VALU_DEP_4)
	v_and_b32_e32 v0, v0, v6
	v_xor_b32_e32 v3, s12, v3
	s_delay_alu instid0(VALU_DEP_3) | instskip(NEXT) | instid1(VALU_DEP_3)
	v_lshl_add_u32 v1, v1, 2, v22
	v_and_b32_e32 v0, v0, v2
	s_delay_alu instid0(VALU_DEP_2) | instskip(NEXT) | instid1(VALU_DEP_2)
	v_lshl_add_u32 v25, v1, 2, 16
	v_and_b32_e32 v0, v0, v3
	s_delay_alu instid0(VALU_DEP_1) | instskip(SKIP_1) | instid1(VALU_DEP_2)
	v_mbcnt_lo_u32_b32 v24, v0, 0
	v_cmp_ne_u32_e64 s12, 0, v0
	v_cmp_eq_u32_e32 vcc_lo, 0, v24
	s_delay_alu instid0(VALU_DEP_2) | instskip(NEXT) | instid1(SALU_CYCLE_1)
	s_and_b32 s20, s12, vcc_lo
	s_and_saveexec_b32 s12, s20
	s_cbranch_execz .LBB296_6
; %bb.5:                                ;   in Loop: Header=BB296_4 Depth=2
	v_bcnt_u32_b32 v0, v0, 0
	ds_store_b32 v25, v0
.LBB296_6:                              ;   in Loop: Header=BB296_4 Depth=2
	s_or_b32 exec_lo, exec_lo, s12
	; wave barrier
	s_waitcnt lgkmcnt(0)
	s_barrier
	buffer_gl0_inv
	ds_load_2addr_b64 v[4:7], v15 offset0:2 offset1:3
	ds_load_2addr_b64 v[0:3], v16 offset0:2 offset1:3
	s_waitcnt lgkmcnt(1)
	v_add_nc_u32_e32 v26, v5, v4
	s_delay_alu instid0(VALU_DEP_1) | instskip(SKIP_1) | instid1(VALU_DEP_1)
	v_add3_u32 v26, v26, v6, v7
	s_waitcnt lgkmcnt(0)
	v_add3_u32 v26, v26, v0, v1
	s_delay_alu instid0(VALU_DEP_1) | instskip(NEXT) | instid1(VALU_DEP_1)
	v_add3_u32 v3, v26, v2, v3
	v_mov_b32_dpp v26, v3 row_shr:1 row_mask:0xf bank_mask:0xf
	s_delay_alu instid0(VALU_DEP_1) | instskip(NEXT) | instid1(VALU_DEP_1)
	v_cndmask_b32_e64 v26, v26, 0, s1
	v_add_nc_u32_e32 v3, v26, v3
	s_delay_alu instid0(VALU_DEP_1) | instskip(NEXT) | instid1(VALU_DEP_1)
	v_mov_b32_dpp v26, v3 row_shr:2 row_mask:0xf bank_mask:0xf
	v_cndmask_b32_e64 v26, 0, v26, s2
	s_delay_alu instid0(VALU_DEP_1) | instskip(NEXT) | instid1(VALU_DEP_1)
	v_add_nc_u32_e32 v3, v3, v26
	v_mov_b32_dpp v26, v3 row_shr:4 row_mask:0xf bank_mask:0xf
	s_delay_alu instid0(VALU_DEP_1) | instskip(NEXT) | instid1(VALU_DEP_1)
	v_cndmask_b32_e64 v26, 0, v26, s3
	v_add_nc_u32_e32 v3, v3, v26
	s_delay_alu instid0(VALU_DEP_1) | instskip(NEXT) | instid1(VALU_DEP_1)
	v_mov_b32_dpp v26, v3 row_shr:8 row_mask:0xf bank_mask:0xf
	v_cndmask_b32_e64 v26, 0, v26, s4
	s_delay_alu instid0(VALU_DEP_1) | instskip(SKIP_3) | instid1(VALU_DEP_1)
	v_add_nc_u32_e32 v3, v3, v26
	ds_swizzle_b32 v26, v3 offset:swizzle(BROADCAST,32,15)
	s_waitcnt lgkmcnt(0)
	v_cndmask_b32_e64 v26, v26, 0, s5
	v_add_nc_u32_e32 v3, v3, v26
	s_and_saveexec_b32 s12, s11
	s_cbranch_execz .LBB296_8
; %bb.7:                                ;   in Loop: Header=BB296_4 Depth=2
	ds_store_b32 v17, v3
.LBB296_8:                              ;   in Loop: Header=BB296_4 Depth=2
	s_or_b32 exec_lo, exec_lo, s12
	s_waitcnt lgkmcnt(0)
	s_barrier
	buffer_gl0_inv
	s_and_saveexec_b32 s12, s6
	s_cbranch_execz .LBB296_10
; %bb.9:                                ;   in Loop: Header=BB296_4 Depth=2
	ds_load_b32 v26, v19
	s_waitcnt lgkmcnt(0)
	v_mov_b32_dpp v27, v26 row_shr:1 row_mask:0xf bank_mask:0xf
	s_delay_alu instid0(VALU_DEP_1) | instskip(NEXT) | instid1(VALU_DEP_1)
	v_cndmask_b32_e64 v27, v27, 0, s9
	v_add_nc_u32_e32 v26, v27, v26
	s_delay_alu instid0(VALU_DEP_1) | instskip(NEXT) | instid1(VALU_DEP_1)
	v_mov_b32_dpp v27, v26 row_shr:2 row_mask:0xf bank_mask:0xf
	v_cndmask_b32_e64 v27, 0, v27, s10
	s_delay_alu instid0(VALU_DEP_1)
	v_add_nc_u32_e32 v26, v26, v27
	ds_store_b32 v19, v26
.LBB296_10:                             ;   in Loop: Header=BB296_4 Depth=2
	s_or_b32 exec_lo, exec_lo, s12
	v_mov_b32_e32 v26, 0
	s_waitcnt lgkmcnt(0)
	s_barrier
	buffer_gl0_inv
	s_and_saveexec_b32 s12, s7
	s_cbranch_execz .LBB296_12
; %bb.11:                               ;   in Loop: Header=BB296_4 Depth=2
	ds_load_b32 v26, v20
.LBB296_12:                             ;   in Loop: Header=BB296_4 Depth=2
	s_or_b32 exec_lo, exec_lo, s12
	s_waitcnt lgkmcnt(0)
	v_add_nc_u32_e32 v3, v26, v3
	s_cmp_gt_u32 s16, 55
	ds_bpermute_b32 v3, v18, v3
	s_waitcnt lgkmcnt(0)
	v_cndmask_b32_e64 v3, v3, v26, s0
	s_delay_alu instid0(VALU_DEP_1) | instskip(NEXT) | instid1(VALU_DEP_1)
	v_cndmask_b32_e64 v3, v3, 0, s8
	v_add_nc_u32_e32 v4, v3, v4
	s_delay_alu instid0(VALU_DEP_1) | instskip(NEXT) | instid1(VALU_DEP_1)
	v_add_nc_u32_e32 v5, v4, v5
	v_add_nc_u32_e32 v6, v5, v6
	s_delay_alu instid0(VALU_DEP_1) | instskip(NEXT) | instid1(VALU_DEP_1)
	v_add_nc_u32_e32 v26, v6, v7
	;; [unrolled: 3-line block ×3, first 2 shown]
	v_add_nc_u32_e32 v1, v0, v2
	ds_store_2addr_b64 v15, v[3:4], v[5:6] offset0:2 offset1:3
	ds_store_2addr_b64 v16, v[26:27], v[0:1] offset0:2 offset1:3
	s_waitcnt lgkmcnt(0)
	s_barrier
	buffer_gl0_inv
	ds_load_b32 v0, v25
	s_waitcnt lgkmcnt(0)
	v_add_nc_u32_e32 v0, v0, v24
	s_cbranch_scc0 .LBB296_3
; %bb.13:                               ;   in Loop: Header=BB296_2 Depth=1
                                        ; implicit-def: $vgpr1_vgpr2
                                        ; implicit-def: $sgpr16_sgpr17
	s_branch .LBB296_1
.LBB296_14:
	s_waitcnt lgkmcnt(0)
	v_xor_b32_e32 v2, 0x80000000, v2
	v_lshlrev_b32_e32 v0, 3, v8
	s_add_u32 s0, s18, s14
	s_addc_u32 s1, s19, s15
	global_store_b64 v0, v[1:2], s[0:1]
	s_nop 0
	s_sendmsg sendmsg(MSG_DEALLOC_VGPRS)
	s_endpgm
	.section	.rodata,"a",@progbits
	.p2align	6, 0x0
	.amdhsa_kernel _Z16sort_keys_kernelI22helper_blocked_stripedxLj128ELj1ELj10EEvPKT0_PS1_
		.amdhsa_group_segment_fixed_size 4112
		.amdhsa_private_segment_fixed_size 0
		.amdhsa_kernarg_size 272
		.amdhsa_user_sgpr_count 15
		.amdhsa_user_sgpr_dispatch_ptr 0
		.amdhsa_user_sgpr_queue_ptr 0
		.amdhsa_user_sgpr_kernarg_segment_ptr 1
		.amdhsa_user_sgpr_dispatch_id 0
		.amdhsa_user_sgpr_private_segment_size 0
		.amdhsa_wavefront_size32 1
		.amdhsa_uses_dynamic_stack 0
		.amdhsa_enable_private_segment 0
		.amdhsa_system_sgpr_workgroup_id_x 1
		.amdhsa_system_sgpr_workgroup_id_y 0
		.amdhsa_system_sgpr_workgroup_id_z 0
		.amdhsa_system_sgpr_workgroup_info 0
		.amdhsa_system_vgpr_workitem_id 2
		.amdhsa_next_free_vgpr 28
		.amdhsa_next_free_sgpr 21
		.amdhsa_reserve_vcc 1
		.amdhsa_float_round_mode_32 0
		.amdhsa_float_round_mode_16_64 0
		.amdhsa_float_denorm_mode_32 3
		.amdhsa_float_denorm_mode_16_64 3
		.amdhsa_dx10_clamp 1
		.amdhsa_ieee_mode 1
		.amdhsa_fp16_overflow 0
		.amdhsa_workgroup_processor_mode 1
		.amdhsa_memory_ordered 1
		.amdhsa_forward_progress 0
		.amdhsa_shared_vgpr_count 0
		.amdhsa_exception_fp_ieee_invalid_op 0
		.amdhsa_exception_fp_denorm_src 0
		.amdhsa_exception_fp_ieee_div_zero 0
		.amdhsa_exception_fp_ieee_overflow 0
		.amdhsa_exception_fp_ieee_underflow 0
		.amdhsa_exception_fp_ieee_inexact 0
		.amdhsa_exception_int_div_zero 0
	.end_amdhsa_kernel
	.section	.text._Z16sort_keys_kernelI22helper_blocked_stripedxLj128ELj1ELj10EEvPKT0_PS1_,"axG",@progbits,_Z16sort_keys_kernelI22helper_blocked_stripedxLj128ELj1ELj10EEvPKT0_PS1_,comdat
.Lfunc_end296:
	.size	_Z16sort_keys_kernelI22helper_blocked_stripedxLj128ELj1ELj10EEvPKT0_PS1_, .Lfunc_end296-_Z16sort_keys_kernelI22helper_blocked_stripedxLj128ELj1ELj10EEvPKT0_PS1_
                                        ; -- End function
	.section	.AMDGPU.csdata,"",@progbits
; Kernel info:
; codeLenInByte = 1432
; NumSgprs: 23
; NumVgprs: 28
; ScratchSize: 0
; MemoryBound: 0
; FloatMode: 240
; IeeeMode: 1
; LDSByteSize: 4112 bytes/workgroup (compile time only)
; SGPRBlocks: 2
; VGPRBlocks: 3
; NumSGPRsForWavesPerEU: 23
; NumVGPRsForWavesPerEU: 28
; Occupancy: 16
; WaveLimiterHint : 0
; COMPUTE_PGM_RSRC2:SCRATCH_EN: 0
; COMPUTE_PGM_RSRC2:USER_SGPR: 15
; COMPUTE_PGM_RSRC2:TRAP_HANDLER: 0
; COMPUTE_PGM_RSRC2:TGID_X_EN: 1
; COMPUTE_PGM_RSRC2:TGID_Y_EN: 0
; COMPUTE_PGM_RSRC2:TGID_Z_EN: 0
; COMPUTE_PGM_RSRC2:TIDIG_COMP_CNT: 2
	.section	.text._Z17sort_pairs_kernelI22helper_blocked_stripedxLj128ELj1ELj10EEvPKT0_PS1_,"axG",@progbits,_Z17sort_pairs_kernelI22helper_blocked_stripedxLj128ELj1ELj10EEvPKT0_PS1_,comdat
	.protected	_Z17sort_pairs_kernelI22helper_blocked_stripedxLj128ELj1ELj10EEvPKT0_PS1_ ; -- Begin function _Z17sort_pairs_kernelI22helper_blocked_stripedxLj128ELj1ELj10EEvPKT0_PS1_
	.globl	_Z17sort_pairs_kernelI22helper_blocked_stripedxLj128ELj1ELj10EEvPKT0_PS1_
	.p2align	8
	.type	_Z17sort_pairs_kernelI22helper_blocked_stripedxLj128ELj1ELj10EEvPKT0_PS1_,@function
_Z17sort_pairs_kernelI22helper_blocked_stripedxLj128ELj1ELj10EEvPKT0_PS1_: ; @_Z17sort_pairs_kernelI22helper_blocked_stripedxLj128ELj1ELj10EEvPKT0_PS1_
; %bb.0:
	s_clause 0x1
	s_load_b128 s[16:19], s[0:1], 0x0
	s_load_b32 s11, s[0:1], 0x1c
	v_and_b32_e32 v8, 0x3ff, v0
	s_mov_b32 s13, 0
	s_lshl_b32 s12, s15, 7
	v_mbcnt_lo_u32_b32 v5, -1, 0
	s_lshl_b64 s[14:15], s[12:13], 3
	v_lshlrev_b32_e32 v1, 3, v8
	s_mov_b32 s12, s13
	v_bfe_u32 v3, v0, 10, 10
	v_bfe_u32 v0, v0, 20, 10
	v_dual_mov_b32 v11, s12 :: v_dual_and_b32 v4, 15, v5
	v_dual_mov_b32 v12, s13 :: v_dual_add_nc_u32 v7, -1, v5
	v_and_b32_e32 v6, 16, v5
	v_and_b32_e32 v13, 3, v5
	s_delay_alu instid0(VALU_DEP_4)
	v_cmp_lt_u32_e64 s2, 1, v4
	v_cmp_lt_u32_e64 s3, 3, v4
	;; [unrolled: 1-line block ×3, first 2 shown]
	s_waitcnt lgkmcnt(0)
	s_add_u32 s0, s16, s14
	s_addc_u32 s1, s17, s15
	s_lshr_b32 s12, s11, 16
	global_load_b64 v[1:2], v1, s[0:1]
	s_mov_b32 s1, s13
	s_mov_b32 s0, s13
	s_delay_alu instid0(SALU_CYCLE_1)
	v_dual_mov_b32 v10, s1 :: v_dual_mov_b32 v9, s0
	v_mad_u32_u24 v0, v0, s12, v3
	s_and_b32 s11, s11, 0xffff
	v_lshlrev_b32_e32 v17, 5, v8
	v_cmp_eq_u32_e64 s1, 0, v4
	v_cmp_eq_u32_e64 s5, 0, v6
	v_cmp_gt_i32_e32 vcc_lo, 0, v7
	v_and_b32_e32 v6, 0x60, v8
	v_lshrrev_b32_e32 v14, 3, v8
	v_mad_u64_u32 v[3:4], null, v0, s11, v[8:9]
	v_cndmask_b32_e32 v7, v7, v5, vcc_lo
	v_cmp_eq_u32_e64 s9, 0, v13
	v_cmp_lt_u32_e64 s10, 1, v13
	v_lshlrev_b32_e32 v13, 2, v8
	v_or_b32_e32 v15, 31, v6
	v_and_b32_e32 v19, 12, v14
	v_or_b32_e32 v0, v5, v6
	v_mad_i32_i24 v21, 0xffffffe4, v8, v17
	v_lshrrev_b32_e32 v24, 5, v3
	v_cmp_eq_u32_e64 s0, 0, v5
	v_cmp_gt_u32_e64 s6, 4, v8
	v_cmp_lt_u32_e64 s7, 31, v8
	v_cmp_eq_u32_e64 s8, 0, v8
	v_or_b32_e32 v18, 16, v17
	v_lshlrev_b32_e32 v20, 2, v7
	v_cmp_eq_u32_e64 s11, v15, v8
	v_add_nc_u32_e32 v22, -4, v19
	v_lshlrev_b32_e32 v23, 3, v0
	v_add_nc_u32_e32 v25, v21, v13
	s_waitcnt vmcnt(0)
	v_add_co_u32 v3, vcc_lo, v1, 1
	v_add_co_ci_u32_e32 v4, vcc_lo, 0, v2, vcc_lo
	v_xor_b32_e32 v2, 0x80000000, v2
	s_branch .LBB297_2
.LBB297_1:                              ;   in Loop: Header=BB297_2 Depth=1
	s_delay_alu instid0(VALU_DEP_1)
	v_lshlrev_b32_e32 v0, 3, v0
	s_barrier
	buffer_gl0_inv
	s_add_i32 s13, s13, 1
	ds_store_b64 v0, v[13:14]
	s_waitcnt lgkmcnt(0)
	s_barrier
	buffer_gl0_inv
	ds_load_b64 v[1:2], v25
	s_waitcnt lgkmcnt(0)
	s_barrier
	buffer_gl0_inv
	ds_store_b64 v0, v[15:16]
	s_waitcnt lgkmcnt(0)
	s_barrier
	buffer_gl0_inv
	ds_load_b64 v[3:4], v25
	s_cmp_lg_u32 s13, 10
	s_cbranch_scc0 .LBB297_14
.LBB297_2:                              ; =>This Loop Header: Depth=1
                                        ;     Child Loop BB297_4 Depth 2
	s_mov_b64 s[16:17], 0
	s_branch .LBB297_4
.LBB297_3:                              ;   in Loop: Header=BB297_4 Depth=2
	s_delay_alu instid0(VALU_DEP_1)
	v_lshlrev_b32_e32 v3, 3, v0
	s_barrier
	buffer_gl0_inv
	s_add_u32 s16, s16, 8
	ds_store_b64 v3, v[13:14]
	s_waitcnt lgkmcnt(0)
	s_barrier
	buffer_gl0_inv
	ds_load_b64 v[1:2], v23
	s_waitcnt lgkmcnt(0)
	s_barrier
	buffer_gl0_inv
	ds_store_b64 v3, v[15:16]
	s_waitcnt lgkmcnt(0)
	s_barrier
	buffer_gl0_inv
	ds_load_b64 v[3:4], v23
	s_addc_u32 s17, s17, 0
	s_waitcnt lgkmcnt(0)
	s_barrier
	buffer_gl0_inv
	s_cbranch_execz .LBB297_1
.LBB297_4:                              ;   Parent Loop BB297_2 Depth=1
                                        ; =>  This Inner Loop Header: Depth=2
	s_delay_alu instid0(VALU_DEP_1)
	v_dual_mov_b32 v14, v2 :: v_dual_mov_b32 v13, v1
	ds_store_2addr_b64 v17, v[11:12], v[9:10] offset0:2 offset1:3
	ds_store_2addr_b64 v18, v[11:12], v[9:10] offset0:2 offset1:3
	s_waitcnt lgkmcnt(0)
	s_barrier
	buffer_gl0_inv
	v_lshrrev_b64 v[1:2], s16, v[13:14]
	; wave barrier
	s_delay_alu instid0(VALU_DEP_1)
	v_and_b32_e32 v0, 1, v1
	v_lshlrev_b32_e32 v2, 30, v1
	v_lshlrev_b32_e32 v5, 29, v1
	;; [unrolled: 1-line block ×4, first 2 shown]
	v_add_co_u32 v0, s12, v0, -1
	s_delay_alu instid0(VALU_DEP_1)
	v_cndmask_b32_e64 v7, 0, 1, s12
	v_not_b32_e32 v27, v2
	v_cmp_gt_i32_e64 s12, 0, v2
	v_not_b32_e32 v2, v5
	v_lshlrev_b32_e32 v16, 26, v1
	v_cmp_ne_u32_e32 vcc_lo, 0, v7
	v_ashrrev_i32_e32 v27, 31, v27
	v_lshlrev_b32_e32 v26, 25, v1
	v_ashrrev_i32_e32 v2, 31, v2
	v_lshlrev_b32_e32 v7, 24, v1
	v_xor_b32_e32 v0, vcc_lo, v0
	v_cmp_gt_i32_e32 vcc_lo, 0, v5
	v_not_b32_e32 v5, v6
	v_xor_b32_e32 v27, s12, v27
	v_cmp_gt_i32_e64 s12, 0, v6
	v_and_b32_e32 v0, exec_lo, v0
	v_not_b32_e32 v6, v15
	v_ashrrev_i32_e32 v5, 31, v5
	v_xor_b32_e32 v2, vcc_lo, v2
	v_cmp_gt_i32_e32 vcc_lo, 0, v15
	v_and_b32_e32 v0, v0, v27
	v_not_b32_e32 v15, v16
	v_ashrrev_i32_e32 v6, 31, v6
	v_xor_b32_e32 v5, s12, v5
	v_cmp_gt_i32_e64 s12, 0, v16
	v_and_b32_e32 v0, v0, v2
	v_not_b32_e32 v2, v26
	v_ashrrev_i32_e32 v15, 31, v15
	v_xor_b32_e32 v6, vcc_lo, v6
	v_cmp_gt_i32_e32 vcc_lo, 0, v26
	v_and_b32_e32 v0, v0, v5
	v_not_b32_e32 v5, v7
	v_ashrrev_i32_e32 v2, 31, v2
	v_xor_b32_e32 v15, s12, v15
	v_cmp_gt_i32_e64 s12, 0, v7
	v_and_b32_e32 v0, v0, v6
	v_ashrrev_i32_e32 v5, 31, v5
	v_xor_b32_e32 v2, vcc_lo, v2
	v_and_b32_e32 v1, 0xff, v1
	s_delay_alu instid0(VALU_DEP_4) | instskip(SKIP_2) | instid1(VALU_DEP_4)
	v_and_b32_e32 v0, v0, v15
	v_mov_b32_e32 v16, v4
	v_xor_b32_e32 v5, s12, v5
	v_lshl_add_u32 v1, v1, 2, v24
	s_delay_alu instid0(VALU_DEP_4) | instskip(NEXT) | instid1(VALU_DEP_2)
	v_dual_mov_b32 v15, v3 :: v_dual_and_b32 v0, v0, v2
	v_lshl_add_u32 v27, v1, 2, 16
	s_delay_alu instid0(VALU_DEP_2) | instskip(NEXT) | instid1(VALU_DEP_1)
	v_and_b32_e32 v0, v0, v5
	v_mbcnt_lo_u32_b32 v26, v0, 0
	v_cmp_ne_u32_e64 s12, 0, v0
	s_delay_alu instid0(VALU_DEP_2) | instskip(NEXT) | instid1(VALU_DEP_2)
	v_cmp_eq_u32_e32 vcc_lo, 0, v26
	s_and_b32 s20, s12, vcc_lo
	s_delay_alu instid0(SALU_CYCLE_1)
	s_and_saveexec_b32 s12, s20
	s_cbranch_execz .LBB297_6
; %bb.5:                                ;   in Loop: Header=BB297_4 Depth=2
	v_bcnt_u32_b32 v0, v0, 0
	ds_store_b32 v27, v0
.LBB297_6:                              ;   in Loop: Header=BB297_4 Depth=2
	s_or_b32 exec_lo, exec_lo, s12
	; wave barrier
	s_waitcnt lgkmcnt(0)
	s_barrier
	buffer_gl0_inv
	ds_load_2addr_b64 v[4:7], v17 offset0:2 offset1:3
	ds_load_2addr_b64 v[0:3], v18 offset0:2 offset1:3
	s_waitcnt lgkmcnt(1)
	v_add_nc_u32_e32 v28, v5, v4
	s_delay_alu instid0(VALU_DEP_1) | instskip(SKIP_1) | instid1(VALU_DEP_1)
	v_add3_u32 v28, v28, v6, v7
	s_waitcnt lgkmcnt(0)
	v_add3_u32 v28, v28, v0, v1
	s_delay_alu instid0(VALU_DEP_1) | instskip(NEXT) | instid1(VALU_DEP_1)
	v_add3_u32 v3, v28, v2, v3
	v_mov_b32_dpp v28, v3 row_shr:1 row_mask:0xf bank_mask:0xf
	s_delay_alu instid0(VALU_DEP_1) | instskip(NEXT) | instid1(VALU_DEP_1)
	v_cndmask_b32_e64 v28, v28, 0, s1
	v_add_nc_u32_e32 v3, v28, v3
	s_delay_alu instid0(VALU_DEP_1) | instskip(NEXT) | instid1(VALU_DEP_1)
	v_mov_b32_dpp v28, v3 row_shr:2 row_mask:0xf bank_mask:0xf
	v_cndmask_b32_e64 v28, 0, v28, s2
	s_delay_alu instid0(VALU_DEP_1) | instskip(NEXT) | instid1(VALU_DEP_1)
	v_add_nc_u32_e32 v3, v3, v28
	v_mov_b32_dpp v28, v3 row_shr:4 row_mask:0xf bank_mask:0xf
	s_delay_alu instid0(VALU_DEP_1) | instskip(NEXT) | instid1(VALU_DEP_1)
	v_cndmask_b32_e64 v28, 0, v28, s3
	v_add_nc_u32_e32 v3, v3, v28
	s_delay_alu instid0(VALU_DEP_1) | instskip(NEXT) | instid1(VALU_DEP_1)
	v_mov_b32_dpp v28, v3 row_shr:8 row_mask:0xf bank_mask:0xf
	v_cndmask_b32_e64 v28, 0, v28, s4
	s_delay_alu instid0(VALU_DEP_1) | instskip(SKIP_3) | instid1(VALU_DEP_1)
	v_add_nc_u32_e32 v3, v3, v28
	ds_swizzle_b32 v28, v3 offset:swizzle(BROADCAST,32,15)
	s_waitcnt lgkmcnt(0)
	v_cndmask_b32_e64 v28, v28, 0, s5
	v_add_nc_u32_e32 v3, v3, v28
	s_and_saveexec_b32 s12, s11
	s_cbranch_execz .LBB297_8
; %bb.7:                                ;   in Loop: Header=BB297_4 Depth=2
	ds_store_b32 v19, v3
.LBB297_8:                              ;   in Loop: Header=BB297_4 Depth=2
	s_or_b32 exec_lo, exec_lo, s12
	s_waitcnt lgkmcnt(0)
	s_barrier
	buffer_gl0_inv
	s_and_saveexec_b32 s12, s6
	s_cbranch_execz .LBB297_10
; %bb.9:                                ;   in Loop: Header=BB297_4 Depth=2
	ds_load_b32 v28, v21
	s_waitcnt lgkmcnt(0)
	v_mov_b32_dpp v29, v28 row_shr:1 row_mask:0xf bank_mask:0xf
	s_delay_alu instid0(VALU_DEP_1) | instskip(NEXT) | instid1(VALU_DEP_1)
	v_cndmask_b32_e64 v29, v29, 0, s9
	v_add_nc_u32_e32 v28, v29, v28
	s_delay_alu instid0(VALU_DEP_1) | instskip(NEXT) | instid1(VALU_DEP_1)
	v_mov_b32_dpp v29, v28 row_shr:2 row_mask:0xf bank_mask:0xf
	v_cndmask_b32_e64 v29, 0, v29, s10
	s_delay_alu instid0(VALU_DEP_1)
	v_add_nc_u32_e32 v28, v28, v29
	ds_store_b32 v21, v28
.LBB297_10:                             ;   in Loop: Header=BB297_4 Depth=2
	s_or_b32 exec_lo, exec_lo, s12
	v_mov_b32_e32 v28, 0
	s_waitcnt lgkmcnt(0)
	s_barrier
	buffer_gl0_inv
	s_and_saveexec_b32 s12, s7
	s_cbranch_execz .LBB297_12
; %bb.11:                               ;   in Loop: Header=BB297_4 Depth=2
	ds_load_b32 v28, v22
.LBB297_12:                             ;   in Loop: Header=BB297_4 Depth=2
	s_or_b32 exec_lo, exec_lo, s12
	s_waitcnt lgkmcnt(0)
	v_add_nc_u32_e32 v3, v28, v3
	s_cmp_gt_u32 s16, 55
	ds_bpermute_b32 v3, v20, v3
	s_waitcnt lgkmcnt(0)
	v_cndmask_b32_e64 v3, v3, v28, s0
	s_delay_alu instid0(VALU_DEP_1) | instskip(NEXT) | instid1(VALU_DEP_1)
	v_cndmask_b32_e64 v3, v3, 0, s8
	v_add_nc_u32_e32 v4, v3, v4
	s_delay_alu instid0(VALU_DEP_1) | instskip(NEXT) | instid1(VALU_DEP_1)
	v_add_nc_u32_e32 v5, v4, v5
	v_add_nc_u32_e32 v6, v5, v6
	s_delay_alu instid0(VALU_DEP_1) | instskip(NEXT) | instid1(VALU_DEP_1)
	v_add_nc_u32_e32 v28, v6, v7
	;; [unrolled: 3-line block ×3, first 2 shown]
	v_add_nc_u32_e32 v1, v0, v2
	ds_store_2addr_b64 v17, v[3:4], v[5:6] offset0:2 offset1:3
	ds_store_2addr_b64 v18, v[28:29], v[0:1] offset0:2 offset1:3
	s_waitcnt lgkmcnt(0)
	s_barrier
	buffer_gl0_inv
	ds_load_b32 v0, v27
	s_waitcnt lgkmcnt(0)
	v_add_nc_u32_e32 v0, v0, v26
	s_cbranch_scc0 .LBB297_3
; %bb.13:                               ;   in Loop: Header=BB297_2 Depth=1
                                        ; implicit-def: $vgpr3_vgpr4
                                        ; implicit-def: $vgpr1_vgpr2
                                        ; implicit-def: $sgpr16_sgpr17
	s_branch .LBB297_1
.LBB297_14:
	s_waitcnt lgkmcnt(0)
	v_add_co_u32 v0, vcc_lo, v3, v1
	v_add_co_ci_u32_e32 v1, vcc_lo, v4, v2, vcc_lo
	v_lshlrev_b32_e32 v2, 3, v8
	s_delay_alu instid0(VALU_DEP_3) | instskip(NEXT) | instid1(VALU_DEP_3)
	v_add_co_u32 v0, vcc_lo, v0, 0
	v_add_co_ci_u32_e32 v1, vcc_lo, 0x80000000, v1, vcc_lo
	s_add_u32 s0, s18, s14
	s_addc_u32 s1, s19, s15
	global_store_b64 v2, v[0:1], s[0:1]
	s_nop 0
	s_sendmsg sendmsg(MSG_DEALLOC_VGPRS)
	s_endpgm
	.section	.rodata,"a",@progbits
	.p2align	6, 0x0
	.amdhsa_kernel _Z17sort_pairs_kernelI22helper_blocked_stripedxLj128ELj1ELj10EEvPKT0_PS1_
		.amdhsa_group_segment_fixed_size 4112
		.amdhsa_private_segment_fixed_size 0
		.amdhsa_kernarg_size 272
		.amdhsa_user_sgpr_count 15
		.amdhsa_user_sgpr_dispatch_ptr 0
		.amdhsa_user_sgpr_queue_ptr 0
		.amdhsa_user_sgpr_kernarg_segment_ptr 1
		.amdhsa_user_sgpr_dispatch_id 0
		.amdhsa_user_sgpr_private_segment_size 0
		.amdhsa_wavefront_size32 1
		.amdhsa_uses_dynamic_stack 0
		.amdhsa_enable_private_segment 0
		.amdhsa_system_sgpr_workgroup_id_x 1
		.amdhsa_system_sgpr_workgroup_id_y 0
		.amdhsa_system_sgpr_workgroup_id_z 0
		.amdhsa_system_sgpr_workgroup_info 0
		.amdhsa_system_vgpr_workitem_id 2
		.amdhsa_next_free_vgpr 30
		.amdhsa_next_free_sgpr 21
		.amdhsa_reserve_vcc 1
		.amdhsa_float_round_mode_32 0
		.amdhsa_float_round_mode_16_64 0
		.amdhsa_float_denorm_mode_32 3
		.amdhsa_float_denorm_mode_16_64 3
		.amdhsa_dx10_clamp 1
		.amdhsa_ieee_mode 1
		.amdhsa_fp16_overflow 0
		.amdhsa_workgroup_processor_mode 1
		.amdhsa_memory_ordered 1
		.amdhsa_forward_progress 0
		.amdhsa_shared_vgpr_count 0
		.amdhsa_exception_fp_ieee_invalid_op 0
		.amdhsa_exception_fp_denorm_src 0
		.amdhsa_exception_fp_ieee_div_zero 0
		.amdhsa_exception_fp_ieee_overflow 0
		.amdhsa_exception_fp_ieee_underflow 0
		.amdhsa_exception_fp_ieee_inexact 0
		.amdhsa_exception_int_div_zero 0
	.end_amdhsa_kernel
	.section	.text._Z17sort_pairs_kernelI22helper_blocked_stripedxLj128ELj1ELj10EEvPKT0_PS1_,"axG",@progbits,_Z17sort_pairs_kernelI22helper_blocked_stripedxLj128ELj1ELj10EEvPKT0_PS1_,comdat
.Lfunc_end297:
	.size	_Z17sort_pairs_kernelI22helper_blocked_stripedxLj128ELj1ELj10EEvPKT0_PS1_, .Lfunc_end297-_Z17sort_pairs_kernelI22helper_blocked_stripedxLj128ELj1ELj10EEvPKT0_PS1_
                                        ; -- End function
	.section	.AMDGPU.csdata,"",@progbits
; Kernel info:
; codeLenInByte = 1568
; NumSgprs: 23
; NumVgprs: 30
; ScratchSize: 0
; MemoryBound: 0
; FloatMode: 240
; IeeeMode: 1
; LDSByteSize: 4112 bytes/workgroup (compile time only)
; SGPRBlocks: 2
; VGPRBlocks: 3
; NumSGPRsForWavesPerEU: 23
; NumVGPRsForWavesPerEU: 30
; Occupancy: 16
; WaveLimiterHint : 0
; COMPUTE_PGM_RSRC2:SCRATCH_EN: 0
; COMPUTE_PGM_RSRC2:USER_SGPR: 15
; COMPUTE_PGM_RSRC2:TRAP_HANDLER: 0
; COMPUTE_PGM_RSRC2:TGID_X_EN: 1
; COMPUTE_PGM_RSRC2:TGID_Y_EN: 0
; COMPUTE_PGM_RSRC2:TGID_Z_EN: 0
; COMPUTE_PGM_RSRC2:TIDIG_COMP_CNT: 2
	.section	.text._Z16sort_keys_kernelI22helper_blocked_stripedxLj128ELj3ELj10EEvPKT0_PS1_,"axG",@progbits,_Z16sort_keys_kernelI22helper_blocked_stripedxLj128ELj3ELj10EEvPKT0_PS1_,comdat
	.protected	_Z16sort_keys_kernelI22helper_blocked_stripedxLj128ELj3ELj10EEvPKT0_PS1_ ; -- Begin function _Z16sort_keys_kernelI22helper_blocked_stripedxLj128ELj3ELj10EEvPKT0_PS1_
	.globl	_Z16sort_keys_kernelI22helper_blocked_stripedxLj128ELj3ELj10EEvPKT0_PS1_
	.p2align	8
	.type	_Z16sort_keys_kernelI22helper_blocked_stripedxLj128ELj3ELj10EEvPKT0_PS1_,@function
_Z16sort_keys_kernelI22helper_blocked_stripedxLj128ELj3ELj10EEvPKT0_PS1_: ; @_Z16sort_keys_kernelI22helper_blocked_stripedxLj128ELj3ELj10EEvPKT0_PS1_
; %bb.0:
	s_clause 0x1
	s_load_b128 s[16:19], s[0:1], 0x0
	s_load_b32 s2, s[0:1], 0x1c
	s_mov_b32 s13, 0
	s_mul_i32 s12, s15, 0x180
	v_bfe_u32 v9, v0, 10, 10
	s_lshl_b64 s[14:15], s[12:13], 3
	s_mov_b32 s12, s13
	v_and_b32_e32 v8, 0x3ff, v0
	v_bfe_u32 v0, v0, 20, 10
	v_mbcnt_lo_u32_b32 v12, -1, 0
	s_delay_alu instid0(VALU_DEP_3) | instskip(NEXT) | instid1(VALU_DEP_2)
	v_mul_u32_u24_e32 v1, 3, v8
	v_cmp_eq_u32_e64 s8, 0, v12
	s_delay_alu instid0(VALU_DEP_2)
	v_lshlrev_b32_e32 v1, 3, v1
	s_waitcnt lgkmcnt(0)
	s_add_u32 s0, s16, s14
	s_addc_u32 s1, s17, s15
	s_mov_b32 s16, s13
	s_clause 0x1
	global_load_b64 v[5:6], v1, s[0:1] offset:16
	global_load_b128 v[1:4], v1, s[0:1]
	s_lshr_b32 s0, s2, 16
	s_mov_b32 s17, s13
	v_mad_u32_u24 v0, v0, s0, v9
	s_and_b32 s0, s2, 0xffff
	s_delay_alu instid0(VALU_DEP_1) | instid1(SALU_CYCLE_1)
	v_mad_u64_u32 v[9:10], null, v0, s0, v[8:9]
	v_and_b32_e32 v10, 15, v12
	s_delay_alu instid0(VALU_DEP_1) | instskip(NEXT) | instid1(VALU_DEP_3)
	v_cmp_eq_u32_e64 s0, 0, v10
	v_lshrrev_b32_e32 v23, 5, v9
	v_add_nc_u32_e32 v9, -1, v12
	v_cmp_lt_u32_e64 s1, 1, v10
	v_cmp_lt_u32_e64 s2, 3, v10
	;; [unrolled: 1-line block ×3, first 2 shown]
	s_delay_alu instid0(VALU_DEP_4) | instskip(SKIP_1) | instid1(VALU_DEP_1)
	v_cmp_gt_i32_e32 vcc_lo, 0, v9
	v_cndmask_b32_e32 v9, v9, v12, vcc_lo
	v_lshlrev_b32_e32 v24, 2, v9
	v_and_b32_e32 v9, 3, v12
	s_delay_alu instid0(VALU_DEP_1)
	v_cmp_eq_u32_e64 s10, 0, v9
	v_cmp_lt_u32_e64 s11, 1, v9
	v_mov_b32_e32 v9, s12
	v_lshrrev_b32_e32 v7, 5, v8
	v_lshlrev_b32_e32 v19, 5, v8
	v_cmp_gt_u32_e64 s6, 4, v8
	v_cmp_lt_u32_e64 s7, 31, v8
	v_cmp_eq_u32_e64 s9, 0, v8
	v_mul_u32_u24_e32 v11, 0x60, v7
	v_lshlrev_b32_e32 v25, 2, v7
	v_mad_i32_i24 v26, 0xffffffe4, v8, v19
	v_or_b32_e32 v22, 16, v19
	v_mov_b32_e32 v10, s13
	v_or_b32_e32 v0, v12, v11
	v_lshlrev_b32_e32 v13, 3, v11
	v_and_b32_e32 v11, 16, v12
	v_add_nc_u32_e32 v27, -4, v25
	s_delay_alu instid0(VALU_DEP_4) | instskip(SKIP_3) | instid1(VALU_DEP_3)
	v_lshlrev_b32_e32 v21, 3, v0
	v_and_b32_e32 v0, 0x60, v8
	v_mad_u32_u24 v20, v12, 24, v13
	v_cmp_eq_u32_e64 s4, 0, v11
	v_or_b32_e32 v13, 31, v0
	v_mul_u32_u24_e32 v0, 3, v0
	s_delay_alu instid0(VALU_DEP_2) | instskip(NEXT) | instid1(VALU_DEP_2)
	v_cmp_eq_u32_e64 s5, v13, v8
	v_or_b32_e32 v0, v12, v0
	v_dual_mov_b32 v11, s16 :: v_dual_mov_b32 v12, s17
	s_delay_alu instid0(VALU_DEP_2) | instskip(SKIP_1) | instid1(VALU_DEP_1)
	v_lshlrev_b32_e32 v28, 3, v0
	v_lshlrev_b32_e32 v0, 2, v8
	v_add_nc_u32_e32 v29, v26, v0
	s_branch .LBB298_2
.LBB298_1:                              ;   in Loop: Header=BB298_2 Depth=1
	v_lshlrev_b32_e32 v0, 3, v30
	v_lshlrev_b32_e32 v1, 3, v7
	;; [unrolled: 1-line block ×3, first 2 shown]
	s_barrier
	buffer_gl0_inv
	ds_store_b64 v0, v[13:14]
	ds_store_b64 v1, v[17:18]
	;; [unrolled: 1-line block ×3, first 2 shown]
	s_waitcnt lgkmcnt(0)
	s_barrier
	buffer_gl0_inv
	ds_load_2addr_stride64_b64 v[1:4], v29 offset1:2
	ds_load_b64 v[5:6], v29 offset:2048
	s_add_i32 s13, s13, 1
	s_delay_alu instid0(SALU_CYCLE_1)
	s_cmp_eq_u32 s13, 10
	s_waitcnt lgkmcnt(1)
	v_xor_b32_e32 v2, 0x80000000, v2
	v_xor_b32_e32 v4, 0x80000000, v4
	s_waitcnt lgkmcnt(0)
	v_xor_b32_e32 v6, 0x80000000, v6
	s_cbranch_scc1 .LBB298_18
.LBB298_2:                              ; =>This Loop Header: Depth=1
                                        ;     Child Loop BB298_4 Depth 2
	s_waitcnt vmcnt(0)
	v_xor_b32_e32 v2, 0x80000000, v2
	v_xor_b32_e32 v4, 0x80000000, v4
	;; [unrolled: 1-line block ×3, first 2 shown]
	s_mov_b64 s[16:17], 0
	ds_store_2addr_b64 v20, v[1:2], v[3:4] offset1:1
	ds_store_b64 v20, v[5:6] offset:16
	; wave barrier
	ds_load_2addr_b64 v[0:3], v21 offset1:32
	ds_load_b64 v[4:5], v21 offset:512
	s_waitcnt lgkmcnt(0)
	s_barrier
	buffer_gl0_inv
	; wave barrier
	s_barrier
	s_branch .LBB298_4
.LBB298_3:                              ;   in Loop: Header=BB298_4 Depth=2
	v_lshlrev_b32_e32 v0, 3, v30
	v_lshlrev_b32_e32 v1, 3, v7
	s_delay_alu instid0(VALU_DEP_3)
	v_lshlrev_b32_e32 v2, 3, v6
	s_barrier
	buffer_gl0_inv
	ds_store_b64 v0, v[13:14]
	ds_store_b64 v1, v[17:18]
	;; [unrolled: 1-line block ×3, first 2 shown]
	s_waitcnt lgkmcnt(0)
	s_barrier
	buffer_gl0_inv
	ds_load_2addr_b64 v[0:3], v28 offset1:32
	ds_load_b64 v[4:5], v28 offset:512
	s_add_u32 s16, s16, 8
	s_addc_u32 s17, s17, 0
	s_waitcnt lgkmcnt(0)
	s_barrier
	s_cbranch_execz .LBB298_1
.LBB298_4:                              ;   Parent Loop BB298_2 Depth=1
                                        ; =>  This Inner Loop Header: Depth=2
	v_dual_mov_b32 v14, v1 :: v_dual_mov_b32 v13, v0
	buffer_gl0_inv
	ds_store_2addr_b64 v19, v[9:10], v[11:12] offset0:2 offset1:3
	ds_store_2addr_b64 v22, v[9:10], v[11:12] offset0:2 offset1:3
	s_waitcnt lgkmcnt(0)
	s_barrier
	v_lshrrev_b64 v[6:7], s16, v[13:14]
	buffer_gl0_inv
	; wave barrier
	v_and_b32_e32 v0, 1, v6
	v_lshlrev_b32_e32 v1, 30, v6
	v_lshlrev_b32_e32 v7, 29, v6
	;; [unrolled: 1-line block ×4, first 2 shown]
	v_add_co_u32 v0, s12, v0, -1
	s_delay_alu instid0(VALU_DEP_1)
	v_cndmask_b32_e64 v16, 0, 1, s12
	v_not_b32_e32 v31, v1
	v_cmp_gt_i32_e64 s12, 0, v1
	v_not_b32_e32 v1, v7
	v_lshlrev_b32_e32 v18, 26, v6
	v_cmp_ne_u32_e32 vcc_lo, 0, v16
	v_ashrrev_i32_e32 v31, 31, v31
	v_lshlrev_b32_e32 v30, 25, v6
	v_ashrrev_i32_e32 v1, 31, v1
	v_lshlrev_b32_e32 v16, 24, v6
	v_xor_b32_e32 v0, vcc_lo, v0
	v_cmp_gt_i32_e32 vcc_lo, 0, v7
	v_not_b32_e32 v7, v15
	v_xor_b32_e32 v31, s12, v31
	v_cmp_gt_i32_e64 s12, 0, v15
	v_and_b32_e32 v0, exec_lo, v0
	v_not_b32_e32 v15, v17
	v_ashrrev_i32_e32 v7, 31, v7
	v_xor_b32_e32 v1, vcc_lo, v1
	v_cmp_gt_i32_e32 vcc_lo, 0, v17
	v_and_b32_e32 v0, v0, v31
	v_not_b32_e32 v17, v18
	v_ashrrev_i32_e32 v15, 31, v15
	v_xor_b32_e32 v7, s12, v7
	v_cmp_gt_i32_e64 s12, 0, v18
	v_and_b32_e32 v0, v0, v1
	v_not_b32_e32 v1, v30
	v_ashrrev_i32_e32 v17, 31, v17
	v_xor_b32_e32 v15, vcc_lo, v15
	v_cmp_gt_i32_e32 vcc_lo, 0, v30
	v_and_b32_e32 v0, v0, v7
	v_not_b32_e32 v7, v16
	v_ashrrev_i32_e32 v1, 31, v1
	v_xor_b32_e32 v17, s12, v17
	v_cmp_gt_i32_e64 s12, 0, v16
	v_and_b32_e32 v0, v0, v15
	v_ashrrev_i32_e32 v7, 31, v7
	v_xor_b32_e32 v1, vcc_lo, v1
	v_dual_mov_b32 v16, v5 :: v_dual_mov_b32 v15, v4
	s_delay_alu instid0(VALU_DEP_4) | instskip(NEXT) | instid1(VALU_DEP_4)
	v_and_b32_e32 v0, v0, v17
	v_xor_b32_e32 v7, s12, v7
	v_dual_mov_b32 v18, v3 :: v_dual_mov_b32 v17, v2
	s_delay_alu instid0(VALU_DEP_3) | instskip(SKIP_1) | instid1(VALU_DEP_2)
	v_and_b32_e32 v0, v0, v1
	v_and_b32_e32 v1, 0xff, v6
	;; [unrolled: 1-line block ×3, first 2 shown]
	s_delay_alu instid0(VALU_DEP_2) | instskip(NEXT) | instid1(VALU_DEP_2)
	v_lshl_add_u32 v1, v1, 2, v23
	v_mbcnt_lo_u32_b32 v30, v0, 0
	v_cmp_ne_u32_e64 s12, 0, v0
	s_delay_alu instid0(VALU_DEP_3) | instskip(NEXT) | instid1(VALU_DEP_3)
	v_lshl_add_u32 v31, v1, 2, 16
	v_cmp_eq_u32_e32 vcc_lo, 0, v30
	s_delay_alu instid0(VALU_DEP_3) | instskip(NEXT) | instid1(SALU_CYCLE_1)
	s_and_b32 s20, s12, vcc_lo
	s_and_saveexec_b32 s12, s20
	s_cbranch_execz .LBB298_6
; %bb.5:                                ;   in Loop: Header=BB298_4 Depth=2
	v_bcnt_u32_b32 v0, v0, 0
	ds_store_b32 v31, v0
.LBB298_6:                              ;   in Loop: Header=BB298_4 Depth=2
	s_or_b32 exec_lo, exec_lo, s12
	v_lshrrev_b64 v[0:1], s16, v[17:18]
	; wave barrier
	s_delay_alu instid0(VALU_DEP_1)
	v_and_b32_e32 v2, 1, v0
	v_lshlrev_b32_e32 v3, 30, v0
	v_lshlrev_b32_e32 v4, 29, v0
	;; [unrolled: 1-line block ×4, first 2 shown]
	v_add_co_u32 v2, s12, v2, -1
	s_delay_alu instid0(VALU_DEP_1)
	v_cndmask_b32_e64 v6, 0, 1, s12
	v_not_b32_e32 v34, v3
	v_cmp_gt_i32_e64 s12, 0, v3
	v_not_b32_e32 v3, v4
	v_lshlrev_b32_e32 v32, 26, v0
	v_cmp_ne_u32_e32 vcc_lo, 0, v6
	v_ashrrev_i32_e32 v6, 31, v34
	v_lshlrev_b32_e32 v33, 25, v0
	v_ashrrev_i32_e32 v3, 31, v3
	v_and_b32_e32 v1, 0xff, v0
	v_xor_b32_e32 v2, vcc_lo, v2
	v_cmp_gt_i32_e32 vcc_lo, 0, v4
	v_not_b32_e32 v4, v5
	v_xor_b32_e32 v6, s12, v6
	v_cmp_gt_i32_e64 s12, 0, v5
	v_and_b32_e32 v2, exec_lo, v2
	v_not_b32_e32 v5, v7
	v_ashrrev_i32_e32 v4, 31, v4
	v_xor_b32_e32 v3, vcc_lo, v3
	v_cmp_gt_i32_e32 vcc_lo, 0, v7
	v_and_b32_e32 v2, v2, v6
	v_not_b32_e32 v6, v32
	v_ashrrev_i32_e32 v5, 31, v5
	v_xor_b32_e32 v4, s12, v4
	v_lshlrev_b32_e32 v0, 24, v0
	v_and_b32_e32 v2, v2, v3
	v_cmp_gt_i32_e64 s12, 0, v32
	v_not_b32_e32 v3, v33
	v_ashrrev_i32_e32 v6, 31, v6
	v_xor_b32_e32 v5, vcc_lo, v5
	v_and_b32_e32 v2, v2, v4
	v_cmp_gt_i32_e32 vcc_lo, 0, v33
	v_not_b32_e32 v4, v0
	v_ashrrev_i32_e32 v3, 31, v3
	v_xor_b32_e32 v6, s12, v6
	v_and_b32_e32 v2, v2, v5
	v_lshlrev_b32_e32 v1, 2, v1
	v_cmp_gt_i32_e64 s12, 0, v0
	v_ashrrev_i32_e32 v0, 31, v4
	v_xor_b32_e32 v3, vcc_lo, v3
	v_and_b32_e32 v2, v2, v6
	v_add_lshl_u32 v1, v1, v23, 2
	s_delay_alu instid0(VALU_DEP_4) | instskip(NEXT) | instid1(VALU_DEP_3)
	v_xor_b32_e32 v0, s12, v0
	v_and_b32_e32 v2, v2, v3
	ds_load_b32 v32, v1 offset:16
	v_add_nc_u32_e32 v34, 16, v1
	; wave barrier
	v_and_b32_e32 v0, v2, v0
	s_delay_alu instid0(VALU_DEP_1) | instskip(SKIP_1) | instid1(VALU_DEP_2)
	v_mbcnt_lo_u32_b32 v33, v0, 0
	v_cmp_ne_u32_e64 s12, 0, v0
	v_cmp_eq_u32_e32 vcc_lo, 0, v33
	s_delay_alu instid0(VALU_DEP_2) | instskip(NEXT) | instid1(SALU_CYCLE_1)
	s_and_b32 s20, s12, vcc_lo
	s_and_saveexec_b32 s12, s20
	s_cbranch_execz .LBB298_8
; %bb.7:                                ;   in Loop: Header=BB298_4 Depth=2
	s_waitcnt lgkmcnt(0)
	v_bcnt_u32_b32 v0, v0, v32
	ds_store_b32 v34, v0
.LBB298_8:                              ;   in Loop: Header=BB298_4 Depth=2
	s_or_b32 exec_lo, exec_lo, s12
	v_lshrrev_b64 v[0:1], s16, v[15:16]
	; wave barrier
	s_delay_alu instid0(VALU_DEP_1)
	v_and_b32_e32 v2, 1, v0
	v_lshlrev_b32_e32 v3, 30, v0
	v_lshlrev_b32_e32 v4, 29, v0
	;; [unrolled: 1-line block ×4, first 2 shown]
	v_add_co_u32 v2, s12, v2, -1
	s_delay_alu instid0(VALU_DEP_1)
	v_cndmask_b32_e64 v6, 0, 1, s12
	v_not_b32_e32 v37, v3
	v_cmp_gt_i32_e64 s12, 0, v3
	v_not_b32_e32 v3, v4
	v_lshlrev_b32_e32 v35, 26, v0
	v_cmp_ne_u32_e32 vcc_lo, 0, v6
	v_ashrrev_i32_e32 v6, 31, v37
	v_lshlrev_b32_e32 v36, 25, v0
	v_ashrrev_i32_e32 v3, 31, v3
	v_and_b32_e32 v1, 0xff, v0
	v_xor_b32_e32 v2, vcc_lo, v2
	v_cmp_gt_i32_e32 vcc_lo, 0, v4
	v_not_b32_e32 v4, v5
	v_xor_b32_e32 v6, s12, v6
	v_cmp_gt_i32_e64 s12, 0, v5
	v_and_b32_e32 v2, exec_lo, v2
	v_not_b32_e32 v5, v7
	v_ashrrev_i32_e32 v4, 31, v4
	v_xor_b32_e32 v3, vcc_lo, v3
	v_cmp_gt_i32_e32 vcc_lo, 0, v7
	v_and_b32_e32 v2, v2, v6
	v_not_b32_e32 v6, v35
	v_ashrrev_i32_e32 v5, 31, v5
	v_xor_b32_e32 v4, s12, v4
	v_lshlrev_b32_e32 v0, 24, v0
	v_and_b32_e32 v2, v2, v3
	v_cmp_gt_i32_e64 s12, 0, v35
	v_not_b32_e32 v3, v36
	v_ashrrev_i32_e32 v6, 31, v6
	v_xor_b32_e32 v5, vcc_lo, v5
	v_and_b32_e32 v2, v2, v4
	v_cmp_gt_i32_e32 vcc_lo, 0, v36
	v_not_b32_e32 v4, v0
	v_ashrrev_i32_e32 v3, 31, v3
	v_xor_b32_e32 v6, s12, v6
	v_and_b32_e32 v2, v2, v5
	v_lshlrev_b32_e32 v1, 2, v1
	v_cmp_gt_i32_e64 s12, 0, v0
	v_ashrrev_i32_e32 v0, 31, v4
	v_xor_b32_e32 v3, vcc_lo, v3
	v_and_b32_e32 v2, v2, v6
	v_add_lshl_u32 v1, v1, v23, 2
	s_delay_alu instid0(VALU_DEP_4) | instskip(NEXT) | instid1(VALU_DEP_3)
	v_xor_b32_e32 v0, s12, v0
	v_and_b32_e32 v2, v2, v3
	ds_load_b32 v35, v1 offset:16
	v_add_nc_u32_e32 v37, 16, v1
	; wave barrier
	v_and_b32_e32 v0, v2, v0
	s_delay_alu instid0(VALU_DEP_1) | instskip(SKIP_1) | instid1(VALU_DEP_2)
	v_mbcnt_lo_u32_b32 v36, v0, 0
	v_cmp_ne_u32_e64 s12, 0, v0
	v_cmp_eq_u32_e32 vcc_lo, 0, v36
	s_delay_alu instid0(VALU_DEP_2) | instskip(NEXT) | instid1(SALU_CYCLE_1)
	s_and_b32 s20, s12, vcc_lo
	s_and_saveexec_b32 s12, s20
	s_cbranch_execz .LBB298_10
; %bb.9:                                ;   in Loop: Header=BB298_4 Depth=2
	s_waitcnt lgkmcnt(0)
	v_bcnt_u32_b32 v0, v0, v35
	ds_store_b32 v37, v0
.LBB298_10:                             ;   in Loop: Header=BB298_4 Depth=2
	s_or_b32 exec_lo, exec_lo, s12
	; wave barrier
	s_waitcnt lgkmcnt(0)
	s_barrier
	buffer_gl0_inv
	ds_load_2addr_b64 v[4:7], v19 offset0:2 offset1:3
	ds_load_2addr_b64 v[0:3], v22 offset0:2 offset1:3
	s_waitcnt lgkmcnt(1)
	v_add_nc_u32_e32 v38, v5, v4
	s_delay_alu instid0(VALU_DEP_1) | instskip(SKIP_1) | instid1(VALU_DEP_1)
	v_add3_u32 v38, v38, v6, v7
	s_waitcnt lgkmcnt(0)
	v_add3_u32 v38, v38, v0, v1
	s_delay_alu instid0(VALU_DEP_1) | instskip(NEXT) | instid1(VALU_DEP_1)
	v_add3_u32 v3, v38, v2, v3
	v_mov_b32_dpp v38, v3 row_shr:1 row_mask:0xf bank_mask:0xf
	s_delay_alu instid0(VALU_DEP_1) | instskip(NEXT) | instid1(VALU_DEP_1)
	v_cndmask_b32_e64 v38, v38, 0, s0
	v_add_nc_u32_e32 v3, v38, v3
	s_delay_alu instid0(VALU_DEP_1) | instskip(NEXT) | instid1(VALU_DEP_1)
	v_mov_b32_dpp v38, v3 row_shr:2 row_mask:0xf bank_mask:0xf
	v_cndmask_b32_e64 v38, 0, v38, s1
	s_delay_alu instid0(VALU_DEP_1) | instskip(NEXT) | instid1(VALU_DEP_1)
	v_add_nc_u32_e32 v3, v3, v38
	v_mov_b32_dpp v38, v3 row_shr:4 row_mask:0xf bank_mask:0xf
	s_delay_alu instid0(VALU_DEP_1) | instskip(NEXT) | instid1(VALU_DEP_1)
	v_cndmask_b32_e64 v38, 0, v38, s2
	v_add_nc_u32_e32 v3, v3, v38
	s_delay_alu instid0(VALU_DEP_1) | instskip(NEXT) | instid1(VALU_DEP_1)
	v_mov_b32_dpp v38, v3 row_shr:8 row_mask:0xf bank_mask:0xf
	v_cndmask_b32_e64 v38, 0, v38, s3
	s_delay_alu instid0(VALU_DEP_1) | instskip(SKIP_3) | instid1(VALU_DEP_1)
	v_add_nc_u32_e32 v3, v3, v38
	ds_swizzle_b32 v38, v3 offset:swizzle(BROADCAST,32,15)
	s_waitcnt lgkmcnt(0)
	v_cndmask_b32_e64 v38, v38, 0, s4
	v_add_nc_u32_e32 v3, v3, v38
	s_and_saveexec_b32 s12, s5
	s_cbranch_execz .LBB298_12
; %bb.11:                               ;   in Loop: Header=BB298_4 Depth=2
	ds_store_b32 v25, v3
.LBB298_12:                             ;   in Loop: Header=BB298_4 Depth=2
	s_or_b32 exec_lo, exec_lo, s12
	s_waitcnt lgkmcnt(0)
	s_barrier
	buffer_gl0_inv
	s_and_saveexec_b32 s12, s6
	s_cbranch_execz .LBB298_14
; %bb.13:                               ;   in Loop: Header=BB298_4 Depth=2
	ds_load_b32 v38, v26
	s_waitcnt lgkmcnt(0)
	v_mov_b32_dpp v39, v38 row_shr:1 row_mask:0xf bank_mask:0xf
	s_delay_alu instid0(VALU_DEP_1) | instskip(NEXT) | instid1(VALU_DEP_1)
	v_cndmask_b32_e64 v39, v39, 0, s10
	v_add_nc_u32_e32 v38, v39, v38
	s_delay_alu instid0(VALU_DEP_1) | instskip(NEXT) | instid1(VALU_DEP_1)
	v_mov_b32_dpp v39, v38 row_shr:2 row_mask:0xf bank_mask:0xf
	v_cndmask_b32_e64 v39, 0, v39, s11
	s_delay_alu instid0(VALU_DEP_1)
	v_add_nc_u32_e32 v38, v38, v39
	ds_store_b32 v26, v38
.LBB298_14:                             ;   in Loop: Header=BB298_4 Depth=2
	s_or_b32 exec_lo, exec_lo, s12
	v_mov_b32_e32 v38, 0
	s_waitcnt lgkmcnt(0)
	s_barrier
	buffer_gl0_inv
	s_and_saveexec_b32 s12, s7
	s_cbranch_execz .LBB298_16
; %bb.15:                               ;   in Loop: Header=BB298_4 Depth=2
	ds_load_b32 v38, v27
.LBB298_16:                             ;   in Loop: Header=BB298_4 Depth=2
	s_or_b32 exec_lo, exec_lo, s12
	s_waitcnt lgkmcnt(0)
	v_add_nc_u32_e32 v3, v38, v3
	s_cmp_gt_u32 s16, 55
	ds_bpermute_b32 v3, v24, v3
	s_waitcnt lgkmcnt(0)
	v_cndmask_b32_e64 v3, v3, v38, s8
	s_delay_alu instid0(VALU_DEP_1) | instskip(NEXT) | instid1(VALU_DEP_1)
	v_cndmask_b32_e64 v3, v3, 0, s9
	v_add_nc_u32_e32 v4, v3, v4
	s_delay_alu instid0(VALU_DEP_1) | instskip(NEXT) | instid1(VALU_DEP_1)
	v_add_nc_u32_e32 v5, v4, v5
	v_add_nc_u32_e32 v6, v5, v6
	s_delay_alu instid0(VALU_DEP_1) | instskip(NEXT) | instid1(VALU_DEP_1)
	v_add_nc_u32_e32 v38, v6, v7
	;; [unrolled: 3-line block ×3, first 2 shown]
	v_add_nc_u32_e32 v1, v0, v2
	ds_store_2addr_b64 v19, v[3:4], v[5:6] offset0:2 offset1:3
	ds_store_2addr_b64 v22, v[38:39], v[0:1] offset0:2 offset1:3
	s_waitcnt lgkmcnt(0)
	s_barrier
	buffer_gl0_inv
	ds_load_b32 v0, v31
	ds_load_b32 v1, v34
	;; [unrolled: 1-line block ×3, first 2 shown]
	s_waitcnt lgkmcnt(2)
	v_add_nc_u32_e32 v30, v0, v30
	s_waitcnt lgkmcnt(1)
	v_add3_u32 v7, v33, v32, v1
	s_waitcnt lgkmcnt(0)
	v_add3_u32 v6, v36, v35, v2
	s_cbranch_scc0 .LBB298_3
; %bb.17:                               ;   in Loop: Header=BB298_2 Depth=1
                                        ; implicit-def: $vgpr4_vgpr5
                                        ; implicit-def: $vgpr2_vgpr3
                                        ; implicit-def: $sgpr16_sgpr17
	s_branch .LBB298_1
.LBB298_18:
	v_lshlrev_b32_e32 v0, 3, v8
	s_add_u32 s0, s18, s14
	s_addc_u32 s1, s19, s15
	s_clause 0x2
	global_store_b64 v0, v[1:2], s[0:1]
	global_store_b64 v0, v[3:4], s[0:1] offset:1024
	global_store_b64 v0, v[5:6], s[0:1] offset:2048
	s_nop 0
	s_sendmsg sendmsg(MSG_DEALLOC_VGPRS)
	s_endpgm
	.section	.rodata,"a",@progbits
	.p2align	6, 0x0
	.amdhsa_kernel _Z16sort_keys_kernelI22helper_blocked_stripedxLj128ELj3ELj10EEvPKT0_PS1_
		.amdhsa_group_segment_fixed_size 4112
		.amdhsa_private_segment_fixed_size 0
		.amdhsa_kernarg_size 272
		.amdhsa_user_sgpr_count 15
		.amdhsa_user_sgpr_dispatch_ptr 0
		.amdhsa_user_sgpr_queue_ptr 0
		.amdhsa_user_sgpr_kernarg_segment_ptr 1
		.amdhsa_user_sgpr_dispatch_id 0
		.amdhsa_user_sgpr_private_segment_size 0
		.amdhsa_wavefront_size32 1
		.amdhsa_uses_dynamic_stack 0
		.amdhsa_enable_private_segment 0
		.amdhsa_system_sgpr_workgroup_id_x 1
		.amdhsa_system_sgpr_workgroup_id_y 0
		.amdhsa_system_sgpr_workgroup_id_z 0
		.amdhsa_system_sgpr_workgroup_info 0
		.amdhsa_system_vgpr_workitem_id 2
		.amdhsa_next_free_vgpr 40
		.amdhsa_next_free_sgpr 21
		.amdhsa_reserve_vcc 1
		.amdhsa_float_round_mode_32 0
		.amdhsa_float_round_mode_16_64 0
		.amdhsa_float_denorm_mode_32 3
		.amdhsa_float_denorm_mode_16_64 3
		.amdhsa_dx10_clamp 1
		.amdhsa_ieee_mode 1
		.amdhsa_fp16_overflow 0
		.amdhsa_workgroup_processor_mode 1
		.amdhsa_memory_ordered 1
		.amdhsa_forward_progress 0
		.amdhsa_shared_vgpr_count 0
		.amdhsa_exception_fp_ieee_invalid_op 0
		.amdhsa_exception_fp_denorm_src 0
		.amdhsa_exception_fp_ieee_div_zero 0
		.amdhsa_exception_fp_ieee_overflow 0
		.amdhsa_exception_fp_ieee_underflow 0
		.amdhsa_exception_fp_ieee_inexact 0
		.amdhsa_exception_int_div_zero 0
	.end_amdhsa_kernel
	.section	.text._Z16sort_keys_kernelI22helper_blocked_stripedxLj128ELj3ELj10EEvPKT0_PS1_,"axG",@progbits,_Z16sort_keys_kernelI22helper_blocked_stripedxLj128ELj3ELj10EEvPKT0_PS1_,comdat
.Lfunc_end298:
	.size	_Z16sort_keys_kernelI22helper_blocked_stripedxLj128ELj3ELj10EEvPKT0_PS1_, .Lfunc_end298-_Z16sort_keys_kernelI22helper_blocked_stripedxLj128ELj3ELj10EEvPKT0_PS1_
                                        ; -- End function
	.section	.AMDGPU.csdata,"",@progbits
; Kernel info:
; codeLenInByte = 2392
; NumSgprs: 23
; NumVgprs: 40
; ScratchSize: 0
; MemoryBound: 0
; FloatMode: 240
; IeeeMode: 1
; LDSByteSize: 4112 bytes/workgroup (compile time only)
; SGPRBlocks: 2
; VGPRBlocks: 4
; NumSGPRsForWavesPerEU: 23
; NumVGPRsForWavesPerEU: 40
; Occupancy: 16
; WaveLimiterHint : 1
; COMPUTE_PGM_RSRC2:SCRATCH_EN: 0
; COMPUTE_PGM_RSRC2:USER_SGPR: 15
; COMPUTE_PGM_RSRC2:TRAP_HANDLER: 0
; COMPUTE_PGM_RSRC2:TGID_X_EN: 1
; COMPUTE_PGM_RSRC2:TGID_Y_EN: 0
; COMPUTE_PGM_RSRC2:TGID_Z_EN: 0
; COMPUTE_PGM_RSRC2:TIDIG_COMP_CNT: 2
	.section	.text._Z17sort_pairs_kernelI22helper_blocked_stripedxLj128ELj3ELj10EEvPKT0_PS1_,"axG",@progbits,_Z17sort_pairs_kernelI22helper_blocked_stripedxLj128ELj3ELj10EEvPKT0_PS1_,comdat
	.protected	_Z17sort_pairs_kernelI22helper_blocked_stripedxLj128ELj3ELj10EEvPKT0_PS1_ ; -- Begin function _Z17sort_pairs_kernelI22helper_blocked_stripedxLj128ELj3ELj10EEvPKT0_PS1_
	.globl	_Z17sort_pairs_kernelI22helper_blocked_stripedxLj128ELj3ELj10EEvPKT0_PS1_
	.p2align	8
	.type	_Z17sort_pairs_kernelI22helper_blocked_stripedxLj128ELj3ELj10EEvPKT0_PS1_,@function
_Z17sort_pairs_kernelI22helper_blocked_stripedxLj128ELj3ELj10EEvPKT0_PS1_: ; @_Z17sort_pairs_kernelI22helper_blocked_stripedxLj128ELj3ELj10EEvPKT0_PS1_
; %bb.0:
	s_clause 0x1
	s_load_b128 s[16:19], s[0:1], 0x0
	s_load_b32 s11, s[0:1], 0x1c
	v_and_b32_e32 v9, 0x3ff, v0
	s_mov_b32 s13, 0
	s_mul_i32 s12, s15, 0x180
	v_mbcnt_lo_u32_b32 v7, -1, 0
	s_lshl_b64 s[14:15], s[12:13], 3
	v_mul_u32_u24_e32 v1, 3, v9
	s_mov_b32 s12, s13
	s_delay_alu instid0(VALU_DEP_2) | instskip(NEXT) | instid1(VALU_DEP_2)
	v_add_nc_u32_e32 v16, -1, v7
	v_dual_mov_b32 v12, s12 :: v_dual_lshlrev_b32 v5, 3, v1
	v_dual_mov_b32 v13, s13 :: v_dual_and_b32 v8, 16, v7
	s_delay_alu instid0(VALU_DEP_3) | instskip(SKIP_2) | instid1(VALU_DEP_4)
	v_cmp_gt_i32_e32 vcc_lo, 0, v16
	v_and_b32_e32 v17, 3, v7
	v_and_b32_e32 v6, 15, v7
	v_cmp_eq_u32_e64 s5, 0, v8
	s_waitcnt lgkmcnt(0)
	s_add_u32 s0, s16, s14
	s_addc_u32 s1, s17, s15
	s_clause 0x1
	global_load_b128 v[1:4], v5, s[0:1]
	global_load_b64 v[14:15], v5, s[0:1] offset:16
	s_mov_b32 s1, s13
	s_mov_b32 s0, s13
	v_mov_b32_e32 v11, s1
	v_bfe_u32 v5, v0, 10, 10
	v_bfe_u32 v0, v0, 20, 10
	s_lshr_b32 s12, s11, 16
	v_mov_b32_e32 v10, s0
	v_cmp_eq_u32_e64 s1, 0, v6
	v_cmp_lt_u32_e64 s2, 1, v6
	v_cmp_lt_u32_e64 s3, 3, v6
	v_cmp_lt_u32_e64 s4, 7, v6
	v_and_b32_e32 v6, 0x60, v9
	v_dual_cndmask_b32 v8, v16, v7 :: v_dual_lshlrev_b32 v19, 2, v9
	v_mad_u32_u24 v0, v0, s12, v5
	v_lshrrev_b32_e32 v18, 5, v9
	s_and_b32 s11, s11, 0xffff
	v_cmp_eq_u32_e64 s9, 0, v17
	v_cmp_lt_u32_e64 s10, 1, v17
	v_or_b32_e32 v17, 31, v6
	v_lshlrev_b32_e32 v32, 2, v8
	v_mul_u32_u24_e32 v8, 3, v6
	v_mad_u64_u32 v[5:6], null, v0, s11, v[9:10]
	v_mul_u32_u24_e32 v16, 0x60, v18
	v_lshlrev_b32_e32 v30, 5, v9
	s_delay_alu instid0(VALU_DEP_4)
	v_or_b32_e32 v6, v7, v8
	v_lshlrev_b32_e32 v33, 2, v18
	v_cmp_eq_u32_e64 s0, 0, v7
	v_lshlrev_b32_e32 v18, 3, v16
	v_lshrrev_b32_e32 v39, 5, v5
	v_lshlrev_b32_e32 v38, 3, v6
	v_mad_i32_i24 v34, 0xffffffe4, v9, v30
	v_or_b32_e32 v0, v7, v16
	v_mad_u32_u24 v36, v7, 24, v18
	v_cmp_gt_u32_e64 s6, 4, v9
	v_cmp_lt_u32_e64 s7, 31, v9
	v_cmp_eq_u32_e64 s8, 0, v9
	v_or_b32_e32 v31, 16, v30
	v_cmp_eq_u32_e64 s11, v17, v9
	v_add_nc_u32_e32 v35, -4, v33
	v_lshlrev_b32_e32 v37, 3, v0
	v_add_nc_u32_e32 v40, v34, v19
	s_waitcnt vmcnt(1)
	v_add_co_u32 v5, vcc_lo, v1, 1
	v_add_co_ci_u32_e32 v6, vcc_lo, 0, v2, vcc_lo
	v_add_co_u32 v7, vcc_lo, v3, 1
	v_add_co_ci_u32_e32 v8, vcc_lo, 0, v4, vcc_lo
	s_waitcnt vmcnt(0)
	v_add_co_u32 v16, vcc_lo, v14, 1
	v_add_co_ci_u32_e32 v17, vcc_lo, 0, v15, vcc_lo
	s_branch .LBB299_2
.LBB299_1:                              ;   in Loop: Header=BB299_2 Depth=1
	v_lshlrev_b32_e32 v0, 3, v44
	v_lshlrev_b32_e32 v5, 3, v43
	;; [unrolled: 1-line block ×3, first 2 shown]
	s_barrier
	buffer_gl0_inv
	ds_store_b64 v0, v[14:15]
	ds_store_b64 v5, v[24:25]
	;; [unrolled: 1-line block ×3, first 2 shown]
	s_waitcnt lgkmcnt(0)
	s_barrier
	buffer_gl0_inv
	ds_load_2addr_stride64_b64 v[1:4], v40 offset1:2
	ds_load_b64 v[14:15], v40 offset:2048
	s_waitcnt lgkmcnt(0)
	s_barrier
	buffer_gl0_inv
	ds_store_b64 v0, v[20:21]
	ds_store_b64 v5, v[18:19]
	;; [unrolled: 1-line block ×3, first 2 shown]
	s_waitcnt lgkmcnt(0)
	s_barrier
	buffer_gl0_inv
	ds_load_2addr_stride64_b64 v[5:8], v40 offset1:2
	ds_load_b64 v[16:17], v40 offset:2048
	s_add_i32 s13, s13, 1
	s_delay_alu instid0(SALU_CYCLE_1)
	s_cmp_eq_u32 s13, 10
	v_xor_b32_e32 v2, 0x80000000, v2
	v_xor_b32_e32 v4, 0x80000000, v4
	;; [unrolled: 1-line block ×3, first 2 shown]
	s_cbranch_scc1 .LBB299_18
.LBB299_2:                              ; =>This Loop Header: Depth=1
                                        ;     Child Loop BB299_4 Depth 2
	s_delay_alu instid0(VALU_DEP_3) | instskip(NEXT) | instid1(VALU_DEP_3)
	v_xor_b32_e32 v2, 0x80000000, v2
	v_xor_b32_e32 v4, 0x80000000, v4
	s_delay_alu instid0(VALU_DEP_3)
	v_xor_b32_e32 v15, 0x80000000, v15
	s_mov_b64 s[16:17], 0
	ds_store_2addr_b64 v36, v[1:2], v[3:4] offset1:1
	ds_store_b64 v36, v[14:15] offset:16
	; wave barrier
	ds_load_2addr_b64 v[0:3], v37 offset1:32
	ds_load_b64 v[26:27], v37 offset:512
	; wave barrier
	s_waitcnt lgkmcnt(5)
	ds_store_2addr_b64 v36, v[5:6], v[7:8] offset1:1
	s_waitcnt lgkmcnt(5)
	ds_store_b64 v36, v[16:17] offset:16
	; wave barrier
	ds_load_2addr_b64 v[4:7], v37 offset1:32
	ds_load_b64 v[28:29], v37 offset:512
	s_waitcnt lgkmcnt(0)
	s_barrier
	s_branch .LBB299_4
.LBB299_3:                              ;   in Loop: Header=BB299_4 Depth=2
	v_lshlrev_b32_e32 v4, 3, v44
	v_lshlrev_b32_e32 v5, 3, v43
	s_delay_alu instid0(VALU_DEP_3)
	v_lshlrev_b32_e32 v6, 3, v8
	s_barrier
	buffer_gl0_inv
	ds_store_b64 v4, v[14:15]
	ds_store_b64 v5, v[24:25]
	;; [unrolled: 1-line block ×3, first 2 shown]
	s_waitcnt lgkmcnt(0)
	s_barrier
	buffer_gl0_inv
	ds_load_2addr_b64 v[0:3], v38 offset1:32
	ds_load_b64 v[26:27], v38 offset:512
	s_waitcnt lgkmcnt(0)
	s_barrier
	buffer_gl0_inv
	ds_store_b64 v4, v[20:21]
	ds_store_b64 v5, v[18:19]
	;; [unrolled: 1-line block ×3, first 2 shown]
	s_waitcnt lgkmcnt(0)
	s_barrier
	buffer_gl0_inv
	ds_load_2addr_b64 v[4:7], v38 offset1:32
	ds_load_b64 v[28:29], v38 offset:512
	s_add_u32 s16, s16, 8
	s_addc_u32 s17, s17, 0
	s_waitcnt lgkmcnt(0)
	s_barrier
	s_cbranch_execz .LBB299_1
.LBB299_4:                              ;   Parent Loop BB299_2 Depth=1
                                        ; =>  This Inner Loop Header: Depth=2
	v_dual_mov_b32 v15, v1 :: v_dual_mov_b32 v14, v0
	buffer_gl0_inv
	ds_store_2addr_b64 v30, v[12:13], v[10:11] offset0:2 offset1:3
	ds_store_2addr_b64 v31, v[12:13], v[10:11] offset0:2 offset1:3
	s_waitcnt lgkmcnt(0)
	s_barrier
	v_lshrrev_b64 v[41:42], s16, v[14:15]
	buffer_gl0_inv
	; wave barrier
	v_dual_mov_b32 v22, v26 :: v_dual_mov_b32 v25, v3
	v_dual_mov_b32 v23, v27 :: v_dual_and_b32 v0, 1, v41
	v_lshlrev_b32_e32 v1, 30, v41
	v_lshlrev_b32_e32 v8, 29, v41
	;; [unrolled: 1-line block ×3, first 2 shown]
	s_delay_alu instid0(VALU_DEP_4) | instskip(NEXT) | instid1(VALU_DEP_1)
	v_add_co_u32 v0, s12, v0, -1
	v_cndmask_b32_e64 v17, 0, 1, s12
	v_not_b32_e32 v21, v1
	v_cmp_gt_i32_e64 s12, 0, v1
	v_not_b32_e32 v1, v8
	v_lshlrev_b32_e32 v18, 27, v41
	v_cmp_ne_u32_e32 vcc_lo, 0, v17
	v_ashrrev_i32_e32 v21, 31, v21
	v_dual_mov_b32 v24, v2 :: v_dual_lshlrev_b32 v19, 26, v41
	v_ashrrev_i32_e32 v1, 31, v1
	v_xor_b32_e32 v0, vcc_lo, v0
	v_cmp_gt_i32_e32 vcc_lo, 0, v8
	v_not_b32_e32 v8, v16
	v_xor_b32_e32 v21, s12, v21
	v_cmp_gt_i32_e64 s12, 0, v16
	v_and_b32_e32 v0, exec_lo, v0
	v_not_b32_e32 v16, v18
	v_ashrrev_i32_e32 v8, 31, v8
	v_xor_b32_e32 v1, vcc_lo, v1
	v_cmp_gt_i32_e32 vcc_lo, 0, v18
	v_and_b32_e32 v0, v0, v21
	v_not_b32_e32 v18, v19
	v_ashrrev_i32_e32 v16, 31, v16
	v_xor_b32_e32 v8, s12, v8
	v_cmp_gt_i32_e64 s12, 0, v19
	v_and_b32_e32 v0, v0, v1
	v_ashrrev_i32_e32 v18, 31, v18
	v_xor_b32_e32 v16, vcc_lo, v16
	v_lshlrev_b32_e32 v20, 25, v41
	v_lshlrev_b32_e32 v17, 24, v41
	v_and_b32_e32 v0, v0, v8
	v_xor_b32_e32 v18, s12, v18
	s_delay_alu instid0(VALU_DEP_2) | instskip(NEXT) | instid1(VALU_DEP_1)
	v_and_b32_e32 v0, v0, v16
	v_dual_mov_b32 v19, v7 :: v_dual_and_b32 v0, v0, v18
	v_mov_b32_e32 v18, v6
	v_not_b32_e32 v1, v20
	v_cmp_gt_i32_e32 vcc_lo, 0, v20
	v_not_b32_e32 v8, v17
	v_cmp_gt_i32_e64 s12, 0, v17
	v_mov_b32_e32 v16, v28
	v_ashrrev_i32_e32 v1, 31, v1
	v_mov_b32_e32 v21, v5
	v_ashrrev_i32_e32 v8, 31, v8
	v_dual_mov_b32 v17, v29 :: v_dual_mov_b32 v20, v4
	s_delay_alu instid0(VALU_DEP_4) | instskip(NEXT) | instid1(VALU_DEP_3)
	v_xor_b32_e32 v1, vcc_lo, v1
	v_xor_b32_e32 v8, s12, v8
	s_delay_alu instid0(VALU_DEP_2) | instskip(SKIP_1) | instid1(VALU_DEP_2)
	v_and_b32_e32 v0, v0, v1
	v_and_b32_e32 v1, 0xff, v41
	v_and_b32_e32 v0, v0, v8
	s_delay_alu instid0(VALU_DEP_2) | instskip(NEXT) | instid1(VALU_DEP_2)
	v_lshl_add_u32 v1, v1, 2, v39
	v_mbcnt_lo_u32_b32 v8, v0, 0
	v_cmp_ne_u32_e64 s12, 0, v0
	s_delay_alu instid0(VALU_DEP_3) | instskip(NEXT) | instid1(VALU_DEP_3)
	v_lshl_add_u32 v26, v1, 2, 16
	v_cmp_eq_u32_e32 vcc_lo, 0, v8
	s_delay_alu instid0(VALU_DEP_3) | instskip(NEXT) | instid1(SALU_CYCLE_1)
	s_and_b32 s20, s12, vcc_lo
	s_and_saveexec_b32 s12, s20
	s_cbranch_execz .LBB299_6
; %bb.5:                                ;   in Loop: Header=BB299_4 Depth=2
	v_bcnt_u32_b32 v0, v0, 0
	ds_store_b32 v26, v0
.LBB299_6:                              ;   in Loop: Header=BB299_4 Depth=2
	s_or_b32 exec_lo, exec_lo, s12
	v_lshrrev_b64 v[0:1], s16, v[24:25]
	; wave barrier
	s_delay_alu instid0(VALU_DEP_1)
	v_and_b32_e32 v2, 1, v0
	v_lshlrev_b32_e32 v3, 30, v0
	v_lshlrev_b32_e32 v4, 29, v0
	;; [unrolled: 1-line block ×4, first 2 shown]
	v_add_co_u32 v2, s12, v2, -1
	s_delay_alu instid0(VALU_DEP_1)
	v_cndmask_b32_e64 v6, 0, 1, s12
	v_not_b32_e32 v29, v3
	v_cmp_gt_i32_e64 s12, 0, v3
	v_not_b32_e32 v3, v4
	v_lshlrev_b32_e32 v27, 26, v0
	v_cmp_ne_u32_e32 vcc_lo, 0, v6
	v_ashrrev_i32_e32 v6, 31, v29
	v_lshlrev_b32_e32 v28, 25, v0
	v_ashrrev_i32_e32 v3, 31, v3
	v_and_b32_e32 v1, 0xff, v0
	v_xor_b32_e32 v2, vcc_lo, v2
	v_cmp_gt_i32_e32 vcc_lo, 0, v4
	v_not_b32_e32 v4, v5
	v_xor_b32_e32 v6, s12, v6
	v_cmp_gt_i32_e64 s12, 0, v5
	v_and_b32_e32 v2, exec_lo, v2
	v_not_b32_e32 v5, v7
	v_ashrrev_i32_e32 v4, 31, v4
	v_xor_b32_e32 v3, vcc_lo, v3
	v_cmp_gt_i32_e32 vcc_lo, 0, v7
	v_and_b32_e32 v2, v2, v6
	v_not_b32_e32 v6, v27
	v_ashrrev_i32_e32 v5, 31, v5
	v_xor_b32_e32 v4, s12, v4
	v_lshlrev_b32_e32 v0, 24, v0
	v_and_b32_e32 v2, v2, v3
	v_cmp_gt_i32_e64 s12, 0, v27
	v_not_b32_e32 v3, v28
	v_ashrrev_i32_e32 v6, 31, v6
	v_xor_b32_e32 v5, vcc_lo, v5
	v_and_b32_e32 v2, v2, v4
	v_cmp_gt_i32_e32 vcc_lo, 0, v28
	v_not_b32_e32 v4, v0
	v_ashrrev_i32_e32 v3, 31, v3
	v_xor_b32_e32 v6, s12, v6
	v_and_b32_e32 v2, v2, v5
	v_lshlrev_b32_e32 v1, 2, v1
	v_cmp_gt_i32_e64 s12, 0, v0
	v_ashrrev_i32_e32 v0, 31, v4
	v_xor_b32_e32 v3, vcc_lo, v3
	v_and_b32_e32 v2, v2, v6
	v_add_lshl_u32 v1, v1, v39, 2
	s_delay_alu instid0(VALU_DEP_4) | instskip(NEXT) | instid1(VALU_DEP_3)
	v_xor_b32_e32 v0, s12, v0
	v_and_b32_e32 v2, v2, v3
	ds_load_b32 v27, v1 offset:16
	v_add_nc_u32_e32 v29, 16, v1
	; wave barrier
	v_and_b32_e32 v0, v2, v0
	s_delay_alu instid0(VALU_DEP_1) | instskip(SKIP_1) | instid1(VALU_DEP_2)
	v_mbcnt_lo_u32_b32 v28, v0, 0
	v_cmp_ne_u32_e64 s12, 0, v0
	v_cmp_eq_u32_e32 vcc_lo, 0, v28
	s_delay_alu instid0(VALU_DEP_2) | instskip(NEXT) | instid1(SALU_CYCLE_1)
	s_and_b32 s20, s12, vcc_lo
	s_and_saveexec_b32 s12, s20
	s_cbranch_execz .LBB299_8
; %bb.7:                                ;   in Loop: Header=BB299_4 Depth=2
	s_waitcnt lgkmcnt(0)
	v_bcnt_u32_b32 v0, v0, v27
	ds_store_b32 v29, v0
.LBB299_8:                              ;   in Loop: Header=BB299_4 Depth=2
	s_or_b32 exec_lo, exec_lo, s12
	v_lshrrev_b64 v[0:1], s16, v[22:23]
	; wave barrier
	s_delay_alu instid0(VALU_DEP_1)
	v_and_b32_e32 v2, 1, v0
	v_lshlrev_b32_e32 v3, 30, v0
	v_lshlrev_b32_e32 v4, 29, v0
	;; [unrolled: 1-line block ×4, first 2 shown]
	v_add_co_u32 v2, s12, v2, -1
	s_delay_alu instid0(VALU_DEP_1)
	v_cndmask_b32_e64 v6, 0, 1, s12
	v_not_b32_e32 v43, v3
	v_cmp_gt_i32_e64 s12, 0, v3
	v_not_b32_e32 v3, v4
	v_lshlrev_b32_e32 v41, 26, v0
	v_cmp_ne_u32_e32 vcc_lo, 0, v6
	v_ashrrev_i32_e32 v6, 31, v43
	v_lshlrev_b32_e32 v42, 25, v0
	v_ashrrev_i32_e32 v3, 31, v3
	v_and_b32_e32 v1, 0xff, v0
	v_xor_b32_e32 v2, vcc_lo, v2
	v_cmp_gt_i32_e32 vcc_lo, 0, v4
	v_not_b32_e32 v4, v5
	v_xor_b32_e32 v6, s12, v6
	v_cmp_gt_i32_e64 s12, 0, v5
	v_and_b32_e32 v2, exec_lo, v2
	v_not_b32_e32 v5, v7
	v_ashrrev_i32_e32 v4, 31, v4
	v_xor_b32_e32 v3, vcc_lo, v3
	v_cmp_gt_i32_e32 vcc_lo, 0, v7
	v_and_b32_e32 v2, v2, v6
	v_not_b32_e32 v6, v41
	v_ashrrev_i32_e32 v5, 31, v5
	v_xor_b32_e32 v4, s12, v4
	v_lshlrev_b32_e32 v0, 24, v0
	v_and_b32_e32 v2, v2, v3
	v_cmp_gt_i32_e64 s12, 0, v41
	v_not_b32_e32 v3, v42
	v_ashrrev_i32_e32 v6, 31, v6
	v_xor_b32_e32 v5, vcc_lo, v5
	v_and_b32_e32 v2, v2, v4
	v_cmp_gt_i32_e32 vcc_lo, 0, v42
	v_not_b32_e32 v4, v0
	v_ashrrev_i32_e32 v3, 31, v3
	v_xor_b32_e32 v6, s12, v6
	v_and_b32_e32 v2, v2, v5
	v_lshlrev_b32_e32 v1, 2, v1
	v_cmp_gt_i32_e64 s12, 0, v0
	v_ashrrev_i32_e32 v0, 31, v4
	v_xor_b32_e32 v3, vcc_lo, v3
	v_and_b32_e32 v2, v2, v6
	v_add_lshl_u32 v1, v1, v39, 2
	s_delay_alu instid0(VALU_DEP_4) | instskip(NEXT) | instid1(VALU_DEP_3)
	v_xor_b32_e32 v0, s12, v0
	v_and_b32_e32 v2, v2, v3
	ds_load_b32 v41, v1 offset:16
	v_add_nc_u32_e32 v43, 16, v1
	; wave barrier
	v_and_b32_e32 v0, v2, v0
	s_delay_alu instid0(VALU_DEP_1) | instskip(SKIP_1) | instid1(VALU_DEP_2)
	v_mbcnt_lo_u32_b32 v42, v0, 0
	v_cmp_ne_u32_e64 s12, 0, v0
	v_cmp_eq_u32_e32 vcc_lo, 0, v42
	s_delay_alu instid0(VALU_DEP_2) | instskip(NEXT) | instid1(SALU_CYCLE_1)
	s_and_b32 s20, s12, vcc_lo
	s_and_saveexec_b32 s12, s20
	s_cbranch_execz .LBB299_10
; %bb.9:                                ;   in Loop: Header=BB299_4 Depth=2
	s_waitcnt lgkmcnt(0)
	v_bcnt_u32_b32 v0, v0, v41
	ds_store_b32 v43, v0
.LBB299_10:                             ;   in Loop: Header=BB299_4 Depth=2
	s_or_b32 exec_lo, exec_lo, s12
	; wave barrier
	s_waitcnt lgkmcnt(0)
	s_barrier
	buffer_gl0_inv
	ds_load_2addr_b64 v[4:7], v30 offset0:2 offset1:3
	ds_load_2addr_b64 v[0:3], v31 offset0:2 offset1:3
	s_waitcnt lgkmcnt(1)
	v_add_nc_u32_e32 v44, v5, v4
	s_delay_alu instid0(VALU_DEP_1) | instskip(SKIP_1) | instid1(VALU_DEP_1)
	v_add3_u32 v44, v44, v6, v7
	s_waitcnt lgkmcnt(0)
	v_add3_u32 v44, v44, v0, v1
	s_delay_alu instid0(VALU_DEP_1) | instskip(NEXT) | instid1(VALU_DEP_1)
	v_add3_u32 v3, v44, v2, v3
	v_mov_b32_dpp v44, v3 row_shr:1 row_mask:0xf bank_mask:0xf
	s_delay_alu instid0(VALU_DEP_1) | instskip(NEXT) | instid1(VALU_DEP_1)
	v_cndmask_b32_e64 v44, v44, 0, s1
	v_add_nc_u32_e32 v3, v44, v3
	s_delay_alu instid0(VALU_DEP_1) | instskip(NEXT) | instid1(VALU_DEP_1)
	v_mov_b32_dpp v44, v3 row_shr:2 row_mask:0xf bank_mask:0xf
	v_cndmask_b32_e64 v44, 0, v44, s2
	s_delay_alu instid0(VALU_DEP_1) | instskip(NEXT) | instid1(VALU_DEP_1)
	v_add_nc_u32_e32 v3, v3, v44
	v_mov_b32_dpp v44, v3 row_shr:4 row_mask:0xf bank_mask:0xf
	s_delay_alu instid0(VALU_DEP_1) | instskip(NEXT) | instid1(VALU_DEP_1)
	v_cndmask_b32_e64 v44, 0, v44, s3
	v_add_nc_u32_e32 v3, v3, v44
	s_delay_alu instid0(VALU_DEP_1) | instskip(NEXT) | instid1(VALU_DEP_1)
	v_mov_b32_dpp v44, v3 row_shr:8 row_mask:0xf bank_mask:0xf
	v_cndmask_b32_e64 v44, 0, v44, s4
	s_delay_alu instid0(VALU_DEP_1) | instskip(SKIP_3) | instid1(VALU_DEP_1)
	v_add_nc_u32_e32 v3, v3, v44
	ds_swizzle_b32 v44, v3 offset:swizzle(BROADCAST,32,15)
	s_waitcnt lgkmcnt(0)
	v_cndmask_b32_e64 v44, v44, 0, s5
	v_add_nc_u32_e32 v3, v3, v44
	s_and_saveexec_b32 s12, s11
	s_cbranch_execz .LBB299_12
; %bb.11:                               ;   in Loop: Header=BB299_4 Depth=2
	ds_store_b32 v33, v3
.LBB299_12:                             ;   in Loop: Header=BB299_4 Depth=2
	s_or_b32 exec_lo, exec_lo, s12
	s_waitcnt lgkmcnt(0)
	s_barrier
	buffer_gl0_inv
	s_and_saveexec_b32 s12, s6
	s_cbranch_execz .LBB299_14
; %bb.13:                               ;   in Loop: Header=BB299_4 Depth=2
	ds_load_b32 v44, v34
	s_waitcnt lgkmcnt(0)
	v_mov_b32_dpp v45, v44 row_shr:1 row_mask:0xf bank_mask:0xf
	s_delay_alu instid0(VALU_DEP_1) | instskip(NEXT) | instid1(VALU_DEP_1)
	v_cndmask_b32_e64 v45, v45, 0, s9
	v_add_nc_u32_e32 v44, v45, v44
	s_delay_alu instid0(VALU_DEP_1) | instskip(NEXT) | instid1(VALU_DEP_1)
	v_mov_b32_dpp v45, v44 row_shr:2 row_mask:0xf bank_mask:0xf
	v_cndmask_b32_e64 v45, 0, v45, s10
	s_delay_alu instid0(VALU_DEP_1)
	v_add_nc_u32_e32 v44, v44, v45
	ds_store_b32 v34, v44
.LBB299_14:                             ;   in Loop: Header=BB299_4 Depth=2
	s_or_b32 exec_lo, exec_lo, s12
	v_mov_b32_e32 v44, 0
	s_waitcnt lgkmcnt(0)
	s_barrier
	buffer_gl0_inv
	s_and_saveexec_b32 s12, s7
	s_cbranch_execz .LBB299_16
; %bb.15:                               ;   in Loop: Header=BB299_4 Depth=2
	ds_load_b32 v44, v35
.LBB299_16:                             ;   in Loop: Header=BB299_4 Depth=2
	s_or_b32 exec_lo, exec_lo, s12
	s_waitcnt lgkmcnt(0)
	v_add_nc_u32_e32 v3, v44, v3
	s_cmp_gt_u32 s16, 55
	ds_bpermute_b32 v3, v32, v3
	s_waitcnt lgkmcnt(0)
	v_cndmask_b32_e64 v3, v3, v44, s0
	s_delay_alu instid0(VALU_DEP_1) | instskip(NEXT) | instid1(VALU_DEP_1)
	v_cndmask_b32_e64 v3, v3, 0, s8
	v_add_nc_u32_e32 v4, v3, v4
	s_delay_alu instid0(VALU_DEP_1) | instskip(NEXT) | instid1(VALU_DEP_1)
	v_add_nc_u32_e32 v5, v4, v5
	v_add_nc_u32_e32 v6, v5, v6
	s_delay_alu instid0(VALU_DEP_1) | instskip(NEXT) | instid1(VALU_DEP_1)
	v_add_nc_u32_e32 v44, v6, v7
	;; [unrolled: 3-line block ×3, first 2 shown]
	v_add_nc_u32_e32 v1, v0, v2
	ds_store_2addr_b64 v30, v[3:4], v[5:6] offset0:2 offset1:3
	ds_store_2addr_b64 v31, v[44:45], v[0:1] offset0:2 offset1:3
	s_waitcnt lgkmcnt(0)
	s_barrier
	buffer_gl0_inv
	ds_load_b32 v0, v26
	ds_load_b32 v1, v29
	;; [unrolled: 1-line block ×3, first 2 shown]
	s_waitcnt lgkmcnt(2)
	v_add_nc_u32_e32 v44, v0, v8
	s_waitcnt lgkmcnt(1)
	v_add3_u32 v43, v28, v27, v1
	s_waitcnt lgkmcnt(0)
	v_add3_u32 v8, v42, v41, v2
	s_cbranch_scc0 .LBB299_3
; %bb.17:                               ;   in Loop: Header=BB299_2 Depth=1
                                        ; implicit-def: $vgpr26_vgpr27
                                        ; implicit-def: $vgpr2_vgpr3
                                        ; implicit-def: $vgpr28_vgpr29
                                        ; implicit-def: $vgpr6_vgpr7
                                        ; implicit-def: $sgpr16_sgpr17
	s_branch .LBB299_1
.LBB299_18:
	s_waitcnt lgkmcnt(1)
	v_add_co_u32 v0, vcc_lo, v1, v5
	v_add_co_ci_u32_e32 v1, vcc_lo, v2, v6, vcc_lo
	v_add_co_u32 v2, vcc_lo, v3, v7
	v_add_co_ci_u32_e32 v3, vcc_lo, v4, v8, vcc_lo
	v_lshlrev_b32_e32 v6, 3, v9
	s_waitcnt lgkmcnt(0)
	v_add_co_u32 v4, vcc_lo, v14, v16
	v_add_co_ci_u32_e32 v5, vcc_lo, v15, v17, vcc_lo
	s_add_u32 s0, s18, s14
	s_addc_u32 s1, s19, s15
	s_clause 0x2
	global_store_b64 v6, v[0:1], s[0:1]
	global_store_b64 v6, v[2:3], s[0:1] offset:1024
	global_store_b64 v6, v[4:5], s[0:1] offset:2048
	s_nop 0
	s_sendmsg sendmsg(MSG_DEALLOC_VGPRS)
	s_endpgm
	.section	.rodata,"a",@progbits
	.p2align	6, 0x0
	.amdhsa_kernel _Z17sort_pairs_kernelI22helper_blocked_stripedxLj128ELj3ELj10EEvPKT0_PS1_
		.amdhsa_group_segment_fixed_size 4112
		.amdhsa_private_segment_fixed_size 0
		.amdhsa_kernarg_size 272
		.amdhsa_user_sgpr_count 15
		.amdhsa_user_sgpr_dispatch_ptr 0
		.amdhsa_user_sgpr_queue_ptr 0
		.amdhsa_user_sgpr_kernarg_segment_ptr 1
		.amdhsa_user_sgpr_dispatch_id 0
		.amdhsa_user_sgpr_private_segment_size 0
		.amdhsa_wavefront_size32 1
		.amdhsa_uses_dynamic_stack 0
		.amdhsa_enable_private_segment 0
		.amdhsa_system_sgpr_workgroup_id_x 1
		.amdhsa_system_sgpr_workgroup_id_y 0
		.amdhsa_system_sgpr_workgroup_id_z 0
		.amdhsa_system_sgpr_workgroup_info 0
		.amdhsa_system_vgpr_workitem_id 2
		.amdhsa_next_free_vgpr 46
		.amdhsa_next_free_sgpr 21
		.amdhsa_reserve_vcc 1
		.amdhsa_float_round_mode_32 0
		.amdhsa_float_round_mode_16_64 0
		.amdhsa_float_denorm_mode_32 3
		.amdhsa_float_denorm_mode_16_64 3
		.amdhsa_dx10_clamp 1
		.amdhsa_ieee_mode 1
		.amdhsa_fp16_overflow 0
		.amdhsa_workgroup_processor_mode 1
		.amdhsa_memory_ordered 1
		.amdhsa_forward_progress 0
		.amdhsa_shared_vgpr_count 0
		.amdhsa_exception_fp_ieee_invalid_op 0
		.amdhsa_exception_fp_denorm_src 0
		.amdhsa_exception_fp_ieee_div_zero 0
		.amdhsa_exception_fp_ieee_overflow 0
		.amdhsa_exception_fp_ieee_underflow 0
		.amdhsa_exception_fp_ieee_inexact 0
		.amdhsa_exception_int_div_zero 0
	.end_amdhsa_kernel
	.section	.text._Z17sort_pairs_kernelI22helper_blocked_stripedxLj128ELj3ELj10EEvPKT0_PS1_,"axG",@progbits,_Z17sort_pairs_kernelI22helper_blocked_stripedxLj128ELj3ELj10EEvPKT0_PS1_,comdat
.Lfunc_end299:
	.size	_Z17sort_pairs_kernelI22helper_blocked_stripedxLj128ELj3ELj10EEvPKT0_PS1_, .Lfunc_end299-_Z17sort_pairs_kernelI22helper_blocked_stripedxLj128ELj3ELj10EEvPKT0_PS1_
                                        ; -- End function
	.section	.AMDGPU.csdata,"",@progbits
; Kernel info:
; codeLenInByte = 2652
; NumSgprs: 23
; NumVgprs: 46
; ScratchSize: 0
; MemoryBound: 0
; FloatMode: 240
; IeeeMode: 1
; LDSByteSize: 4112 bytes/workgroup (compile time only)
; SGPRBlocks: 2
; VGPRBlocks: 5
; NumSGPRsForWavesPerEU: 23
; NumVGPRsForWavesPerEU: 46
; Occupancy: 16
; WaveLimiterHint : 1
; COMPUTE_PGM_RSRC2:SCRATCH_EN: 0
; COMPUTE_PGM_RSRC2:USER_SGPR: 15
; COMPUTE_PGM_RSRC2:TRAP_HANDLER: 0
; COMPUTE_PGM_RSRC2:TGID_X_EN: 1
; COMPUTE_PGM_RSRC2:TGID_Y_EN: 0
; COMPUTE_PGM_RSRC2:TGID_Z_EN: 0
; COMPUTE_PGM_RSRC2:TIDIG_COMP_CNT: 2
	.section	.text._Z16sort_keys_kernelI22helper_blocked_stripedxLj128ELj4ELj10EEvPKT0_PS1_,"axG",@progbits,_Z16sort_keys_kernelI22helper_blocked_stripedxLj128ELj4ELj10EEvPKT0_PS1_,comdat
	.protected	_Z16sort_keys_kernelI22helper_blocked_stripedxLj128ELj4ELj10EEvPKT0_PS1_ ; -- Begin function _Z16sort_keys_kernelI22helper_blocked_stripedxLj128ELj4ELj10EEvPKT0_PS1_
	.globl	_Z16sort_keys_kernelI22helper_blocked_stripedxLj128ELj4ELj10EEvPKT0_PS1_
	.p2align	8
	.type	_Z16sort_keys_kernelI22helper_blocked_stripedxLj128ELj4ELj10EEvPKT0_PS1_,@function
_Z16sort_keys_kernelI22helper_blocked_stripedxLj128ELj4ELj10EEvPKT0_PS1_: ; @_Z16sort_keys_kernelI22helper_blocked_stripedxLj128ELj4ELj10EEvPKT0_PS1_
; %bb.0:
	s_clause 0x1
	s_load_b128 s[16:19], s[0:1], 0x0
	s_load_b32 s2, s[0:1], 0x1c
	s_mov_b32 s23, 0
	s_lshl_b32 s22, s15, 9
	v_bfe_u32 v10, v0, 10, 10
	s_lshl_b64 s[20:21], s[22:23], 3
	s_mov_b32 s22, s23
	v_and_b32_e32 v9, 0x3ff, v0
	v_bfe_u32 v0, v0, 20, 10
	v_mbcnt_lo_u32_b32 v12, -1, 0
	s_delay_alu instid0(VALU_DEP_3) | instskip(NEXT) | instid1(VALU_DEP_2)
	v_lshlrev_b32_e32 v22, 5, v9
	v_and_b32_e32 v13, 3, v12
	v_cmp_eq_u32_e64 s12, 0, v12
	s_delay_alu instid0(VALU_DEP_2)
	v_cmp_eq_u32_e64 s3, 0, v13
	s_waitcnt lgkmcnt(0)
	s_add_u32 s0, s16, s20
	s_addc_u32 s1, s17, s21
	s_mov_b32 s16, s23
	s_clause 0x1
	global_load_b128 v[1:4], v22, s[0:1] offset:16
	global_load_b128 v[5:8], v22, s[0:1]
	s_lshr_b32 s1, s2, 16
	s_and_b32 s2, s2, 0xffff
	v_mad_u32_u24 v0, v0, s1, v10
	s_mov_b32 s17, s23
	v_and_b32_e32 v24, 28, v12
	v_cmp_eq_u32_e64 s0, 3, v13
	v_cmp_eq_u32_e64 s1, 2, v13
	v_mad_u64_u32 v[10:11], null, v0, s2, v[9:10]
	v_add_nc_u32_e32 v11, -1, v12
	v_and_b32_e32 v0, 15, v12
	v_cmp_eq_u32_e64 s2, 1, v13
	v_cmp_lt_u32_e64 s14, 1, v13
	s_delay_alu instid0(VALU_DEP_4)
	v_cmp_gt_i32_e32 vcc_lo, 0, v11
	v_lshrrev_b32_e32 v29, 5, v10
	v_and_b32_e32 v10, 16, v12
	v_cmp_eq_u32_e64 s4, 0, v0
	v_cmp_lt_u32_e64 s5, 1, v0
	v_cmp_lt_u32_e64 s6, 3, v0
	;; [unrolled: 1-line block ×3, first 2 shown]
	v_cmp_eq_u32_e64 s8, 0, v10
	v_lshrrev_b32_e32 v10, 3, v9
	s_delay_alu instid0(VALU_DEP_1) | instskip(SKIP_2) | instid1(VALU_DEP_3)
	v_dual_cndmask_b32 v0, v11, v12 :: v_dual_and_b32 v31, 12, v10
	v_dual_mov_b32 v10, s22 :: v_dual_lshlrev_b32 v23, 2, v9
	v_or_b32_e32 v14, 31, v9
	v_lshlrev_b32_e32 v30, 2, v0
	v_cmp_gt_u32_e64 s10, 4, v9
	v_cmp_lt_u32_e64 s11, 31, v9
	v_and_or_b32 v0, 0x180, v23, v12
	v_mov_b32_e32 v12, s16
	v_cmp_eq_u32_e64 s9, v14, v9
	v_cmp_eq_u32_e64 s13, 0, v9
	v_add_nc_u32_e32 v33, -4, v31
	v_dual_mov_b32 v11, s23 :: v_dual_lshlrev_b32 v34, 3, v0
	v_or_b32_e32 v28, 16, v22
	v_mad_i32_i24 v32, 0xffffffe4, v9, v22
	v_mov_b32_e32 v13, s17
	v_or_b32_e32 v25, 32, v24
	v_or_b32_e32 v26, 64, v24
	;; [unrolled: 1-line block ×3, first 2 shown]
	s_branch .LBB300_2
.LBB300_1:                              ;   in Loop: Header=BB300_2 Depth=1
	v_lshlrev_b32_e32 v0, 3, v38
	v_lshlrev_b32_e32 v1, 3, v36
	v_lshlrev_b32_e32 v2, 3, v35
	s_barrier
	buffer_gl0_inv
	v_lshlrev_b32_e32 v3, 3, v8
	ds_store_b64 v0, v[14:15]
	ds_store_b64 v1, v[20:21]
	;; [unrolled: 1-line block ×3, first 2 shown]
	v_add_nc_u32_e32 v0, v32, v23
	s_add_i32 s23, s23, 1
	ds_store_b64 v3, v[16:17]
	s_waitcnt lgkmcnt(0)
	s_barrier
	buffer_gl0_inv
	ds_load_2addr_stride64_b64 v[5:8], v0 offset1:2
	ds_load_2addr_stride64_b64 v[1:4], v0 offset0:4 offset1:6
	s_cmp_eq_u32 s23, 10
	s_waitcnt lgkmcnt(1)
	v_xor_b32_e32 v6, 0x80000000, v6
	v_xor_b32_e32 v8, 0x80000000, v8
	s_waitcnt lgkmcnt(0)
	v_xor_b32_e32 v2, 0x80000000, v2
	v_xor_b32_e32 v4, 0x80000000, v4
	s_cbranch_scc1 .LBB300_20
.LBB300_2:                              ; =>This Loop Header: Depth=1
                                        ;     Child Loop BB300_4 Depth 2
	s_waitcnt vmcnt(0)
	v_xor_b32_e32 v0, 0x80000000, v6
	v_xor_b32_e32 v6, 0x80000000, v8
	ds_bpermute_b32 v8, v24, v5
	ds_bpermute_b32 v14, v24, v7
	v_xor_b32_e32 v2, 0x80000000, v2
	ds_bpermute_b32 v15, v24, v0
	ds_bpermute_b32 v16, v24, v6
	;; [unrolled: 1-line block ×14, first 2 shown]
	v_xor_b32_e32 v4, 0x80000000, v4
	ds_bpermute_b32 v37, v25, v1
	ds_bpermute_b32 v43, v27, v2
	ds_bpermute_b32 v21, v24, v3
	s_waitcnt lgkmcnt(17)
	v_cndmask_b32_e64 v8, v8, v14, s2
	ds_bpermute_b32 v14, v26, v6
	ds_bpermute_b32 v6, v27, v6
	s_waitcnt lgkmcnt(17)
	v_cndmask_b32_e64 v15, v15, v16, s2
	ds_bpermute_b32 v16, v27, v0
	s_waitcnt lgkmcnt(17)
	v_cndmask_b32_e64 v0, v8, v17, s1
	s_waitcnt lgkmcnt(15)
	v_cndmask_b32_e64 v8, v18, v19, s2
	ds_bpermute_b32 v18, v26, v1
	s_waitcnt lgkmcnt(15)
	v_cndmask_b32_e64 v15, v15, v20, s1
	ds_bpermute_b32 v19, v26, v2
	ds_bpermute_b32 v20, v27, v1
	;; [unrolled: 1-line block ×9, first 2 shown]
	s_waitcnt lgkmcnt(22)
	v_cndmask_b32_e64 v2, v35, v36, s2
	s_waitcnt lgkmcnt(17)
	v_cndmask_b32_e64 v3, v8, v41, s1
	v_cndmask_b32_e64 v4, v38, v39, s2
	s_waitcnt lgkmcnt(12)
	v_cndmask_b32_e64 v8, v42, v14, s2
	v_cndmask_b32_e64 v5, v5, v7, s2
	;; [unrolled: 1-line block ×3, first 2 shown]
	s_waitcnt lgkmcnt(10)
	v_cndmask_b32_e64 v6, v16, v6, s2
	v_cndmask_b32_e64 v0, v0, v21, s0
	s_mov_b64 s[16:17], 0
	s_waitcnt lgkmcnt(9)
	v_cndmask_b32_e64 v4, v4, v18, s1
	s_waitcnt lgkmcnt(0)
	v_cndmask_b32_e64 v7, v8, v19, s1
	v_cndmask_b32_e64 v8, v5, v20, s1
	;; [unrolled: 1-line block ×10, first 2 shown]
	s_barrier
	s_branch .LBB300_4
.LBB300_3:                              ;   in Loop: Header=BB300_4 Depth=2
	v_lshlrev_b32_e32 v0, 3, v38
	v_lshlrev_b32_e32 v1, 3, v36
	;; [unrolled: 1-line block ×4, first 2 shown]
	s_barrier
	buffer_gl0_inv
	ds_store_b64 v0, v[14:15]
	ds_store_b64 v1, v[20:21]
	;; [unrolled: 1-line block ×4, first 2 shown]
	s_waitcnt lgkmcnt(0)
	s_barrier
	buffer_gl0_inv
	ds_load_2addr_b64 v[0:3], v34 offset1:32
	ds_load_2addr_b64 v[4:7], v34 offset0:64 offset1:96
	s_add_u32 s16, s16, 8
	s_addc_u32 s17, s17, 0
	s_waitcnt lgkmcnt(0)
	s_barrier
	s_cbranch_execz .LBB300_1
.LBB300_4:                              ;   Parent Loop BB300_2 Depth=1
                                        ; =>  This Inner Loop Header: Depth=2
	v_dual_mov_b32 v15, v1 :: v_dual_mov_b32 v14, v0
	buffer_gl0_inv
	ds_store_2addr_b64 v22, v[10:11], v[12:13] offset0:2 offset1:3
	ds_store_2addr_b64 v28, v[10:11], v[12:13] offset0:2 offset1:3
	s_waitcnt lgkmcnt(0)
	s_barrier
	v_lshrrev_b64 v[35:36], s16, v[14:15]
	buffer_gl0_inv
	; wave barrier
	v_and_b32_e32 v0, 1, v35
	v_lshlrev_b32_e32 v1, 30, v35
	v_lshlrev_b32_e32 v8, 29, v35
	;; [unrolled: 1-line block ×4, first 2 shown]
	v_add_co_u32 v0, s15, v0, -1
	s_delay_alu instid0(VALU_DEP_1)
	v_cndmask_b32_e64 v17, 0, 1, s15
	v_not_b32_e32 v21, v1
	v_cmp_gt_i32_e64 s15, 0, v1
	v_not_b32_e32 v1, v8
	v_lshlrev_b32_e32 v19, 26, v35
	v_cmp_ne_u32_e32 vcc_lo, 0, v17
	v_ashrrev_i32_e32 v21, 31, v21
	v_lshlrev_b32_e32 v20, 25, v35
	v_ashrrev_i32_e32 v1, 31, v1
	v_lshlrev_b32_e32 v17, 24, v35
	v_xor_b32_e32 v0, vcc_lo, v0
	v_cmp_gt_i32_e32 vcc_lo, 0, v8
	v_not_b32_e32 v8, v16
	v_xor_b32_e32 v21, s15, v21
	v_cmp_gt_i32_e64 s15, 0, v16
	v_and_b32_e32 v0, exec_lo, v0
	v_not_b32_e32 v16, v18
	v_ashrrev_i32_e32 v8, 31, v8
	v_xor_b32_e32 v1, vcc_lo, v1
	v_cmp_gt_i32_e32 vcc_lo, 0, v18
	v_and_b32_e32 v0, v0, v21
	v_not_b32_e32 v18, v19
	v_ashrrev_i32_e32 v16, 31, v16
	v_xor_b32_e32 v8, s15, v8
	v_cmp_gt_i32_e64 s15, 0, v19
	v_and_b32_e32 v0, v0, v1
	v_not_b32_e32 v1, v20
	v_ashrrev_i32_e32 v18, 31, v18
	v_xor_b32_e32 v16, vcc_lo, v16
	v_cmp_gt_i32_e32 vcc_lo, 0, v20
	v_dual_mov_b32 v21, v3 :: v_dual_and_b32 v0, v0, v8
	v_mov_b32_e32 v20, v2
	v_not_b32_e32 v8, v17
	v_ashrrev_i32_e32 v1, 31, v1
	v_xor_b32_e32 v18, s15, v18
	v_and_b32_e32 v0, v0, v16
	v_cmp_gt_i32_e64 s15, 0, v17
	v_ashrrev_i32_e32 v8, 31, v8
	v_xor_b32_e32 v1, vcc_lo, v1
	s_delay_alu instid0(VALU_DEP_4) | instskip(SKIP_1) | instid1(VALU_DEP_4)
	v_dual_mov_b32 v17, v7 :: v_dual_and_b32 v0, v0, v18
	v_mov_b32_e32 v19, v5
	v_xor_b32_e32 v8, s15, v8
	v_mov_b32_e32 v16, v6
	v_mov_b32_e32 v18, v4
	v_and_b32_e32 v0, v0, v1
	v_and_b32_e32 v1, 0xff, v35
	s_delay_alu instid0(VALU_DEP_2) | instskip(NEXT) | instid1(VALU_DEP_2)
	v_and_b32_e32 v0, v0, v8
	v_lshl_add_u32 v1, v1, 2, v29
	s_delay_alu instid0(VALU_DEP_2) | instskip(SKIP_1) | instid1(VALU_DEP_3)
	v_mbcnt_lo_u32_b32 v8, v0, 0
	v_cmp_ne_u32_e64 s15, 0, v0
	v_lshl_add_u32 v35, v1, 2, 16
	s_delay_alu instid0(VALU_DEP_3) | instskip(NEXT) | instid1(VALU_DEP_3)
	v_cmp_eq_u32_e32 vcc_lo, 0, v8
	s_and_b32 s22, s15, vcc_lo
	s_delay_alu instid0(SALU_CYCLE_1)
	s_and_saveexec_b32 s15, s22
	s_cbranch_execz .LBB300_6
; %bb.5:                                ;   in Loop: Header=BB300_4 Depth=2
	v_bcnt_u32_b32 v0, v0, 0
	ds_store_b32 v35, v0
.LBB300_6:                              ;   in Loop: Header=BB300_4 Depth=2
	s_or_b32 exec_lo, exec_lo, s15
	v_lshrrev_b64 v[0:1], s16, v[20:21]
	; wave barrier
	s_delay_alu instid0(VALU_DEP_1)
	v_and_b32_e32 v2, 1, v0
	v_lshlrev_b32_e32 v3, 30, v0
	v_lshlrev_b32_e32 v4, 29, v0
	;; [unrolled: 1-line block ×4, first 2 shown]
	v_add_co_u32 v2, s15, v2, -1
	s_delay_alu instid0(VALU_DEP_1)
	v_cndmask_b32_e64 v6, 0, 1, s15
	v_not_b32_e32 v38, v3
	v_cmp_gt_i32_e64 s15, 0, v3
	v_not_b32_e32 v3, v4
	v_lshlrev_b32_e32 v36, 26, v0
	v_cmp_ne_u32_e32 vcc_lo, 0, v6
	v_ashrrev_i32_e32 v6, 31, v38
	v_lshlrev_b32_e32 v37, 25, v0
	v_ashrrev_i32_e32 v3, 31, v3
	v_and_b32_e32 v1, 0xff, v0
	v_xor_b32_e32 v2, vcc_lo, v2
	v_cmp_gt_i32_e32 vcc_lo, 0, v4
	v_not_b32_e32 v4, v5
	v_xor_b32_e32 v6, s15, v6
	v_cmp_gt_i32_e64 s15, 0, v5
	v_and_b32_e32 v2, exec_lo, v2
	v_not_b32_e32 v5, v7
	v_ashrrev_i32_e32 v4, 31, v4
	v_xor_b32_e32 v3, vcc_lo, v3
	v_cmp_gt_i32_e32 vcc_lo, 0, v7
	v_and_b32_e32 v2, v2, v6
	v_not_b32_e32 v6, v36
	v_ashrrev_i32_e32 v5, 31, v5
	v_xor_b32_e32 v4, s15, v4
	v_lshlrev_b32_e32 v0, 24, v0
	v_and_b32_e32 v2, v2, v3
	v_cmp_gt_i32_e64 s15, 0, v36
	v_not_b32_e32 v3, v37
	v_ashrrev_i32_e32 v6, 31, v6
	v_xor_b32_e32 v5, vcc_lo, v5
	v_and_b32_e32 v2, v2, v4
	v_cmp_gt_i32_e32 vcc_lo, 0, v37
	v_not_b32_e32 v4, v0
	v_ashrrev_i32_e32 v3, 31, v3
	v_xor_b32_e32 v6, s15, v6
	v_and_b32_e32 v2, v2, v5
	v_lshlrev_b32_e32 v1, 2, v1
	v_cmp_gt_i32_e64 s15, 0, v0
	v_ashrrev_i32_e32 v0, 31, v4
	v_xor_b32_e32 v3, vcc_lo, v3
	v_and_b32_e32 v2, v2, v6
	v_add_lshl_u32 v1, v1, v29, 2
	s_delay_alu instid0(VALU_DEP_4) | instskip(NEXT) | instid1(VALU_DEP_3)
	v_xor_b32_e32 v0, s15, v0
	v_and_b32_e32 v2, v2, v3
	ds_load_b32 v36, v1 offset:16
	v_add_nc_u32_e32 v38, 16, v1
	; wave barrier
	v_and_b32_e32 v0, v2, v0
	s_delay_alu instid0(VALU_DEP_1) | instskip(SKIP_1) | instid1(VALU_DEP_2)
	v_mbcnt_lo_u32_b32 v37, v0, 0
	v_cmp_ne_u32_e64 s15, 0, v0
	v_cmp_eq_u32_e32 vcc_lo, 0, v37
	s_delay_alu instid0(VALU_DEP_2) | instskip(NEXT) | instid1(SALU_CYCLE_1)
	s_and_b32 s22, s15, vcc_lo
	s_and_saveexec_b32 s15, s22
	s_cbranch_execz .LBB300_8
; %bb.7:                                ;   in Loop: Header=BB300_4 Depth=2
	s_waitcnt lgkmcnt(0)
	v_bcnt_u32_b32 v0, v0, v36
	ds_store_b32 v38, v0
.LBB300_8:                              ;   in Loop: Header=BB300_4 Depth=2
	s_or_b32 exec_lo, exec_lo, s15
	v_lshrrev_b64 v[0:1], s16, v[18:19]
	; wave barrier
	s_delay_alu instid0(VALU_DEP_1)
	v_and_b32_e32 v2, 1, v0
	v_lshlrev_b32_e32 v3, 30, v0
	v_lshlrev_b32_e32 v4, 29, v0
	v_lshlrev_b32_e32 v5, 28, v0
	v_lshlrev_b32_e32 v7, 27, v0
	v_add_co_u32 v2, s15, v2, -1
	s_delay_alu instid0(VALU_DEP_1)
	v_cndmask_b32_e64 v6, 0, 1, s15
	v_not_b32_e32 v41, v3
	v_cmp_gt_i32_e64 s15, 0, v3
	v_not_b32_e32 v3, v4
	v_lshlrev_b32_e32 v39, 26, v0
	v_cmp_ne_u32_e32 vcc_lo, 0, v6
	v_ashrrev_i32_e32 v6, 31, v41
	v_lshlrev_b32_e32 v40, 25, v0
	v_ashrrev_i32_e32 v3, 31, v3
	v_and_b32_e32 v1, 0xff, v0
	v_xor_b32_e32 v2, vcc_lo, v2
	v_cmp_gt_i32_e32 vcc_lo, 0, v4
	v_not_b32_e32 v4, v5
	v_xor_b32_e32 v6, s15, v6
	v_cmp_gt_i32_e64 s15, 0, v5
	v_and_b32_e32 v2, exec_lo, v2
	v_not_b32_e32 v5, v7
	v_ashrrev_i32_e32 v4, 31, v4
	v_xor_b32_e32 v3, vcc_lo, v3
	v_cmp_gt_i32_e32 vcc_lo, 0, v7
	v_and_b32_e32 v2, v2, v6
	v_not_b32_e32 v6, v39
	v_ashrrev_i32_e32 v5, 31, v5
	v_xor_b32_e32 v4, s15, v4
	v_lshlrev_b32_e32 v0, 24, v0
	v_and_b32_e32 v2, v2, v3
	v_cmp_gt_i32_e64 s15, 0, v39
	v_not_b32_e32 v3, v40
	v_ashrrev_i32_e32 v6, 31, v6
	v_xor_b32_e32 v5, vcc_lo, v5
	v_and_b32_e32 v2, v2, v4
	v_cmp_gt_i32_e32 vcc_lo, 0, v40
	v_not_b32_e32 v4, v0
	v_ashrrev_i32_e32 v3, 31, v3
	v_xor_b32_e32 v6, s15, v6
	v_and_b32_e32 v2, v2, v5
	v_lshlrev_b32_e32 v1, 2, v1
	v_cmp_gt_i32_e64 s15, 0, v0
	v_ashrrev_i32_e32 v0, 31, v4
	v_xor_b32_e32 v3, vcc_lo, v3
	v_and_b32_e32 v2, v2, v6
	v_add_lshl_u32 v1, v1, v29, 2
	s_delay_alu instid0(VALU_DEP_4) | instskip(NEXT) | instid1(VALU_DEP_3)
	v_xor_b32_e32 v0, s15, v0
	v_and_b32_e32 v2, v2, v3
	ds_load_b32 v39, v1 offset:16
	v_add_nc_u32_e32 v41, 16, v1
	; wave barrier
	v_and_b32_e32 v0, v2, v0
	s_delay_alu instid0(VALU_DEP_1) | instskip(SKIP_1) | instid1(VALU_DEP_2)
	v_mbcnt_lo_u32_b32 v40, v0, 0
	v_cmp_ne_u32_e64 s15, 0, v0
	v_cmp_eq_u32_e32 vcc_lo, 0, v40
	s_delay_alu instid0(VALU_DEP_2) | instskip(NEXT) | instid1(SALU_CYCLE_1)
	s_and_b32 s22, s15, vcc_lo
	s_and_saveexec_b32 s15, s22
	s_cbranch_execz .LBB300_10
; %bb.9:                                ;   in Loop: Header=BB300_4 Depth=2
	s_waitcnt lgkmcnt(0)
	v_bcnt_u32_b32 v0, v0, v39
	ds_store_b32 v41, v0
.LBB300_10:                             ;   in Loop: Header=BB300_4 Depth=2
	s_or_b32 exec_lo, exec_lo, s15
	v_lshrrev_b64 v[0:1], s16, v[16:17]
	; wave barrier
	s_delay_alu instid0(VALU_DEP_1)
	v_and_b32_e32 v2, 1, v0
	v_lshlrev_b32_e32 v3, 30, v0
	v_lshlrev_b32_e32 v4, 29, v0
	;; [unrolled: 1-line block ×4, first 2 shown]
	v_add_co_u32 v2, s15, v2, -1
	s_delay_alu instid0(VALU_DEP_1)
	v_cndmask_b32_e64 v6, 0, 1, s15
	v_not_b32_e32 v44, v3
	v_cmp_gt_i32_e64 s15, 0, v3
	v_not_b32_e32 v3, v4
	v_lshlrev_b32_e32 v42, 26, v0
	v_cmp_ne_u32_e32 vcc_lo, 0, v6
	v_ashrrev_i32_e32 v6, 31, v44
	v_lshlrev_b32_e32 v43, 25, v0
	v_ashrrev_i32_e32 v3, 31, v3
	v_and_b32_e32 v1, 0xff, v0
	v_xor_b32_e32 v2, vcc_lo, v2
	v_cmp_gt_i32_e32 vcc_lo, 0, v4
	v_not_b32_e32 v4, v5
	v_xor_b32_e32 v6, s15, v6
	v_cmp_gt_i32_e64 s15, 0, v5
	v_and_b32_e32 v2, exec_lo, v2
	v_not_b32_e32 v5, v7
	v_ashrrev_i32_e32 v4, 31, v4
	v_xor_b32_e32 v3, vcc_lo, v3
	v_cmp_gt_i32_e32 vcc_lo, 0, v7
	v_and_b32_e32 v2, v2, v6
	v_not_b32_e32 v6, v42
	v_ashrrev_i32_e32 v5, 31, v5
	v_xor_b32_e32 v4, s15, v4
	v_lshlrev_b32_e32 v0, 24, v0
	v_and_b32_e32 v2, v2, v3
	v_cmp_gt_i32_e64 s15, 0, v42
	v_not_b32_e32 v3, v43
	v_ashrrev_i32_e32 v6, 31, v6
	v_xor_b32_e32 v5, vcc_lo, v5
	v_and_b32_e32 v2, v2, v4
	v_cmp_gt_i32_e32 vcc_lo, 0, v43
	v_not_b32_e32 v4, v0
	v_ashrrev_i32_e32 v3, 31, v3
	v_xor_b32_e32 v6, s15, v6
	v_and_b32_e32 v2, v2, v5
	v_lshlrev_b32_e32 v1, 2, v1
	v_cmp_gt_i32_e64 s15, 0, v0
	v_ashrrev_i32_e32 v0, 31, v4
	v_xor_b32_e32 v3, vcc_lo, v3
	v_and_b32_e32 v2, v2, v6
	v_add_lshl_u32 v1, v1, v29, 2
	s_delay_alu instid0(VALU_DEP_4) | instskip(NEXT) | instid1(VALU_DEP_3)
	v_xor_b32_e32 v0, s15, v0
	v_and_b32_e32 v2, v2, v3
	ds_load_b32 v42, v1 offset:16
	v_add_nc_u32_e32 v44, 16, v1
	; wave barrier
	v_and_b32_e32 v0, v2, v0
	s_delay_alu instid0(VALU_DEP_1) | instskip(SKIP_1) | instid1(VALU_DEP_2)
	v_mbcnt_lo_u32_b32 v43, v0, 0
	v_cmp_ne_u32_e64 s15, 0, v0
	v_cmp_eq_u32_e32 vcc_lo, 0, v43
	s_delay_alu instid0(VALU_DEP_2) | instskip(NEXT) | instid1(SALU_CYCLE_1)
	s_and_b32 s22, s15, vcc_lo
	s_and_saveexec_b32 s15, s22
	s_cbranch_execz .LBB300_12
; %bb.11:                               ;   in Loop: Header=BB300_4 Depth=2
	s_waitcnt lgkmcnt(0)
	v_bcnt_u32_b32 v0, v0, v42
	ds_store_b32 v44, v0
.LBB300_12:                             ;   in Loop: Header=BB300_4 Depth=2
	s_or_b32 exec_lo, exec_lo, s15
	; wave barrier
	s_waitcnt lgkmcnt(0)
	s_barrier
	buffer_gl0_inv
	ds_load_2addr_b64 v[4:7], v22 offset0:2 offset1:3
	ds_load_2addr_b64 v[0:3], v28 offset0:2 offset1:3
	s_waitcnt lgkmcnt(1)
	v_add_nc_u32_e32 v45, v5, v4
	s_delay_alu instid0(VALU_DEP_1) | instskip(SKIP_1) | instid1(VALU_DEP_1)
	v_add3_u32 v45, v45, v6, v7
	s_waitcnt lgkmcnt(0)
	v_add3_u32 v45, v45, v0, v1
	s_delay_alu instid0(VALU_DEP_1) | instskip(NEXT) | instid1(VALU_DEP_1)
	v_add3_u32 v3, v45, v2, v3
	v_mov_b32_dpp v45, v3 row_shr:1 row_mask:0xf bank_mask:0xf
	s_delay_alu instid0(VALU_DEP_1) | instskip(NEXT) | instid1(VALU_DEP_1)
	v_cndmask_b32_e64 v45, v45, 0, s4
	v_add_nc_u32_e32 v3, v45, v3
	s_delay_alu instid0(VALU_DEP_1) | instskip(NEXT) | instid1(VALU_DEP_1)
	v_mov_b32_dpp v45, v3 row_shr:2 row_mask:0xf bank_mask:0xf
	v_cndmask_b32_e64 v45, 0, v45, s5
	s_delay_alu instid0(VALU_DEP_1) | instskip(NEXT) | instid1(VALU_DEP_1)
	v_add_nc_u32_e32 v3, v3, v45
	v_mov_b32_dpp v45, v3 row_shr:4 row_mask:0xf bank_mask:0xf
	s_delay_alu instid0(VALU_DEP_1) | instskip(NEXT) | instid1(VALU_DEP_1)
	v_cndmask_b32_e64 v45, 0, v45, s6
	v_add_nc_u32_e32 v3, v3, v45
	s_delay_alu instid0(VALU_DEP_1) | instskip(NEXT) | instid1(VALU_DEP_1)
	v_mov_b32_dpp v45, v3 row_shr:8 row_mask:0xf bank_mask:0xf
	v_cndmask_b32_e64 v45, 0, v45, s7
	s_delay_alu instid0(VALU_DEP_1) | instskip(SKIP_3) | instid1(VALU_DEP_1)
	v_add_nc_u32_e32 v3, v3, v45
	ds_swizzle_b32 v45, v3 offset:swizzle(BROADCAST,32,15)
	s_waitcnt lgkmcnt(0)
	v_cndmask_b32_e64 v45, v45, 0, s8
	v_add_nc_u32_e32 v3, v3, v45
	s_and_saveexec_b32 s15, s9
	s_cbranch_execz .LBB300_14
; %bb.13:                               ;   in Loop: Header=BB300_4 Depth=2
	ds_store_b32 v31, v3
.LBB300_14:                             ;   in Loop: Header=BB300_4 Depth=2
	s_or_b32 exec_lo, exec_lo, s15
	s_waitcnt lgkmcnt(0)
	s_barrier
	buffer_gl0_inv
	s_and_saveexec_b32 s15, s10
	s_cbranch_execz .LBB300_16
; %bb.15:                               ;   in Loop: Header=BB300_4 Depth=2
	ds_load_b32 v45, v32
	s_waitcnt lgkmcnt(0)
	v_mov_b32_dpp v46, v45 row_shr:1 row_mask:0xf bank_mask:0xf
	s_delay_alu instid0(VALU_DEP_1) | instskip(NEXT) | instid1(VALU_DEP_1)
	v_cndmask_b32_e64 v46, v46, 0, s3
	v_add_nc_u32_e32 v45, v46, v45
	s_delay_alu instid0(VALU_DEP_1) | instskip(NEXT) | instid1(VALU_DEP_1)
	v_mov_b32_dpp v46, v45 row_shr:2 row_mask:0xf bank_mask:0xf
	v_cndmask_b32_e64 v46, 0, v46, s14
	s_delay_alu instid0(VALU_DEP_1)
	v_add_nc_u32_e32 v45, v45, v46
	ds_store_b32 v32, v45
.LBB300_16:                             ;   in Loop: Header=BB300_4 Depth=2
	s_or_b32 exec_lo, exec_lo, s15
	v_mov_b32_e32 v45, 0
	s_waitcnt lgkmcnt(0)
	s_barrier
	buffer_gl0_inv
	s_and_saveexec_b32 s15, s11
	s_cbranch_execz .LBB300_18
; %bb.17:                               ;   in Loop: Header=BB300_4 Depth=2
	ds_load_b32 v45, v33
.LBB300_18:                             ;   in Loop: Header=BB300_4 Depth=2
	s_or_b32 exec_lo, exec_lo, s15
	s_waitcnt lgkmcnt(0)
	v_add_nc_u32_e32 v3, v45, v3
	s_cmp_gt_u32 s16, 55
	ds_bpermute_b32 v3, v30, v3
	s_waitcnt lgkmcnt(0)
	v_cndmask_b32_e64 v3, v3, v45, s12
	s_delay_alu instid0(VALU_DEP_1) | instskip(NEXT) | instid1(VALU_DEP_1)
	v_cndmask_b32_e64 v3, v3, 0, s13
	v_add_nc_u32_e32 v4, v3, v4
	s_delay_alu instid0(VALU_DEP_1) | instskip(NEXT) | instid1(VALU_DEP_1)
	v_add_nc_u32_e32 v5, v4, v5
	v_add_nc_u32_e32 v6, v5, v6
	s_delay_alu instid0(VALU_DEP_1) | instskip(NEXT) | instid1(VALU_DEP_1)
	v_add_nc_u32_e32 v45, v6, v7
	;; [unrolled: 3-line block ×3, first 2 shown]
	v_add_nc_u32_e32 v1, v0, v2
	ds_store_2addr_b64 v22, v[3:4], v[5:6] offset0:2 offset1:3
	ds_store_2addr_b64 v28, v[45:46], v[0:1] offset0:2 offset1:3
	s_waitcnt lgkmcnt(0)
	s_barrier
	buffer_gl0_inv
	ds_load_b32 v0, v35
	ds_load_b32 v1, v38
	;; [unrolled: 1-line block ×4, first 2 shown]
	s_waitcnt lgkmcnt(3)
	v_add_nc_u32_e32 v38, v0, v8
	s_waitcnt lgkmcnt(2)
	v_add3_u32 v36, v37, v36, v1
	s_waitcnt lgkmcnt(1)
	v_add3_u32 v35, v40, v39, v2
	;; [unrolled: 2-line block ×3, first 2 shown]
	s_cbranch_scc0 .LBB300_3
; %bb.19:                               ;   in Loop: Header=BB300_2 Depth=1
                                        ; implicit-def: $vgpr6_vgpr7
                                        ; implicit-def: $vgpr2_vgpr3
                                        ; implicit-def: $sgpr16_sgpr17
	s_branch .LBB300_1
.LBB300_20:
	v_lshlrev_b32_e32 v0, 3, v9
	s_add_u32 s0, s18, s20
	s_addc_u32 s1, s19, s21
	s_clause 0x3
	global_store_b64 v0, v[5:6], s[0:1]
	global_store_b64 v0, v[7:8], s[0:1] offset:1024
	global_store_b64 v0, v[1:2], s[0:1] offset:2048
	;; [unrolled: 1-line block ×3, first 2 shown]
	s_nop 0
	s_sendmsg sendmsg(MSG_DEALLOC_VGPRS)
	s_endpgm
	.section	.rodata,"a",@progbits
	.p2align	6, 0x0
	.amdhsa_kernel _Z16sort_keys_kernelI22helper_blocked_stripedxLj128ELj4ELj10EEvPKT0_PS1_
		.amdhsa_group_segment_fixed_size 4112
		.amdhsa_private_segment_fixed_size 0
		.amdhsa_kernarg_size 272
		.amdhsa_user_sgpr_count 15
		.amdhsa_user_sgpr_dispatch_ptr 0
		.amdhsa_user_sgpr_queue_ptr 0
		.amdhsa_user_sgpr_kernarg_segment_ptr 1
		.amdhsa_user_sgpr_dispatch_id 0
		.amdhsa_user_sgpr_private_segment_size 0
		.amdhsa_wavefront_size32 1
		.amdhsa_uses_dynamic_stack 0
		.amdhsa_enable_private_segment 0
		.amdhsa_system_sgpr_workgroup_id_x 1
		.amdhsa_system_sgpr_workgroup_id_y 0
		.amdhsa_system_sgpr_workgroup_id_z 0
		.amdhsa_system_sgpr_workgroup_info 0
		.amdhsa_system_vgpr_workitem_id 2
		.amdhsa_next_free_vgpr 49
		.amdhsa_next_free_sgpr 24
		.amdhsa_reserve_vcc 1
		.amdhsa_float_round_mode_32 0
		.amdhsa_float_round_mode_16_64 0
		.amdhsa_float_denorm_mode_32 3
		.amdhsa_float_denorm_mode_16_64 3
		.amdhsa_dx10_clamp 1
		.amdhsa_ieee_mode 1
		.amdhsa_fp16_overflow 0
		.amdhsa_workgroup_processor_mode 1
		.amdhsa_memory_ordered 1
		.amdhsa_forward_progress 0
		.amdhsa_shared_vgpr_count 0
		.amdhsa_exception_fp_ieee_invalid_op 0
		.amdhsa_exception_fp_denorm_src 0
		.amdhsa_exception_fp_ieee_div_zero 0
		.amdhsa_exception_fp_ieee_overflow 0
		.amdhsa_exception_fp_ieee_underflow 0
		.amdhsa_exception_fp_ieee_inexact 0
		.amdhsa_exception_int_div_zero 0
	.end_amdhsa_kernel
	.section	.text._Z16sort_keys_kernelI22helper_blocked_stripedxLj128ELj4ELj10EEvPKT0_PS1_,"axG",@progbits,_Z16sort_keys_kernelI22helper_blocked_stripedxLj128ELj4ELj10EEvPKT0_PS1_,comdat
.Lfunc_end300:
	.size	_Z16sort_keys_kernelI22helper_blocked_stripedxLj128ELj4ELj10EEvPKT0_PS1_, .Lfunc_end300-_Z16sort_keys_kernelI22helper_blocked_stripedxLj128ELj4ELj10EEvPKT0_PS1_
                                        ; -- End function
	.section	.AMDGPU.csdata,"",@progbits
; Kernel info:
; codeLenInByte = 3216
; NumSgprs: 26
; NumVgprs: 49
; ScratchSize: 0
; MemoryBound: 0
; FloatMode: 240
; IeeeMode: 1
; LDSByteSize: 4112 bytes/workgroup (compile time only)
; SGPRBlocks: 3
; VGPRBlocks: 6
; NumSGPRsForWavesPerEU: 26
; NumVGPRsForWavesPerEU: 49
; Occupancy: 16
; WaveLimiterHint : 1
; COMPUTE_PGM_RSRC2:SCRATCH_EN: 0
; COMPUTE_PGM_RSRC2:USER_SGPR: 15
; COMPUTE_PGM_RSRC2:TRAP_HANDLER: 0
; COMPUTE_PGM_RSRC2:TGID_X_EN: 1
; COMPUTE_PGM_RSRC2:TGID_Y_EN: 0
; COMPUTE_PGM_RSRC2:TGID_Z_EN: 0
; COMPUTE_PGM_RSRC2:TIDIG_COMP_CNT: 2
	.section	.text._Z17sort_pairs_kernelI22helper_blocked_stripedxLj128ELj4ELj10EEvPKT0_PS1_,"axG",@progbits,_Z17sort_pairs_kernelI22helper_blocked_stripedxLj128ELj4ELj10EEvPKT0_PS1_,comdat
	.protected	_Z17sort_pairs_kernelI22helper_blocked_stripedxLj128ELj4ELj10EEvPKT0_PS1_ ; -- Begin function _Z17sort_pairs_kernelI22helper_blocked_stripedxLj128ELj4ELj10EEvPKT0_PS1_
	.globl	_Z17sort_pairs_kernelI22helper_blocked_stripedxLj128ELj4ELj10EEvPKT0_PS1_
	.p2align	8
	.type	_Z17sort_pairs_kernelI22helper_blocked_stripedxLj128ELj4ELj10EEvPKT0_PS1_,@function
_Z17sort_pairs_kernelI22helper_blocked_stripedxLj128ELj4ELj10EEvPKT0_PS1_: ; @_Z17sort_pairs_kernelI22helper_blocked_stripedxLj128ELj4ELj10EEvPKT0_PS1_
; %bb.0:
	s_clause 0x1
	s_load_b128 s[16:19], s[0:1], 0x0
	s_load_b32 s14, s[0:1], 0x1c
	v_mbcnt_lo_u32_b32 v10, -1, 0
	s_mov_b32 s23, 0
	s_lshl_b32 s22, s15, 9
	v_bfe_u32 v11, v0, 10, 10
	s_lshl_b64 s[20:21], s[22:23], 3
	v_add_nc_u32_e32 v14, -1, v10
	v_and_b32_e32 v13, 16, v10
	v_and_b32_e32 v1, 3, v10
	;; [unrolled: 1-line block ×4, first 2 shown]
	v_cmp_gt_i32_e32 vcc_lo, 0, v14
	v_and_b32_e32 v18, 0x3ff, v0
	v_cmp_eq_u32_e64 s9, 0, v13
	v_bfe_u32 v0, v0, 20, 10
	v_cmp_eq_u32_e64 s2, 2, v1
	v_cndmask_b32_e32 v13, v14, v10, vcc_lo
	v_lshlrev_b32_e32 v33, 5, v18
	v_lshrrev_b32_e32 v14, 3, v18
	s_waitcnt lgkmcnt(0)
	s_add_u32 s0, s16, s20
	s_addc_u32 s1, s17, s21
	s_lshr_b32 s13, s14, 16
	s_clause 0x1
	global_load_b128 v[6:9], v33, s[0:1]
	global_load_b128 v[2:5], v33, s[0:1] offset:16
	v_mad_u32_u24 v11, v0, s13, v11
	v_and_b32_e32 v40, 12, v14
	v_lshlrev_b32_e32 v35, 2, v18
	s_and_b32 s14, s14, 0xffff
	v_cmp_eq_u32_e64 s1, 3, v1
	v_cmp_eq_u32_e64 s3, 1, v1
	;; [unrolled: 1-line block ×3, first 2 shown]
	v_cmp_lt_u32_e64 s13, 1, v1
	v_mad_u64_u32 v[0:1], null, v11, s14, v[18:19]
	v_cmp_eq_u32_e64 s5, 0, v12
	v_cmp_lt_u32_e64 s6, 1, v12
	v_cmp_lt_u32_e64 s7, 3, v12
	;; [unrolled: 1-line block ×3, first 2 shown]
	v_or_b32_e32 v12, 31, v18
	v_cmp_eq_u32_e64 s0, 0, v10
	v_and_or_b32 v1, 0x180, v35, v10
	v_or_b32_e32 v36, 32, v34
	v_or_b32_e32 v37, 64, v34
	v_cmp_eq_u32_e64 s14, v12, v18
	v_or_b32_e32 v38, 0x60, v34
	v_cmp_gt_u32_e64 s10, 4, v18
	v_cmp_lt_u32_e64 s11, 31, v18
	v_cmp_eq_u32_e64 s12, 0, v18
	v_or_b32_e32 v39, 16, v33
	v_lshlrev_b32_e32 v41, 2, v13
	v_mad_i32_i24 v42, 0xffffffe4, v18, v33
	v_add_nc_u32_e32 v43, -4, v40
	v_lshlrev_b32_e32 v44, 3, v1
	v_lshrrev_b32_e32 v45, 5, v0
	s_mov_b32 s22, s23
	s_mov_b32 s16, s23
	;; [unrolled: 1-line block ×4, first 2 shown]
	s_waitcnt vmcnt(1)
	v_add_co_u32 v14, vcc_lo, v6, 1
	v_add_co_ci_u32_e32 v15, vcc_lo, 0, v7, vcc_lo
	v_add_co_u32 v16, vcc_lo, v8, 1
	v_add_co_ci_u32_e32 v17, vcc_lo, 0, v9, vcc_lo
	s_waitcnt vmcnt(0)
	v_add_co_u32 v10, vcc_lo, v2, 1
	v_add_co_ci_u32_e32 v11, vcc_lo, 0, v3, vcc_lo
	v_add_co_u32 v12, vcc_lo, v4, 1
	v_add_co_ci_u32_e32 v13, vcc_lo, 0, v5, vcc_lo
	s_branch .LBB301_2
.LBB301_1:                              ;   in Loop: Header=BB301_2 Depth=1
	v_lshlrev_b32_e32 v0, 3, v50
	s_delay_alu instid0(VALU_DEP_2)
	v_lshlrev_b32_e32 v11, 3, v46
	v_add_nc_u32_e32 v12, v42, v35
	v_lshlrev_b32_e32 v1, 3, v49
	v_lshlrev_b32_e32 v10, 3, v48
	s_barrier
	buffer_gl0_inv
	ds_store_b64 v0, v[16:17]
	ds_store_b64 v1, v[31:32]
	;; [unrolled: 1-line block ×4, first 2 shown]
	s_waitcnt lgkmcnt(0)
	s_barrier
	buffer_gl0_inv
	ds_load_2addr_stride64_b64 v[6:9], v12 offset1:2
	ds_load_2addr_stride64_b64 v[2:5], v12 offset0:4 offset1:6
	s_waitcnt lgkmcnt(0)
	s_barrier
	buffer_gl0_inv
	ds_store_b64 v0, v[23:24]
	ds_store_b64 v1, v[21:22]
	ds_store_b64 v10, v[19:20]
	ds_store_b64 v11, v[25:26]
	s_waitcnt lgkmcnt(0)
	s_barrier
	buffer_gl0_inv
	ds_load_2addr_stride64_b64 v[14:17], v12 offset1:2
	ds_load_2addr_stride64_b64 v[10:13], v12 offset0:4 offset1:6
	s_add_i32 s26, s26, 1
	s_delay_alu instid0(SALU_CYCLE_1)
	s_cmp_lg_u32 s26, 10
	v_xor_b32_e32 v7, 0x80000000, v7
	v_xor_b32_e32 v9, 0x80000000, v9
	;; [unrolled: 1-line block ×4, first 2 shown]
	s_cbranch_scc0 .LBB301_20
.LBB301_2:                              ; =>This Loop Header: Depth=1
                                        ;     Child Loop BB301_4 Depth 2
	v_xor_b32_e32 v7, 0x80000000, v7
	v_xor_b32_e32 v9, 0x80000000, v9
	ds_bpermute_b32 v0, v34, v6
	ds_bpermute_b32 v1, v34, v8
	v_xor_b32_e32 v3, 0x80000000, v3
	ds_bpermute_b32 v19, v34, v7
	ds_bpermute_b32 v20, v34, v9
	;; [unrolled: 1-line block ×6, first 2 shown]
	v_xor_b32_e32 v25, 0x80000000, v5
	ds_bpermute_b32 v5, v36, v6
	ds_bpermute_b32 v26, v36, v8
	ds_bpermute_b32 v27, v34, v4
	ds_bpermute_b32 v28, v36, v3
	ds_bpermute_b32 v29, v34, v25
	ds_bpermute_b32 v32, v37, v6
	ds_bpermute_b32 v46, v37, v8
	ds_bpermute_b32 v30, v36, v2
	ds_bpermute_b32 v6, v38, v6
	ds_bpermute_b32 v8, v38, v8
	ds_bpermute_b32 v31, v36, v4
	s_waitcnt lgkmcnt(17)
	v_cndmask_b32_e64 v0, v0, v1, s3
	ds_bpermute_b32 v47, v37, v2
	ds_bpermute_b32 v48, v37, v4
	s_waitcnt lgkmcnt(17)
	v_cndmask_b32_e64 v1, v19, v20, s3
	ds_bpermute_b32 v19, v37, v7
	ds_bpermute_b32 v20, v37, v9
	s_waitcnt lgkmcnt(18)
	v_cndmask_b32_e64 v0, v0, v21, s2
	s_waitcnt lgkmcnt(15)
	v_cndmask_b32_e64 v21, v23, v24, s3
	v_cndmask_b32_e64 v1, v1, v22, s2
	ds_bpermute_b32 v49, v36, v25
	s_waitcnt lgkmcnt(14)
	v_cndmask_b32_e64 v5, v5, v26, s3
	s_waitcnt lgkmcnt(13)
	v_cndmask_b32_e64 v0, v0, v27, s1
	;; [unrolled: 2-line block ×4, first 2 shown]
	ds_bpermute_b32 v7, v38, v7
	ds_bpermute_b32 v9, v38, v9
	;; [unrolled: 1-line block ×7, first 2 shown]
	s_waitcnt lgkmcnt(16)
	v_cndmask_b32_e64 v2, v32, v46, s3
	ds_bpermute_b32 v32, v38, v4
	ds_bpermute_b32 v22, v37, v3
	;; [unrolled: 1-line block ×3, first 2 shown]
	s_waitcnt lgkmcnt(11)
	v_cndmask_b32_e64 v4, v19, v20, s3
	ds_bpermute_b32 v19, v36, v14
	ds_bpermute_b32 v20, v36, v16
	ds_bpermute_b32 v23, v37, v25
	ds_bpermute_b32 v50, v38, v3
	ds_bpermute_b32 v51, v34, v11
	v_cndmask_b32_e64 v3, v5, v30, s2
	v_cndmask_b32_e64 v6, v6, v8, s3
	;; [unrolled: 1-line block ×3, first 2 shown]
	ds_bpermute_b32 v30, v37, v17
	s_waitcnt lgkmcnt(14)
	v_cndmask_b32_e64 v7, v7, v9, s3
	v_cndmask_b32_e64 v2, v3, v31, s1
	;; [unrolled: 1-line block ×3, first 2 shown]
	s_waitcnt lgkmcnt(13)
	v_cndmask_b32_e64 v6, v6, v24, s2
	s_waitcnt lgkmcnt(10)
	v_cndmask_b32_e64 v8, v26, v28, s3
	;; [unrolled: 2-line block ×3, first 2 shown]
	ds_bpermute_b32 v21, v38, v25
	ds_bpermute_b32 v24, v36, v15
	;; [unrolled: 1-line block ×6, first 2 shown]
	s_waitcnt lgkmcnt(10)
	v_cndmask_b32_e64 v19, v19, v20, s3
	ds_bpermute_b32 v20, v36, v10
	ds_bpermute_b32 v14, v38, v14
	;; [unrolled: 1-line block ×5, first 2 shown]
	v_cndmask_b32_e64 v22, v4, v22, s2
	v_cndmask_b32_e64 v6, v6, v32, s1
	;; [unrolled: 1-line block ×3, first 2 shown]
	ds_bpermute_b32 v26, v36, v11
	ds_bpermute_b32 v32, v37, v11
	;; [unrolled: 1-line block ×5, first 2 shown]
	v_cndmask_b32_e64 v4, v5, v48, s1
	s_waitcnt lgkmcnt(19)
	v_cndmask_b32_e64 v5, v22, v23, s1
	s_waitcnt lgkmcnt(18)
	;; [unrolled: 2-line block ×3, first 2 shown]
	v_cndmask_b32_e64 v9, v9, v51, s2
	ds_bpermute_b32 v22, v34, v12
	ds_bpermute_b32 v23, v34, v13
	ds_bpermute_b32 v31, v36, v13
	ds_bpermute_b32 v48, v36, v12
	ds_bpermute_b32 v49, v37, v13
	ds_bpermute_b32 v50, v37, v12
	ds_bpermute_b32 v51, v38, v13
	ds_bpermute_b32 v52, v38, v12
	s_waitcnt lgkmcnt(21)
	v_cndmask_b32_e64 v11, v24, v25, s3
	s_waitcnt lgkmcnt(17)
	v_cndmask_b32_e64 v12, v19, v20, s2
	v_cndmask_b32_e64 v13, v28, v30, s3
	;; [unrolled: 1-line block ×3, first 2 shown]
	s_waitcnt lgkmcnt(14)
	v_cndmask_b32_e64 v15, v15, v17, s3
	s_waitcnt lgkmcnt(13)
	v_cndmask_b32_e64 v14, v14, v16, s3
	;; [unrolled: 2-line block ×7, first 2 shown]
	v_cndmask_b32_e64 v7, v7, v21, s1
	s_waitcnt lgkmcnt(7)
	v_cndmask_b32_e64 v8, v8, v22, s1
	s_waitcnt lgkmcnt(6)
	;; [unrolled: 2-line block ×8, first 2 shown]
	v_cndmask_b32_e64 v14, v14, v52, s1
	s_mov_b64 s[24:25], 0
	s_barrier
	s_branch .LBB301_4
.LBB301_3:                              ;   in Loop: Header=BB301_4 Depth=2
	v_lshlrev_b32_e32 v8, 3, v50
	v_lshlrev_b32_e32 v9, 3, v49
	;; [unrolled: 1-line block ×4, first 2 shown]
	s_barrier
	buffer_gl0_inv
	ds_store_b64 v8, v[16:17]
	ds_store_b64 v9, v[31:32]
	;; [unrolled: 1-line block ×4, first 2 shown]
	s_waitcnt lgkmcnt(0)
	s_barrier
	buffer_gl0_inv
	ds_load_2addr_b64 v[0:3], v44 offset1:32
	ds_load_2addr_b64 v[4:7], v44 offset0:64 offset1:96
	s_waitcnt lgkmcnt(0)
	s_barrier
	buffer_gl0_inv
	ds_store_b64 v8, v[23:24]
	ds_store_b64 v9, v[21:22]
	;; [unrolled: 1-line block ×4, first 2 shown]
	s_waitcnt lgkmcnt(0)
	s_barrier
	buffer_gl0_inv
	ds_load_2addr_b64 v[8:11], v44 offset1:32
	ds_load_2addr_b64 v[12:15], v44 offset0:64 offset1:96
	s_add_u32 s24, s24, 8
	s_addc_u32 s25, s25, 0
	s_waitcnt lgkmcnt(0)
	s_barrier
	s_cbranch_execz .LBB301_1
.LBB301_4:                              ;   Parent Loop BB301_2 Depth=1
                                        ; =>  This Inner Loop Header: Depth=2
	v_dual_mov_b32 v17, v1 :: v_dual_mov_b32 v16, v0
	buffer_gl0_inv
	v_mov_b32_e32 v28, v7
	v_mov_b32_e32 v30, v5
	;; [unrolled: 1-line block ×3, first 2 shown]
	v_lshrrev_b64 v[46:47], s24, v[16:17]
	v_mov_b32_e32 v27, v6
	v_mov_b32_e32 v29, v4
	s_delay_alu instid0(VALU_DEP_3)
	v_dual_mov_b32 v31, v2 :: v_dual_and_b32 v0, 1, v46
	v_lshlrev_b32_e32 v1, 30, v46
	v_lshlrev_b32_e32 v19, 29, v46
	;; [unrolled: 1-line block ×4, first 2 shown]
	v_add_co_u32 v0, s15, v0, -1
	s_delay_alu instid0(VALU_DEP_1)
	v_cndmask_b32_e64 v21, 0, 1, s15
	v_not_b32_e32 v25, v1
	v_cmp_gt_i32_e64 s15, 0, v1
	v_not_b32_e32 v1, v19
	v_lshlrev_b32_e32 v23, 26, v46
	v_cmp_ne_u32_e32 vcc_lo, 0, v21
	v_ashrrev_i32_e32 v25, 31, v25
	v_lshlrev_b32_e32 v24, 25, v46
	v_ashrrev_i32_e32 v1, 31, v1
	v_lshlrev_b32_e32 v21, 24, v46
	v_xor_b32_e32 v0, vcc_lo, v0
	v_cmp_gt_i32_e32 vcc_lo, 0, v19
	v_not_b32_e32 v19, v20
	v_xor_b32_e32 v25, s15, v25
	v_cmp_gt_i32_e64 s15, 0, v20
	v_and_b32_e32 v0, exec_lo, v0
	v_not_b32_e32 v20, v22
	v_ashrrev_i32_e32 v19, 31, v19
	v_xor_b32_e32 v1, vcc_lo, v1
	v_cmp_gt_i32_e32 vcc_lo, 0, v22
	v_and_b32_e32 v0, v0, v25
	v_not_b32_e32 v22, v23
	v_ashrrev_i32_e32 v20, 31, v20
	v_xor_b32_e32 v19, s15, v19
	v_cmp_gt_i32_e64 s15, 0, v23
	v_and_b32_e32 v0, v0, v1
	v_not_b32_e32 v1, v24
	v_ashrrev_i32_e32 v22, 31, v22
	v_xor_b32_e32 v20, vcc_lo, v20
	v_mov_b32_e32 v26, v15
	v_dual_mov_b32 v25, v14 :: v_dual_and_b32 v0, v0, v19
	v_cmp_gt_i32_e32 vcc_lo, 0, v24
	v_ashrrev_i32_e32 v1, 31, v1
	v_xor_b32_e32 v22, s15, v22
	s_delay_alu instid0(VALU_DEP_4)
	v_and_b32_e32 v0, v0, v20
	v_mov_b32_e32 v24, v9
	v_not_b32_e32 v19, v21
	v_cmp_gt_i32_e64 s15, 0, v21
	v_xor_b32_e32 v1, vcc_lo, v1
	v_and_b32_e32 v0, v0, v22
	v_and_b32_e32 v5, 0xff, v46
	v_ashrrev_i32_e32 v19, 31, v19
	v_dual_mov_b32 v23, v8 :: v_dual_mov_b32 v22, v11
	s_delay_alu instid0(VALU_DEP_4) | instskip(NEXT) | instid1(VALU_DEP_3)
	v_dual_mov_b32 v1, s22 :: v_dual_and_b32 v0, v0, v1
	v_xor_b32_e32 v3, s15, v19
	v_mov_b32_e32 v20, v13
	v_dual_mov_b32 v2, s23 :: v_dual_mov_b32 v21, v10
	v_mov_b32_e32 v19, v12
	s_delay_alu instid0(VALU_DEP_4)
	v_dual_mov_b32 v3, s16 :: v_dual_and_b32 v0, v0, v3
	v_mov_b32_e32 v4, s17
	ds_store_2addr_b64 v33, v[1:2], v[3:4] offset0:2 offset1:3
	ds_store_2addr_b64 v39, v[1:2], v[3:4] offset0:2 offset1:3
	v_mbcnt_lo_u32_b32 v8, v0, 0
	v_lshl_add_u32 v1, v5, 2, v45
	v_cmp_ne_u32_e64 s15, 0, v0
	s_waitcnt lgkmcnt(0)
	s_barrier
	v_cmp_eq_u32_e32 vcc_lo, 0, v8
	v_lshl_add_u32 v9, v1, 2, 16
	buffer_gl0_inv
	; wave barrier
	s_and_b32 s27, s15, vcc_lo
	s_delay_alu instid0(SALU_CYCLE_1)
	s_and_saveexec_b32 s15, s27
	s_cbranch_execz .LBB301_6
; %bb.5:                                ;   in Loop: Header=BB301_4 Depth=2
	v_bcnt_u32_b32 v0, v0, 0
	ds_store_b32 v9, v0
.LBB301_6:                              ;   in Loop: Header=BB301_4 Depth=2
	s_or_b32 exec_lo, exec_lo, s15
	v_lshrrev_b64 v[0:1], s24, v[31:32]
	; wave barrier
	s_delay_alu instid0(VALU_DEP_1)
	v_and_b32_e32 v2, 1, v0
	v_lshlrev_b32_e32 v3, 30, v0
	v_lshlrev_b32_e32 v4, 29, v0
	;; [unrolled: 1-line block ×4, first 2 shown]
	v_add_co_u32 v2, s15, v2, -1
	s_delay_alu instid0(VALU_DEP_1)
	v_cndmask_b32_e64 v6, 0, 1, s15
	v_not_b32_e32 v12, v3
	v_cmp_gt_i32_e64 s15, 0, v3
	v_not_b32_e32 v3, v4
	v_lshlrev_b32_e32 v10, 26, v0
	v_cmp_ne_u32_e32 vcc_lo, 0, v6
	v_ashrrev_i32_e32 v6, 31, v12
	v_lshlrev_b32_e32 v11, 25, v0
	v_ashrrev_i32_e32 v3, 31, v3
	v_and_b32_e32 v1, 0xff, v0
	v_xor_b32_e32 v2, vcc_lo, v2
	v_cmp_gt_i32_e32 vcc_lo, 0, v4
	v_not_b32_e32 v4, v5
	v_xor_b32_e32 v6, s15, v6
	v_cmp_gt_i32_e64 s15, 0, v5
	v_and_b32_e32 v2, exec_lo, v2
	v_not_b32_e32 v5, v7
	v_ashrrev_i32_e32 v4, 31, v4
	v_xor_b32_e32 v3, vcc_lo, v3
	v_cmp_gt_i32_e32 vcc_lo, 0, v7
	v_and_b32_e32 v2, v2, v6
	v_not_b32_e32 v6, v10
	v_ashrrev_i32_e32 v5, 31, v5
	v_xor_b32_e32 v4, s15, v4
	v_lshlrev_b32_e32 v0, 24, v0
	v_and_b32_e32 v2, v2, v3
	v_cmp_gt_i32_e64 s15, 0, v10
	v_not_b32_e32 v3, v11
	v_ashrrev_i32_e32 v6, 31, v6
	v_xor_b32_e32 v5, vcc_lo, v5
	v_and_b32_e32 v2, v2, v4
	v_cmp_gt_i32_e32 vcc_lo, 0, v11
	v_not_b32_e32 v4, v0
	v_ashrrev_i32_e32 v3, 31, v3
	v_xor_b32_e32 v6, s15, v6
	v_and_b32_e32 v2, v2, v5
	v_lshlrev_b32_e32 v1, 2, v1
	v_cmp_gt_i32_e64 s15, 0, v0
	v_ashrrev_i32_e32 v0, 31, v4
	v_xor_b32_e32 v3, vcc_lo, v3
	v_and_b32_e32 v2, v2, v6
	v_add_lshl_u32 v1, v1, v45, 2
	s_delay_alu instid0(VALU_DEP_4) | instskip(NEXT) | instid1(VALU_DEP_3)
	v_xor_b32_e32 v0, s15, v0
	v_and_b32_e32 v2, v2, v3
	ds_load_b32 v10, v1 offset:16
	v_add_nc_u32_e32 v12, 16, v1
	; wave barrier
	v_and_b32_e32 v0, v2, v0
	s_delay_alu instid0(VALU_DEP_1) | instskip(SKIP_1) | instid1(VALU_DEP_2)
	v_mbcnt_lo_u32_b32 v11, v0, 0
	v_cmp_ne_u32_e64 s15, 0, v0
	v_cmp_eq_u32_e32 vcc_lo, 0, v11
	s_delay_alu instid0(VALU_DEP_2) | instskip(NEXT) | instid1(SALU_CYCLE_1)
	s_and_b32 s27, s15, vcc_lo
	s_and_saveexec_b32 s15, s27
	s_cbranch_execz .LBB301_8
; %bb.7:                                ;   in Loop: Header=BB301_4 Depth=2
	s_waitcnt lgkmcnt(0)
	v_bcnt_u32_b32 v0, v0, v10
	ds_store_b32 v12, v0
.LBB301_8:                              ;   in Loop: Header=BB301_4 Depth=2
	s_or_b32 exec_lo, exec_lo, s15
	v_lshrrev_b64 v[0:1], s24, v[29:30]
	; wave barrier
	s_delay_alu instid0(VALU_DEP_1)
	v_and_b32_e32 v2, 1, v0
	v_lshlrev_b32_e32 v3, 30, v0
	v_lshlrev_b32_e32 v4, 29, v0
	;; [unrolled: 1-line block ×4, first 2 shown]
	v_add_co_u32 v2, s15, v2, -1
	s_delay_alu instid0(VALU_DEP_1)
	v_cndmask_b32_e64 v6, 0, 1, s15
	v_not_b32_e32 v15, v3
	v_cmp_gt_i32_e64 s15, 0, v3
	v_not_b32_e32 v3, v4
	v_lshlrev_b32_e32 v13, 26, v0
	v_cmp_ne_u32_e32 vcc_lo, 0, v6
	v_ashrrev_i32_e32 v6, 31, v15
	v_lshlrev_b32_e32 v14, 25, v0
	v_ashrrev_i32_e32 v3, 31, v3
	v_and_b32_e32 v1, 0xff, v0
	v_xor_b32_e32 v2, vcc_lo, v2
	v_cmp_gt_i32_e32 vcc_lo, 0, v4
	v_not_b32_e32 v4, v5
	v_xor_b32_e32 v6, s15, v6
	v_cmp_gt_i32_e64 s15, 0, v5
	v_and_b32_e32 v2, exec_lo, v2
	v_not_b32_e32 v5, v7
	v_ashrrev_i32_e32 v4, 31, v4
	v_xor_b32_e32 v3, vcc_lo, v3
	v_cmp_gt_i32_e32 vcc_lo, 0, v7
	v_and_b32_e32 v2, v2, v6
	v_not_b32_e32 v6, v13
	v_ashrrev_i32_e32 v5, 31, v5
	v_xor_b32_e32 v4, s15, v4
	v_lshlrev_b32_e32 v0, 24, v0
	v_and_b32_e32 v2, v2, v3
	v_cmp_gt_i32_e64 s15, 0, v13
	v_not_b32_e32 v3, v14
	v_ashrrev_i32_e32 v6, 31, v6
	v_xor_b32_e32 v5, vcc_lo, v5
	v_and_b32_e32 v2, v2, v4
	v_cmp_gt_i32_e32 vcc_lo, 0, v14
	v_not_b32_e32 v4, v0
	v_ashrrev_i32_e32 v3, 31, v3
	v_xor_b32_e32 v6, s15, v6
	v_and_b32_e32 v2, v2, v5
	v_lshlrev_b32_e32 v1, 2, v1
	v_cmp_gt_i32_e64 s15, 0, v0
	v_ashrrev_i32_e32 v0, 31, v4
	v_xor_b32_e32 v3, vcc_lo, v3
	v_and_b32_e32 v2, v2, v6
	v_add_lshl_u32 v1, v1, v45, 2
	s_delay_alu instid0(VALU_DEP_4) | instskip(NEXT) | instid1(VALU_DEP_3)
	v_xor_b32_e32 v0, s15, v0
	v_and_b32_e32 v2, v2, v3
	ds_load_b32 v13, v1 offset:16
	v_add_nc_u32_e32 v15, 16, v1
	; wave barrier
	v_and_b32_e32 v0, v2, v0
	s_delay_alu instid0(VALU_DEP_1) | instskip(SKIP_1) | instid1(VALU_DEP_2)
	v_mbcnt_lo_u32_b32 v14, v0, 0
	v_cmp_ne_u32_e64 s15, 0, v0
	v_cmp_eq_u32_e32 vcc_lo, 0, v14
	s_delay_alu instid0(VALU_DEP_2) | instskip(NEXT) | instid1(SALU_CYCLE_1)
	s_and_b32 s27, s15, vcc_lo
	s_and_saveexec_b32 s15, s27
	s_cbranch_execz .LBB301_10
; %bb.9:                                ;   in Loop: Header=BB301_4 Depth=2
	s_waitcnt lgkmcnt(0)
	v_bcnt_u32_b32 v0, v0, v13
	ds_store_b32 v15, v0
.LBB301_10:                             ;   in Loop: Header=BB301_4 Depth=2
	s_or_b32 exec_lo, exec_lo, s15
	v_lshrrev_b64 v[0:1], s24, v[27:28]
	; wave barrier
	s_delay_alu instid0(VALU_DEP_1)
	v_and_b32_e32 v2, 1, v0
	v_lshlrev_b32_e32 v3, 30, v0
	v_lshlrev_b32_e32 v4, 29, v0
	;; [unrolled: 1-line block ×4, first 2 shown]
	v_add_co_u32 v2, s15, v2, -1
	s_delay_alu instid0(VALU_DEP_1)
	v_cndmask_b32_e64 v6, 0, 1, s15
	v_not_b32_e32 v48, v3
	v_cmp_gt_i32_e64 s15, 0, v3
	v_not_b32_e32 v3, v4
	v_lshlrev_b32_e32 v46, 26, v0
	v_cmp_ne_u32_e32 vcc_lo, 0, v6
	v_ashrrev_i32_e32 v6, 31, v48
	v_lshlrev_b32_e32 v47, 25, v0
	v_ashrrev_i32_e32 v3, 31, v3
	v_and_b32_e32 v1, 0xff, v0
	v_xor_b32_e32 v2, vcc_lo, v2
	v_cmp_gt_i32_e32 vcc_lo, 0, v4
	v_not_b32_e32 v4, v5
	v_xor_b32_e32 v6, s15, v6
	v_cmp_gt_i32_e64 s15, 0, v5
	v_and_b32_e32 v2, exec_lo, v2
	v_not_b32_e32 v5, v7
	v_ashrrev_i32_e32 v4, 31, v4
	v_xor_b32_e32 v3, vcc_lo, v3
	v_cmp_gt_i32_e32 vcc_lo, 0, v7
	v_and_b32_e32 v2, v2, v6
	v_not_b32_e32 v6, v46
	v_ashrrev_i32_e32 v5, 31, v5
	v_xor_b32_e32 v4, s15, v4
	v_lshlrev_b32_e32 v0, 24, v0
	v_and_b32_e32 v2, v2, v3
	v_cmp_gt_i32_e64 s15, 0, v46
	v_not_b32_e32 v3, v47
	v_ashrrev_i32_e32 v6, 31, v6
	v_xor_b32_e32 v5, vcc_lo, v5
	v_and_b32_e32 v2, v2, v4
	v_cmp_gt_i32_e32 vcc_lo, 0, v47
	v_not_b32_e32 v4, v0
	v_ashrrev_i32_e32 v3, 31, v3
	v_xor_b32_e32 v6, s15, v6
	v_and_b32_e32 v2, v2, v5
	v_lshlrev_b32_e32 v1, 2, v1
	v_cmp_gt_i32_e64 s15, 0, v0
	v_ashrrev_i32_e32 v0, 31, v4
	v_xor_b32_e32 v3, vcc_lo, v3
	v_and_b32_e32 v2, v2, v6
	v_add_lshl_u32 v1, v1, v45, 2
	s_delay_alu instid0(VALU_DEP_4) | instskip(NEXT) | instid1(VALU_DEP_3)
	v_xor_b32_e32 v0, s15, v0
	v_and_b32_e32 v2, v2, v3
	ds_load_b32 v46, v1 offset:16
	v_add_nc_u32_e32 v48, 16, v1
	; wave barrier
	v_and_b32_e32 v0, v2, v0
	s_delay_alu instid0(VALU_DEP_1) | instskip(SKIP_1) | instid1(VALU_DEP_2)
	v_mbcnt_lo_u32_b32 v47, v0, 0
	v_cmp_ne_u32_e64 s15, 0, v0
	v_cmp_eq_u32_e32 vcc_lo, 0, v47
	s_delay_alu instid0(VALU_DEP_2) | instskip(NEXT) | instid1(SALU_CYCLE_1)
	s_and_b32 s27, s15, vcc_lo
	s_and_saveexec_b32 s15, s27
	s_cbranch_execz .LBB301_12
; %bb.11:                               ;   in Loop: Header=BB301_4 Depth=2
	s_waitcnt lgkmcnt(0)
	v_bcnt_u32_b32 v0, v0, v46
	ds_store_b32 v48, v0
.LBB301_12:                             ;   in Loop: Header=BB301_4 Depth=2
	s_or_b32 exec_lo, exec_lo, s15
	; wave barrier
	s_waitcnt lgkmcnt(0)
	s_barrier
	buffer_gl0_inv
	ds_load_2addr_b64 v[4:7], v33 offset0:2 offset1:3
	ds_load_2addr_b64 v[0:3], v39 offset0:2 offset1:3
	s_waitcnt lgkmcnt(1)
	v_add_nc_u32_e32 v49, v5, v4
	s_delay_alu instid0(VALU_DEP_1) | instskip(SKIP_1) | instid1(VALU_DEP_1)
	v_add3_u32 v49, v49, v6, v7
	s_waitcnt lgkmcnt(0)
	v_add3_u32 v49, v49, v0, v1
	s_delay_alu instid0(VALU_DEP_1) | instskip(NEXT) | instid1(VALU_DEP_1)
	v_add3_u32 v3, v49, v2, v3
	v_mov_b32_dpp v49, v3 row_shr:1 row_mask:0xf bank_mask:0xf
	s_delay_alu instid0(VALU_DEP_1) | instskip(NEXT) | instid1(VALU_DEP_1)
	v_cndmask_b32_e64 v49, v49, 0, s5
	v_add_nc_u32_e32 v3, v49, v3
	s_delay_alu instid0(VALU_DEP_1) | instskip(NEXT) | instid1(VALU_DEP_1)
	v_mov_b32_dpp v49, v3 row_shr:2 row_mask:0xf bank_mask:0xf
	v_cndmask_b32_e64 v49, 0, v49, s6
	s_delay_alu instid0(VALU_DEP_1) | instskip(NEXT) | instid1(VALU_DEP_1)
	v_add_nc_u32_e32 v3, v3, v49
	v_mov_b32_dpp v49, v3 row_shr:4 row_mask:0xf bank_mask:0xf
	s_delay_alu instid0(VALU_DEP_1) | instskip(NEXT) | instid1(VALU_DEP_1)
	v_cndmask_b32_e64 v49, 0, v49, s7
	v_add_nc_u32_e32 v3, v3, v49
	s_delay_alu instid0(VALU_DEP_1) | instskip(NEXT) | instid1(VALU_DEP_1)
	v_mov_b32_dpp v49, v3 row_shr:8 row_mask:0xf bank_mask:0xf
	v_cndmask_b32_e64 v49, 0, v49, s8
	s_delay_alu instid0(VALU_DEP_1) | instskip(SKIP_3) | instid1(VALU_DEP_1)
	v_add_nc_u32_e32 v3, v3, v49
	ds_swizzle_b32 v49, v3 offset:swizzle(BROADCAST,32,15)
	s_waitcnt lgkmcnt(0)
	v_cndmask_b32_e64 v49, v49, 0, s9
	v_add_nc_u32_e32 v3, v3, v49
	s_and_saveexec_b32 s15, s14
	s_cbranch_execz .LBB301_14
; %bb.13:                               ;   in Loop: Header=BB301_4 Depth=2
	ds_store_b32 v40, v3
.LBB301_14:                             ;   in Loop: Header=BB301_4 Depth=2
	s_or_b32 exec_lo, exec_lo, s15
	s_waitcnt lgkmcnt(0)
	s_barrier
	buffer_gl0_inv
	s_and_saveexec_b32 s15, s10
	s_cbranch_execz .LBB301_16
; %bb.15:                               ;   in Loop: Header=BB301_4 Depth=2
	ds_load_b32 v49, v42
	s_waitcnt lgkmcnt(0)
	v_mov_b32_dpp v50, v49 row_shr:1 row_mask:0xf bank_mask:0xf
	s_delay_alu instid0(VALU_DEP_1) | instskip(NEXT) | instid1(VALU_DEP_1)
	v_cndmask_b32_e64 v50, v50, 0, s4
	v_add_nc_u32_e32 v49, v50, v49
	s_delay_alu instid0(VALU_DEP_1) | instskip(NEXT) | instid1(VALU_DEP_1)
	v_mov_b32_dpp v50, v49 row_shr:2 row_mask:0xf bank_mask:0xf
	v_cndmask_b32_e64 v50, 0, v50, s13
	s_delay_alu instid0(VALU_DEP_1)
	v_add_nc_u32_e32 v49, v49, v50
	ds_store_b32 v42, v49
.LBB301_16:                             ;   in Loop: Header=BB301_4 Depth=2
	s_or_b32 exec_lo, exec_lo, s15
	v_mov_b32_e32 v49, 0
	s_waitcnt lgkmcnt(0)
	s_barrier
	buffer_gl0_inv
	s_and_saveexec_b32 s15, s11
	s_cbranch_execz .LBB301_18
; %bb.17:                               ;   in Loop: Header=BB301_4 Depth=2
	ds_load_b32 v49, v43
.LBB301_18:                             ;   in Loop: Header=BB301_4 Depth=2
	s_or_b32 exec_lo, exec_lo, s15
	s_waitcnt lgkmcnt(0)
	v_add_nc_u32_e32 v3, v49, v3
	s_cmp_gt_u32 s24, 55
	ds_bpermute_b32 v3, v41, v3
	s_waitcnt lgkmcnt(0)
	v_cndmask_b32_e64 v3, v3, v49, s0
	s_delay_alu instid0(VALU_DEP_1) | instskip(NEXT) | instid1(VALU_DEP_1)
	v_cndmask_b32_e64 v3, v3, 0, s12
	v_add_nc_u32_e32 v4, v3, v4
	s_delay_alu instid0(VALU_DEP_1) | instskip(NEXT) | instid1(VALU_DEP_1)
	v_add_nc_u32_e32 v5, v4, v5
	v_add_nc_u32_e32 v6, v5, v6
	s_delay_alu instid0(VALU_DEP_1) | instskip(NEXT) | instid1(VALU_DEP_1)
	v_add_nc_u32_e32 v49, v6, v7
	;; [unrolled: 3-line block ×3, first 2 shown]
	v_add_nc_u32_e32 v1, v0, v2
	ds_store_2addr_b64 v33, v[3:4], v[5:6] offset0:2 offset1:3
	ds_store_2addr_b64 v39, v[49:50], v[0:1] offset0:2 offset1:3
	s_waitcnt lgkmcnt(0)
	s_barrier
	buffer_gl0_inv
	ds_load_b32 v0, v9
	ds_load_b32 v1, v12
	;; [unrolled: 1-line block ×4, first 2 shown]
	s_waitcnt lgkmcnt(3)
	v_add_nc_u32_e32 v50, v0, v8
	s_waitcnt lgkmcnt(2)
	v_add3_u32 v49, v11, v10, v1
	s_waitcnt lgkmcnt(1)
	v_add3_u32 v48, v14, v13, v2
	s_waitcnt lgkmcnt(0)
	v_add3_u32 v46, v47, v46, v3
	s_cbranch_scc0 .LBB301_3
; %bb.19:                               ;   in Loop: Header=BB301_2 Depth=1
                                        ; implicit-def: $vgpr6_vgpr7
                                        ; implicit-def: $vgpr2_vgpr3
                                        ; implicit-def: $vgpr8_vgpr9
                                        ; implicit-def: $vgpr12_vgpr13
                                        ; implicit-def: $sgpr24_sgpr25
	s_branch .LBB301_1
.LBB301_20:
	s_waitcnt lgkmcnt(1)
	v_add_co_u32 v0, vcc_lo, v14, v6
	v_add_co_ci_u32_e32 v1, vcc_lo, v15, v7, vcc_lo
	v_add_co_u32 v6, vcc_lo, v16, v8
	v_add_co_ci_u32_e32 v7, vcc_lo, v17, v9, vcc_lo
	s_waitcnt lgkmcnt(0)
	v_add_co_u32 v2, vcc_lo, v10, v2
	v_add_co_ci_u32_e32 v3, vcc_lo, v11, v3, vcc_lo
	v_lshlrev_b32_e32 v8, 3, v18
	v_add_co_u32 v4, vcc_lo, v12, v4
	s_add_u32 s0, s18, s20
	v_add_co_ci_u32_e32 v5, vcc_lo, v13, v5, vcc_lo
	s_addc_u32 s1, s19, s21
	s_clause 0x3
	global_store_b64 v8, v[0:1], s[0:1]
	global_store_b64 v8, v[6:7], s[0:1] offset:1024
	global_store_b64 v8, v[2:3], s[0:1] offset:2048
	;; [unrolled: 1-line block ×3, first 2 shown]
	s_nop 0
	s_sendmsg sendmsg(MSG_DEALLOC_VGPRS)
	s_endpgm
	.section	.rodata,"a",@progbits
	.p2align	6, 0x0
	.amdhsa_kernel _Z17sort_pairs_kernelI22helper_blocked_stripedxLj128ELj4ELj10EEvPKT0_PS1_
		.amdhsa_group_segment_fixed_size 4112
		.amdhsa_private_segment_fixed_size 0
		.amdhsa_kernarg_size 272
		.amdhsa_user_sgpr_count 15
		.amdhsa_user_sgpr_dispatch_ptr 0
		.amdhsa_user_sgpr_queue_ptr 0
		.amdhsa_user_sgpr_kernarg_segment_ptr 1
		.amdhsa_user_sgpr_dispatch_id 0
		.amdhsa_user_sgpr_private_segment_size 0
		.amdhsa_wavefront_size32 1
		.amdhsa_uses_dynamic_stack 0
		.amdhsa_enable_private_segment 0
		.amdhsa_system_sgpr_workgroup_id_x 1
		.amdhsa_system_sgpr_workgroup_id_y 0
		.amdhsa_system_sgpr_workgroup_id_z 0
		.amdhsa_system_sgpr_workgroup_info 0
		.amdhsa_system_vgpr_workitem_id 2
		.amdhsa_next_free_vgpr 53
		.amdhsa_next_free_sgpr 28
		.amdhsa_reserve_vcc 1
		.amdhsa_float_round_mode_32 0
		.amdhsa_float_round_mode_16_64 0
		.amdhsa_float_denorm_mode_32 3
		.amdhsa_float_denorm_mode_16_64 3
		.amdhsa_dx10_clamp 1
		.amdhsa_ieee_mode 1
		.amdhsa_fp16_overflow 0
		.amdhsa_workgroup_processor_mode 1
		.amdhsa_memory_ordered 1
		.amdhsa_forward_progress 0
		.amdhsa_shared_vgpr_count 0
		.amdhsa_exception_fp_ieee_invalid_op 0
		.amdhsa_exception_fp_denorm_src 0
		.amdhsa_exception_fp_ieee_div_zero 0
		.amdhsa_exception_fp_ieee_overflow 0
		.amdhsa_exception_fp_ieee_underflow 0
		.amdhsa_exception_fp_ieee_inexact 0
		.amdhsa_exception_int_div_zero 0
	.end_amdhsa_kernel
	.section	.text._Z17sort_pairs_kernelI22helper_blocked_stripedxLj128ELj4ELj10EEvPKT0_PS1_,"axG",@progbits,_Z17sort_pairs_kernelI22helper_blocked_stripedxLj128ELj4ELj10EEvPKT0_PS1_,comdat
.Lfunc_end301:
	.size	_Z17sort_pairs_kernelI22helper_blocked_stripedxLj128ELj4ELj10EEvPKT0_PS1_, .Lfunc_end301-_Z17sort_pairs_kernelI22helper_blocked_stripedxLj128ELj4ELj10EEvPKT0_PS1_
                                        ; -- End function
	.section	.AMDGPU.csdata,"",@progbits
; Kernel info:
; codeLenInByte = 4048
; NumSgprs: 30
; NumVgprs: 53
; ScratchSize: 0
; MemoryBound: 0
; FloatMode: 240
; IeeeMode: 1
; LDSByteSize: 4112 bytes/workgroup (compile time only)
; SGPRBlocks: 3
; VGPRBlocks: 6
; NumSGPRsForWavesPerEU: 30
; NumVGPRsForWavesPerEU: 53
; Occupancy: 16
; WaveLimiterHint : 1
; COMPUTE_PGM_RSRC2:SCRATCH_EN: 0
; COMPUTE_PGM_RSRC2:USER_SGPR: 15
; COMPUTE_PGM_RSRC2:TRAP_HANDLER: 0
; COMPUTE_PGM_RSRC2:TGID_X_EN: 1
; COMPUTE_PGM_RSRC2:TGID_Y_EN: 0
; COMPUTE_PGM_RSRC2:TGID_Z_EN: 0
; COMPUTE_PGM_RSRC2:TIDIG_COMP_CNT: 2
	.section	.text._Z16sort_keys_kernelI22helper_blocked_stripedxLj128ELj8ELj10EEvPKT0_PS1_,"axG",@progbits,_Z16sort_keys_kernelI22helper_blocked_stripedxLj128ELj8ELj10EEvPKT0_PS1_,comdat
	.protected	_Z16sort_keys_kernelI22helper_blocked_stripedxLj128ELj8ELj10EEvPKT0_PS1_ ; -- Begin function _Z16sort_keys_kernelI22helper_blocked_stripedxLj128ELj8ELj10EEvPKT0_PS1_
	.globl	_Z16sort_keys_kernelI22helper_blocked_stripedxLj128ELj8ELj10EEvPKT0_PS1_
	.p2align	8
	.type	_Z16sort_keys_kernelI22helper_blocked_stripedxLj128ELj8ELj10EEvPKT0_PS1_,@function
_Z16sort_keys_kernelI22helper_blocked_stripedxLj128ELj8ELj10EEvPKT0_PS1_: ; @_Z16sort_keys_kernelI22helper_blocked_stripedxLj128ELj8ELj10EEvPKT0_PS1_
; %bb.0:
	s_clause 0x1
	s_load_b128 s[16:19], s[0:1], 0x0
	s_load_b32 s2, s[0:1], 0x1c
	v_and_b32_e32 v17, 0x3ff, v0
	s_mov_b32 s21, 0
	s_lshl_b32 s20, s15, 10
	v_mbcnt_lo_u32_b32 v20, -1, 0
	s_lshl_b64 s[14:15], s[20:21], 3
	v_lshlrev_b32_e32 v13, 6, v17
	v_bfe_u32 v18, v0, 10, 10
	v_bfe_u32 v0, v0, 20, 10
	v_lshlrev_b32_e32 v32, 3, v17
	v_and_b32_e32 v21, 0x60, v17
	v_lshlrev_b32_e32 v33, 5, v17
	v_cmp_gt_u32_e64 s6, 4, v17
	v_cmp_lt_u32_e64 s7, 31, v17
	v_cmp_eq_u32_e64 s9, 0, v17
	v_or_b32_e32 v22, v20, v21
	v_or_b32_e32 v21, 31, v21
	v_mad_i32_i24 v40, 0xffffffe4, v17, v33
	v_or_b32_e32 v36, 16, v33
	s_waitcnt lgkmcnt(0)
	s_add_u32 s0, s16, s14
	s_addc_u32 s1, s17, s15
	v_cmp_eq_u32_e64 s5, v21, v17
	s_clause 0x3
	global_load_b128 v[1:4], v13, s[0:1] offset:48
	global_load_b128 v[5:8], v13, s[0:1] offset:32
	;; [unrolled: 1-line block ×3, first 2 shown]
	global_load_b128 v[13:16], v13, s[0:1]
	s_lshr_b32 s0, s2, 16
	v_lshlrev_b32_e32 v34, 6, v22
	v_mad_u32_u24 v0, v0, s0, v18
	s_and_b32 s0, s2, 0xffff
	v_cmp_eq_u32_e64 s8, 0, v20
	s_mov_b32 s20, s21
	s_mov_b32 s16, s21
	v_mad_u64_u32 v[18:19], null, v0, s0, v[17:18]
	v_and_or_b32 v0, 0x300, v32, v20
	v_and_b32_e32 v19, 15, v20
	s_mov_b32 s17, s21
	s_mov_b32 s13, s21
	s_delay_alu instid0(VALU_DEP_2) | instskip(NEXT) | instid1(VALU_DEP_4)
	v_lshlrev_b32_e32 v35, 3, v0
	v_lshrrev_b32_e32 v37, 5, v18
	v_add_nc_u32_e32 v18, -1, v20
	v_and_b32_e32 v0, 16, v20
	v_cmp_eq_u32_e64 s0, 0, v19
	v_cmp_lt_u32_e64 s1, 1, v19
	v_cmp_lt_u32_e64 s2, 3, v19
	v_cmp_gt_i32_e32 vcc_lo, 0, v18
	v_cmp_eq_u32_e64 s4, 0, v0
	v_cmp_lt_u32_e64 s3, 7, v19
	v_cndmask_b32_e32 v0, v18, v20, vcc_lo
	v_lshrrev_b32_e32 v18, 3, v17
	v_lshlrev_b32_e32 v17, 2, v17
	s_delay_alu instid0(VALU_DEP_3) | instskip(SKIP_1) | instid1(VALU_DEP_4)
	v_lshlrev_b32_e32 v38, 2, v0
	v_and_b32_e32 v0, 3, v20
	v_and_b32_e32 v39, 12, v18
	s_delay_alu instid0(VALU_DEP_4) | instskip(NEXT) | instid1(VALU_DEP_3)
	v_add_nc_u32_e32 v42, v40, v17
	v_cmp_eq_u32_e64 s10, 0, v0
	v_cmp_lt_u32_e64 s11, 1, v0
	s_delay_alu instid0(VALU_DEP_4)
	v_add_nc_u32_e32 v41, -4, v39
	s_branch .LBB302_2
.LBB302_1:                              ;   in Loop: Header=BB302_2 Depth=1
	v_lshlrev_b32_e32 v0, 3, v57
	v_lshlrev_b32_e32 v1, 3, v54
	;; [unrolled: 1-line block ×3, first 2 shown]
	s_barrier
	buffer_gl0_inv
	ds_store_b64 v0, v[16:17]
	ds_store_b64 v1, v[30:31]
	;; [unrolled: 1-line block ×3, first 2 shown]
	v_lshlrev_b32_e32 v0, 3, v48
	v_lshlrev_b32_e32 v1, 3, v46
	v_lshlrev_b32_e32 v2, 3, v45
	v_lshlrev_b32_e32 v3, 3, v44
	v_lshlrev_b32_e32 v4, 3, v43
	ds_store_b64 v0, v[26:27]
	ds_store_b64 v1, v[24:25]
	;; [unrolled: 1-line block ×5, first 2 shown]
	s_waitcnt lgkmcnt(0)
	s_barrier
	buffer_gl0_inv
	ds_load_2addr_stride64_b64 v[13:16], v42 offset1:2
	ds_load_2addr_stride64_b64 v[9:12], v42 offset0:4 offset1:6
	ds_load_2addr_stride64_b64 v[5:8], v42 offset0:8 offset1:10
	;; [unrolled: 1-line block ×3, first 2 shown]
	s_add_i32 s13, s13, 1
	s_delay_alu instid0(SALU_CYCLE_1)
	s_cmp_eq_u32 s13, 10
	s_waitcnt lgkmcnt(3)
	v_xor_b32_e32 v14, 0x80000000, v14
	v_xor_b32_e32 v16, 0x80000000, v16
	s_waitcnt lgkmcnt(2)
	v_xor_b32_e32 v10, 0x80000000, v10
	v_xor_b32_e32 v12, 0x80000000, v12
	;; [unrolled: 3-line block ×4, first 2 shown]
	s_cbranch_scc1 .LBB302_28
.LBB302_2:                              ; =>This Loop Header: Depth=1
                                        ;     Child Loop BB302_4 Depth 2
	s_waitcnt vmcnt(0)
	v_xor_b32_e32 v14, 0x80000000, v14
	v_xor_b32_e32 v16, 0x80000000, v16
	;; [unrolled: 1-line block ×8, first 2 shown]
	ds_store_2addr_b64 v34, v[13:14], v[15:16] offset1:1
	ds_store_2addr_b64 v34, v[9:10], v[11:12] offset0:2 offset1:3
	ds_store_2addr_b64 v34, v[5:6], v[7:8] offset0:4 offset1:5
	ds_store_2addr_b64 v34, v[1:2], v[3:4] offset0:6 offset1:7
	; wave barrier
	ds_load_2addr_b64 v[0:3], v35 offset1:32
	ds_load_2addr_b64 v[4:7], v35 offset0:64 offset1:96
	ds_load_2addr_b64 v[8:11], v35 offset0:128 offset1:160
	;; [unrolled: 1-line block ×3, first 2 shown]
	s_mov_b64 s[22:23], 0
	s_waitcnt lgkmcnt(0)
	s_barrier
	buffer_gl0_inv
	; wave barrier
	s_barrier
	s_branch .LBB302_4
.LBB302_3:                              ;   in Loop: Header=BB302_4 Depth=2
	v_lshlrev_b32_e32 v0, 3, v57
	v_lshlrev_b32_e32 v1, 3, v54
	;; [unrolled: 1-line block ×3, first 2 shown]
	s_barrier
	buffer_gl0_inv
	ds_store_b64 v0, v[16:17]
	ds_store_b64 v1, v[30:31]
	;; [unrolled: 1-line block ×3, first 2 shown]
	v_lshlrev_b32_e32 v0, 3, v48
	v_lshlrev_b32_e32 v1, 3, v46
	;; [unrolled: 1-line block ×5, first 2 shown]
	ds_store_b64 v0, v[26:27]
	ds_store_b64 v1, v[24:25]
	;; [unrolled: 1-line block ×5, first 2 shown]
	s_waitcnt lgkmcnt(0)
	s_barrier
	buffer_gl0_inv
	ds_load_2addr_b64 v[0:3], v35 offset1:32
	ds_load_2addr_b64 v[4:7], v35 offset0:64 offset1:96
	ds_load_2addr_b64 v[8:11], v35 offset0:128 offset1:160
	;; [unrolled: 1-line block ×3, first 2 shown]
	s_add_u32 s22, s22, 8
	s_addc_u32 s23, s23, 0
	s_waitcnt lgkmcnt(0)
	s_barrier
	s_cbranch_execz .LBB302_1
.LBB302_4:                              ;   Parent Loop BB302_2 Depth=1
                                        ; =>  This Inner Loop Header: Depth=2
	v_dual_mov_b32 v17, v1 :: v_dual_mov_b32 v16, v0
	buffer_gl0_inv
	v_mov_b32_e32 v27, v7
	v_dual_mov_b32 v29, v5 :: v_dual_mov_b32 v28, v4
	v_lshrrev_b64 v[43:44], s22, v[16:17]
	v_mov_b32_e32 v4, s20
	v_mov_b32_e32 v26, v6
	v_dual_mov_b32 v6, s16 :: v_dual_mov_b32 v5, s21
	s_delay_alu instid0(VALU_DEP_4)
	v_dual_mov_b32 v7, s17 :: v_dual_and_b32 v0, 1, v43
	v_lshlrev_b32_e32 v1, 30, v43
	v_lshlrev_b32_e32 v18, 29, v43
	;; [unrolled: 1-line block ×4, first 2 shown]
	v_add_co_u32 v0, s12, v0, -1
	s_delay_alu instid0(VALU_DEP_1)
	v_cndmask_b32_e64 v20, 0, 1, s12
	v_not_b32_e32 v24, v1
	v_cmp_gt_i32_e64 s12, 0, v1
	v_not_b32_e32 v1, v18
	v_lshlrev_b32_e32 v22, 26, v43
	v_cmp_ne_u32_e32 vcc_lo, 0, v20
	v_ashrrev_i32_e32 v24, 31, v24
	v_lshlrev_b32_e32 v23, 25, v43
	v_ashrrev_i32_e32 v1, 31, v1
	v_lshlrev_b32_e32 v20, 24, v43
	v_xor_b32_e32 v0, vcc_lo, v0
	v_cmp_gt_i32_e32 vcc_lo, 0, v18
	v_not_b32_e32 v18, v19
	v_xor_b32_e32 v24, s12, v24
	v_cmp_gt_i32_e64 s12, 0, v19
	v_and_b32_e32 v0, exec_lo, v0
	v_not_b32_e32 v19, v21
	v_ashrrev_i32_e32 v18, 31, v18
	v_xor_b32_e32 v1, vcc_lo, v1
	v_cmp_gt_i32_e32 vcc_lo, 0, v21
	v_and_b32_e32 v0, v0, v24
	v_not_b32_e32 v21, v22
	v_ashrrev_i32_e32 v19, 31, v19
	v_xor_b32_e32 v18, s12, v18
	v_cmp_gt_i32_e64 s12, 0, v22
	v_and_b32_e32 v0, v0, v1
	v_not_b32_e32 v1, v23
	v_ashrrev_i32_e32 v21, 31, v21
	v_xor_b32_e32 v19, vcc_lo, v19
	v_cmp_gt_i32_e32 vcc_lo, 0, v23
	v_and_b32_e32 v0, v0, v18
	v_ashrrev_i32_e32 v1, 31, v1
	v_xor_b32_e32 v21, s12, v21
	v_mov_b32_e32 v23, v11
	v_not_b32_e32 v18, v20
	v_dual_mov_b32 v31, v3 :: v_dual_and_b32 v0, v0, v19
	v_cmp_gt_i32_e64 s12, 0, v20
	v_xor_b32_e32 v1, vcc_lo, v1
	s_delay_alu instid0(VALU_DEP_4) | instskip(NEXT) | instid1(VALU_DEP_4)
	v_ashrrev_i32_e32 v24, 31, v18
	v_and_b32_e32 v0, v0, v21
	v_dual_mov_b32 v22, v10 :: v_dual_mov_b32 v19, v15
	v_mov_b32_e32 v21, v13
	s_delay_alu instid0(VALU_DEP_4) | instskip(NEXT) | instid1(VALU_DEP_4)
	v_xor_b32_e32 v10, s12, v24
	v_and_b32_e32 v0, v0, v1
	v_and_b32_e32 v1, 0xff, v43
	v_dual_mov_b32 v25, v9 :: v_dual_mov_b32 v24, v8
	v_mov_b32_e32 v18, v14
	s_delay_alu instid0(VALU_DEP_4) | instskip(NEXT) | instid1(VALU_DEP_4)
	v_and_b32_e32 v0, v0, v10
	v_lshl_add_u32 v1, v1, 2, v37
	v_mov_b32_e32 v20, v12
	v_mov_b32_e32 v30, v2
	ds_store_2addr_b64 v33, v[4:5], v[6:7] offset0:2 offset1:3
	ds_store_2addr_b64 v36, v[4:5], v[6:7] offset0:2 offset1:3
	v_mbcnt_lo_u32_b32 v8, v0, 0
	v_cmp_ne_u32_e64 s12, 0, v0
	v_lshl_add_u32 v9, v1, 2, 16
	s_waitcnt lgkmcnt(0)
	s_barrier
	v_cmp_eq_u32_e32 vcc_lo, 0, v8
	buffer_gl0_inv
	; wave barrier
	s_and_b32 s24, s12, vcc_lo
	s_delay_alu instid0(SALU_CYCLE_1)
	s_and_saveexec_b32 s12, s24
	s_cbranch_execz .LBB302_6
; %bb.5:                                ;   in Loop: Header=BB302_4 Depth=2
	v_bcnt_u32_b32 v0, v0, 0
	ds_store_b32 v9, v0
.LBB302_6:                              ;   in Loop: Header=BB302_4 Depth=2
	s_or_b32 exec_lo, exec_lo, s12
	v_lshrrev_b64 v[0:1], s22, v[30:31]
	; wave barrier
	s_delay_alu instid0(VALU_DEP_1)
	v_and_b32_e32 v2, 1, v0
	v_lshlrev_b32_e32 v3, 30, v0
	v_lshlrev_b32_e32 v4, 29, v0
	;; [unrolled: 1-line block ×4, first 2 shown]
	v_add_co_u32 v2, s12, v2, -1
	s_delay_alu instid0(VALU_DEP_1)
	v_cndmask_b32_e64 v6, 0, 1, s12
	v_not_b32_e32 v12, v3
	v_cmp_gt_i32_e64 s12, 0, v3
	v_not_b32_e32 v3, v4
	v_lshlrev_b32_e32 v10, 26, v0
	v_cmp_ne_u32_e32 vcc_lo, 0, v6
	v_ashrrev_i32_e32 v6, 31, v12
	v_lshlrev_b32_e32 v11, 25, v0
	v_ashrrev_i32_e32 v3, 31, v3
	v_and_b32_e32 v1, 0xff, v0
	v_xor_b32_e32 v2, vcc_lo, v2
	v_cmp_gt_i32_e32 vcc_lo, 0, v4
	v_not_b32_e32 v4, v5
	v_xor_b32_e32 v6, s12, v6
	v_cmp_gt_i32_e64 s12, 0, v5
	v_and_b32_e32 v2, exec_lo, v2
	v_not_b32_e32 v5, v7
	v_ashrrev_i32_e32 v4, 31, v4
	v_xor_b32_e32 v3, vcc_lo, v3
	v_cmp_gt_i32_e32 vcc_lo, 0, v7
	v_and_b32_e32 v2, v2, v6
	v_not_b32_e32 v6, v10
	v_ashrrev_i32_e32 v5, 31, v5
	v_xor_b32_e32 v4, s12, v4
	v_lshlrev_b32_e32 v0, 24, v0
	v_and_b32_e32 v2, v2, v3
	v_cmp_gt_i32_e64 s12, 0, v10
	v_not_b32_e32 v3, v11
	v_ashrrev_i32_e32 v6, 31, v6
	v_xor_b32_e32 v5, vcc_lo, v5
	v_and_b32_e32 v2, v2, v4
	v_cmp_gt_i32_e32 vcc_lo, 0, v11
	v_not_b32_e32 v4, v0
	v_ashrrev_i32_e32 v3, 31, v3
	v_xor_b32_e32 v6, s12, v6
	v_and_b32_e32 v2, v2, v5
	v_lshlrev_b32_e32 v1, 2, v1
	v_cmp_gt_i32_e64 s12, 0, v0
	v_ashrrev_i32_e32 v0, 31, v4
	v_xor_b32_e32 v3, vcc_lo, v3
	v_and_b32_e32 v2, v2, v6
	v_add_lshl_u32 v1, v1, v37, 2
	s_delay_alu instid0(VALU_DEP_4) | instskip(NEXT) | instid1(VALU_DEP_3)
	v_xor_b32_e32 v0, s12, v0
	v_and_b32_e32 v2, v2, v3
	ds_load_b32 v10, v1 offset:16
	v_add_nc_u32_e32 v12, 16, v1
	; wave barrier
	v_and_b32_e32 v0, v2, v0
	s_delay_alu instid0(VALU_DEP_1) | instskip(SKIP_1) | instid1(VALU_DEP_2)
	v_mbcnt_lo_u32_b32 v11, v0, 0
	v_cmp_ne_u32_e64 s12, 0, v0
	v_cmp_eq_u32_e32 vcc_lo, 0, v11
	s_delay_alu instid0(VALU_DEP_2) | instskip(NEXT) | instid1(SALU_CYCLE_1)
	s_and_b32 s24, s12, vcc_lo
	s_and_saveexec_b32 s12, s24
	s_cbranch_execz .LBB302_8
; %bb.7:                                ;   in Loop: Header=BB302_4 Depth=2
	s_waitcnt lgkmcnt(0)
	v_bcnt_u32_b32 v0, v0, v10
	ds_store_b32 v12, v0
.LBB302_8:                              ;   in Loop: Header=BB302_4 Depth=2
	s_or_b32 exec_lo, exec_lo, s12
	v_lshrrev_b64 v[0:1], s22, v[28:29]
	; wave barrier
	s_delay_alu instid0(VALU_DEP_1)
	v_and_b32_e32 v2, 1, v0
	v_lshlrev_b32_e32 v3, 30, v0
	v_lshlrev_b32_e32 v4, 29, v0
	;; [unrolled: 1-line block ×4, first 2 shown]
	v_add_co_u32 v2, s12, v2, -1
	s_delay_alu instid0(VALU_DEP_1)
	v_cndmask_b32_e64 v6, 0, 1, s12
	v_not_b32_e32 v15, v3
	v_cmp_gt_i32_e64 s12, 0, v3
	v_not_b32_e32 v3, v4
	v_lshlrev_b32_e32 v13, 26, v0
	v_cmp_ne_u32_e32 vcc_lo, 0, v6
	v_ashrrev_i32_e32 v6, 31, v15
	v_lshlrev_b32_e32 v14, 25, v0
	v_ashrrev_i32_e32 v3, 31, v3
	v_and_b32_e32 v1, 0xff, v0
	v_xor_b32_e32 v2, vcc_lo, v2
	v_cmp_gt_i32_e32 vcc_lo, 0, v4
	v_not_b32_e32 v4, v5
	v_xor_b32_e32 v6, s12, v6
	v_cmp_gt_i32_e64 s12, 0, v5
	v_and_b32_e32 v2, exec_lo, v2
	v_not_b32_e32 v5, v7
	v_ashrrev_i32_e32 v4, 31, v4
	v_xor_b32_e32 v3, vcc_lo, v3
	v_cmp_gt_i32_e32 vcc_lo, 0, v7
	v_and_b32_e32 v2, v2, v6
	v_not_b32_e32 v6, v13
	v_ashrrev_i32_e32 v5, 31, v5
	v_xor_b32_e32 v4, s12, v4
	v_lshlrev_b32_e32 v0, 24, v0
	v_and_b32_e32 v2, v2, v3
	v_cmp_gt_i32_e64 s12, 0, v13
	v_not_b32_e32 v3, v14
	v_ashrrev_i32_e32 v6, 31, v6
	v_xor_b32_e32 v5, vcc_lo, v5
	v_and_b32_e32 v2, v2, v4
	v_cmp_gt_i32_e32 vcc_lo, 0, v14
	v_not_b32_e32 v4, v0
	v_ashrrev_i32_e32 v3, 31, v3
	v_xor_b32_e32 v6, s12, v6
	v_and_b32_e32 v2, v2, v5
	v_lshlrev_b32_e32 v1, 2, v1
	v_cmp_gt_i32_e64 s12, 0, v0
	v_ashrrev_i32_e32 v0, 31, v4
	v_xor_b32_e32 v3, vcc_lo, v3
	v_and_b32_e32 v2, v2, v6
	v_add_lshl_u32 v1, v1, v37, 2
	s_delay_alu instid0(VALU_DEP_4) | instskip(NEXT) | instid1(VALU_DEP_3)
	v_xor_b32_e32 v0, s12, v0
	v_and_b32_e32 v2, v2, v3
	ds_load_b32 v13, v1 offset:16
	v_add_nc_u32_e32 v15, 16, v1
	; wave barrier
	v_and_b32_e32 v0, v2, v0
	s_delay_alu instid0(VALU_DEP_1) | instskip(SKIP_1) | instid1(VALU_DEP_2)
	v_mbcnt_lo_u32_b32 v14, v0, 0
	v_cmp_ne_u32_e64 s12, 0, v0
	v_cmp_eq_u32_e32 vcc_lo, 0, v14
	s_delay_alu instid0(VALU_DEP_2) | instskip(NEXT) | instid1(SALU_CYCLE_1)
	s_and_b32 s24, s12, vcc_lo
	s_and_saveexec_b32 s12, s24
	s_cbranch_execz .LBB302_10
; %bb.9:                                ;   in Loop: Header=BB302_4 Depth=2
	s_waitcnt lgkmcnt(0)
	v_bcnt_u32_b32 v0, v0, v13
	ds_store_b32 v15, v0
.LBB302_10:                             ;   in Loop: Header=BB302_4 Depth=2
	s_or_b32 exec_lo, exec_lo, s12
	v_lshrrev_b64 v[0:1], s22, v[26:27]
	; wave barrier
	s_delay_alu instid0(VALU_DEP_1)
	v_and_b32_e32 v2, 1, v0
	v_lshlrev_b32_e32 v3, 30, v0
	v_lshlrev_b32_e32 v4, 29, v0
	;; [unrolled: 1-line block ×4, first 2 shown]
	v_add_co_u32 v2, s12, v2, -1
	s_delay_alu instid0(VALU_DEP_1)
	v_cndmask_b32_e64 v6, 0, 1, s12
	v_not_b32_e32 v45, v3
	v_cmp_gt_i32_e64 s12, 0, v3
	v_not_b32_e32 v3, v4
	v_lshlrev_b32_e32 v43, 26, v0
	v_cmp_ne_u32_e32 vcc_lo, 0, v6
	v_ashrrev_i32_e32 v6, 31, v45
	v_lshlrev_b32_e32 v44, 25, v0
	v_ashrrev_i32_e32 v3, 31, v3
	v_and_b32_e32 v1, 0xff, v0
	v_xor_b32_e32 v2, vcc_lo, v2
	v_cmp_gt_i32_e32 vcc_lo, 0, v4
	v_not_b32_e32 v4, v5
	v_xor_b32_e32 v6, s12, v6
	v_cmp_gt_i32_e64 s12, 0, v5
	v_and_b32_e32 v2, exec_lo, v2
	v_not_b32_e32 v5, v7
	v_ashrrev_i32_e32 v4, 31, v4
	v_xor_b32_e32 v3, vcc_lo, v3
	v_cmp_gt_i32_e32 vcc_lo, 0, v7
	v_and_b32_e32 v2, v2, v6
	v_not_b32_e32 v6, v43
	v_ashrrev_i32_e32 v5, 31, v5
	v_xor_b32_e32 v4, s12, v4
	v_lshlrev_b32_e32 v0, 24, v0
	v_and_b32_e32 v2, v2, v3
	v_cmp_gt_i32_e64 s12, 0, v43
	v_not_b32_e32 v3, v44
	v_ashrrev_i32_e32 v6, 31, v6
	v_xor_b32_e32 v5, vcc_lo, v5
	v_and_b32_e32 v2, v2, v4
	v_cmp_gt_i32_e32 vcc_lo, 0, v44
	v_not_b32_e32 v4, v0
	v_ashrrev_i32_e32 v3, 31, v3
	v_xor_b32_e32 v6, s12, v6
	v_and_b32_e32 v2, v2, v5
	v_lshlrev_b32_e32 v1, 2, v1
	v_cmp_gt_i32_e64 s12, 0, v0
	v_ashrrev_i32_e32 v0, 31, v4
	v_xor_b32_e32 v3, vcc_lo, v3
	v_and_b32_e32 v2, v2, v6
	v_add_lshl_u32 v1, v1, v37, 2
	s_delay_alu instid0(VALU_DEP_4) | instskip(NEXT) | instid1(VALU_DEP_3)
	v_xor_b32_e32 v0, s12, v0
	v_and_b32_e32 v2, v2, v3
	ds_load_b32 v43, v1 offset:16
	v_add_nc_u32_e32 v45, 16, v1
	; wave barrier
	v_and_b32_e32 v0, v2, v0
	s_delay_alu instid0(VALU_DEP_1) | instskip(SKIP_1) | instid1(VALU_DEP_2)
	v_mbcnt_lo_u32_b32 v44, v0, 0
	v_cmp_ne_u32_e64 s12, 0, v0
	v_cmp_eq_u32_e32 vcc_lo, 0, v44
	s_delay_alu instid0(VALU_DEP_2) | instskip(NEXT) | instid1(SALU_CYCLE_1)
	s_and_b32 s24, s12, vcc_lo
	s_and_saveexec_b32 s12, s24
	s_cbranch_execz .LBB302_12
; %bb.11:                               ;   in Loop: Header=BB302_4 Depth=2
	s_waitcnt lgkmcnt(0)
	v_bcnt_u32_b32 v0, v0, v43
	ds_store_b32 v45, v0
.LBB302_12:                             ;   in Loop: Header=BB302_4 Depth=2
	s_or_b32 exec_lo, exec_lo, s12
	v_lshrrev_b64 v[0:1], s22, v[24:25]
	; wave barrier
	s_delay_alu instid0(VALU_DEP_1)
	v_and_b32_e32 v2, 1, v0
	v_lshlrev_b32_e32 v3, 30, v0
	v_lshlrev_b32_e32 v4, 29, v0
	;; [unrolled: 1-line block ×4, first 2 shown]
	v_add_co_u32 v2, s12, v2, -1
	s_delay_alu instid0(VALU_DEP_1)
	v_cndmask_b32_e64 v6, 0, 1, s12
	v_not_b32_e32 v48, v3
	v_cmp_gt_i32_e64 s12, 0, v3
	v_not_b32_e32 v3, v4
	v_lshlrev_b32_e32 v46, 26, v0
	v_cmp_ne_u32_e32 vcc_lo, 0, v6
	v_ashrrev_i32_e32 v6, 31, v48
	v_lshlrev_b32_e32 v47, 25, v0
	v_ashrrev_i32_e32 v3, 31, v3
	v_and_b32_e32 v1, 0xff, v0
	v_xor_b32_e32 v2, vcc_lo, v2
	v_cmp_gt_i32_e32 vcc_lo, 0, v4
	v_not_b32_e32 v4, v5
	v_xor_b32_e32 v6, s12, v6
	v_cmp_gt_i32_e64 s12, 0, v5
	v_and_b32_e32 v2, exec_lo, v2
	v_not_b32_e32 v5, v7
	v_ashrrev_i32_e32 v4, 31, v4
	v_xor_b32_e32 v3, vcc_lo, v3
	v_cmp_gt_i32_e32 vcc_lo, 0, v7
	v_and_b32_e32 v2, v2, v6
	v_not_b32_e32 v6, v46
	v_ashrrev_i32_e32 v5, 31, v5
	v_xor_b32_e32 v4, s12, v4
	v_lshlrev_b32_e32 v0, 24, v0
	v_and_b32_e32 v2, v2, v3
	v_cmp_gt_i32_e64 s12, 0, v46
	v_not_b32_e32 v3, v47
	v_ashrrev_i32_e32 v6, 31, v6
	v_xor_b32_e32 v5, vcc_lo, v5
	v_and_b32_e32 v2, v2, v4
	v_cmp_gt_i32_e32 vcc_lo, 0, v47
	v_not_b32_e32 v4, v0
	v_ashrrev_i32_e32 v3, 31, v3
	v_xor_b32_e32 v6, s12, v6
	v_and_b32_e32 v2, v2, v5
	v_lshlrev_b32_e32 v1, 2, v1
	v_cmp_gt_i32_e64 s12, 0, v0
	v_ashrrev_i32_e32 v0, 31, v4
	v_xor_b32_e32 v3, vcc_lo, v3
	v_and_b32_e32 v2, v2, v6
	v_add_lshl_u32 v1, v1, v37, 2
	s_delay_alu instid0(VALU_DEP_4) | instskip(NEXT) | instid1(VALU_DEP_3)
	v_xor_b32_e32 v0, s12, v0
	v_and_b32_e32 v2, v2, v3
	ds_load_b32 v46, v1 offset:16
	v_add_nc_u32_e32 v48, 16, v1
	; wave barrier
	v_and_b32_e32 v0, v2, v0
	s_delay_alu instid0(VALU_DEP_1) | instskip(SKIP_1) | instid1(VALU_DEP_2)
	v_mbcnt_lo_u32_b32 v47, v0, 0
	v_cmp_ne_u32_e64 s12, 0, v0
	v_cmp_eq_u32_e32 vcc_lo, 0, v47
	s_delay_alu instid0(VALU_DEP_2) | instskip(NEXT) | instid1(SALU_CYCLE_1)
	s_and_b32 s24, s12, vcc_lo
	s_and_saveexec_b32 s12, s24
	s_cbranch_execz .LBB302_14
; %bb.13:                               ;   in Loop: Header=BB302_4 Depth=2
	s_waitcnt lgkmcnt(0)
	v_bcnt_u32_b32 v0, v0, v46
	ds_store_b32 v48, v0
.LBB302_14:                             ;   in Loop: Header=BB302_4 Depth=2
	s_or_b32 exec_lo, exec_lo, s12
	v_lshrrev_b64 v[0:1], s22, v[22:23]
	; wave barrier
	s_delay_alu instid0(VALU_DEP_1)
	v_and_b32_e32 v2, 1, v0
	v_lshlrev_b32_e32 v3, 30, v0
	v_lshlrev_b32_e32 v4, 29, v0
	v_lshlrev_b32_e32 v5, 28, v0
	v_lshlrev_b32_e32 v7, 27, v0
	v_add_co_u32 v2, s12, v2, -1
	s_delay_alu instid0(VALU_DEP_1)
	v_cndmask_b32_e64 v6, 0, 1, s12
	v_not_b32_e32 v51, v3
	v_cmp_gt_i32_e64 s12, 0, v3
	v_not_b32_e32 v3, v4
	v_lshlrev_b32_e32 v49, 26, v0
	v_cmp_ne_u32_e32 vcc_lo, 0, v6
	v_ashrrev_i32_e32 v6, 31, v51
	v_lshlrev_b32_e32 v50, 25, v0
	v_ashrrev_i32_e32 v3, 31, v3
	v_and_b32_e32 v1, 0xff, v0
	v_xor_b32_e32 v2, vcc_lo, v2
	v_cmp_gt_i32_e32 vcc_lo, 0, v4
	v_not_b32_e32 v4, v5
	v_xor_b32_e32 v6, s12, v6
	v_cmp_gt_i32_e64 s12, 0, v5
	v_and_b32_e32 v2, exec_lo, v2
	v_not_b32_e32 v5, v7
	v_ashrrev_i32_e32 v4, 31, v4
	v_xor_b32_e32 v3, vcc_lo, v3
	v_cmp_gt_i32_e32 vcc_lo, 0, v7
	v_and_b32_e32 v2, v2, v6
	v_not_b32_e32 v6, v49
	v_ashrrev_i32_e32 v5, 31, v5
	v_xor_b32_e32 v4, s12, v4
	v_lshlrev_b32_e32 v0, 24, v0
	v_and_b32_e32 v2, v2, v3
	v_cmp_gt_i32_e64 s12, 0, v49
	v_not_b32_e32 v3, v50
	v_ashrrev_i32_e32 v6, 31, v6
	v_xor_b32_e32 v5, vcc_lo, v5
	v_and_b32_e32 v2, v2, v4
	v_cmp_gt_i32_e32 vcc_lo, 0, v50
	v_not_b32_e32 v4, v0
	v_ashrrev_i32_e32 v3, 31, v3
	v_xor_b32_e32 v6, s12, v6
	v_and_b32_e32 v2, v2, v5
	v_lshlrev_b32_e32 v1, 2, v1
	v_cmp_gt_i32_e64 s12, 0, v0
	v_ashrrev_i32_e32 v0, 31, v4
	v_xor_b32_e32 v3, vcc_lo, v3
	v_and_b32_e32 v2, v2, v6
	v_add_lshl_u32 v1, v1, v37, 2
	s_delay_alu instid0(VALU_DEP_4) | instskip(NEXT) | instid1(VALU_DEP_3)
	v_xor_b32_e32 v0, s12, v0
	v_and_b32_e32 v2, v2, v3
	ds_load_b32 v49, v1 offset:16
	v_add_nc_u32_e32 v51, 16, v1
	; wave barrier
	v_and_b32_e32 v0, v2, v0
	s_delay_alu instid0(VALU_DEP_1) | instskip(SKIP_1) | instid1(VALU_DEP_2)
	v_mbcnt_lo_u32_b32 v50, v0, 0
	v_cmp_ne_u32_e64 s12, 0, v0
	v_cmp_eq_u32_e32 vcc_lo, 0, v50
	s_delay_alu instid0(VALU_DEP_2) | instskip(NEXT) | instid1(SALU_CYCLE_1)
	s_and_b32 s24, s12, vcc_lo
	s_and_saveexec_b32 s12, s24
	s_cbranch_execz .LBB302_16
; %bb.15:                               ;   in Loop: Header=BB302_4 Depth=2
	s_waitcnt lgkmcnt(0)
	v_bcnt_u32_b32 v0, v0, v49
	ds_store_b32 v51, v0
.LBB302_16:                             ;   in Loop: Header=BB302_4 Depth=2
	s_or_b32 exec_lo, exec_lo, s12
	v_lshrrev_b64 v[0:1], s22, v[20:21]
	; wave barrier
	s_delay_alu instid0(VALU_DEP_1)
	v_and_b32_e32 v2, 1, v0
	v_lshlrev_b32_e32 v3, 30, v0
	v_lshlrev_b32_e32 v4, 29, v0
	;; [unrolled: 1-line block ×4, first 2 shown]
	v_add_co_u32 v2, s12, v2, -1
	s_delay_alu instid0(VALU_DEP_1)
	v_cndmask_b32_e64 v6, 0, 1, s12
	v_not_b32_e32 v54, v3
	v_cmp_gt_i32_e64 s12, 0, v3
	v_not_b32_e32 v3, v4
	v_lshlrev_b32_e32 v52, 26, v0
	v_cmp_ne_u32_e32 vcc_lo, 0, v6
	v_ashrrev_i32_e32 v6, 31, v54
	v_lshlrev_b32_e32 v53, 25, v0
	v_ashrrev_i32_e32 v3, 31, v3
	v_and_b32_e32 v1, 0xff, v0
	v_xor_b32_e32 v2, vcc_lo, v2
	v_cmp_gt_i32_e32 vcc_lo, 0, v4
	v_not_b32_e32 v4, v5
	v_xor_b32_e32 v6, s12, v6
	v_cmp_gt_i32_e64 s12, 0, v5
	v_and_b32_e32 v2, exec_lo, v2
	v_not_b32_e32 v5, v7
	v_ashrrev_i32_e32 v4, 31, v4
	v_xor_b32_e32 v3, vcc_lo, v3
	v_cmp_gt_i32_e32 vcc_lo, 0, v7
	v_and_b32_e32 v2, v2, v6
	v_not_b32_e32 v6, v52
	v_ashrrev_i32_e32 v5, 31, v5
	v_xor_b32_e32 v4, s12, v4
	v_lshlrev_b32_e32 v0, 24, v0
	v_and_b32_e32 v2, v2, v3
	v_cmp_gt_i32_e64 s12, 0, v52
	v_not_b32_e32 v3, v53
	v_ashrrev_i32_e32 v6, 31, v6
	v_xor_b32_e32 v5, vcc_lo, v5
	v_and_b32_e32 v2, v2, v4
	v_cmp_gt_i32_e32 vcc_lo, 0, v53
	v_not_b32_e32 v4, v0
	v_ashrrev_i32_e32 v3, 31, v3
	v_xor_b32_e32 v6, s12, v6
	v_and_b32_e32 v2, v2, v5
	v_lshlrev_b32_e32 v1, 2, v1
	v_cmp_gt_i32_e64 s12, 0, v0
	v_ashrrev_i32_e32 v0, 31, v4
	v_xor_b32_e32 v3, vcc_lo, v3
	v_and_b32_e32 v2, v2, v6
	v_add_lshl_u32 v1, v1, v37, 2
	s_delay_alu instid0(VALU_DEP_4) | instskip(NEXT) | instid1(VALU_DEP_3)
	v_xor_b32_e32 v0, s12, v0
	v_and_b32_e32 v2, v2, v3
	ds_load_b32 v52, v1 offset:16
	v_add_nc_u32_e32 v54, 16, v1
	; wave barrier
	v_and_b32_e32 v0, v2, v0
	s_delay_alu instid0(VALU_DEP_1) | instskip(SKIP_1) | instid1(VALU_DEP_2)
	v_mbcnt_lo_u32_b32 v53, v0, 0
	v_cmp_ne_u32_e64 s12, 0, v0
	v_cmp_eq_u32_e32 vcc_lo, 0, v53
	s_delay_alu instid0(VALU_DEP_2) | instskip(NEXT) | instid1(SALU_CYCLE_1)
	s_and_b32 s24, s12, vcc_lo
	s_and_saveexec_b32 s12, s24
	s_cbranch_execz .LBB302_18
; %bb.17:                               ;   in Loop: Header=BB302_4 Depth=2
	s_waitcnt lgkmcnt(0)
	v_bcnt_u32_b32 v0, v0, v52
	ds_store_b32 v54, v0
.LBB302_18:                             ;   in Loop: Header=BB302_4 Depth=2
	s_or_b32 exec_lo, exec_lo, s12
	v_lshrrev_b64 v[0:1], s22, v[18:19]
	; wave barrier
	s_delay_alu instid0(VALU_DEP_1)
	v_and_b32_e32 v2, 1, v0
	v_lshlrev_b32_e32 v3, 30, v0
	v_lshlrev_b32_e32 v4, 29, v0
	;; [unrolled: 1-line block ×4, first 2 shown]
	v_add_co_u32 v2, s12, v2, -1
	s_delay_alu instid0(VALU_DEP_1)
	v_cndmask_b32_e64 v6, 0, 1, s12
	v_not_b32_e32 v57, v3
	v_cmp_gt_i32_e64 s12, 0, v3
	v_not_b32_e32 v3, v4
	v_lshlrev_b32_e32 v55, 26, v0
	v_cmp_ne_u32_e32 vcc_lo, 0, v6
	v_ashrrev_i32_e32 v6, 31, v57
	v_lshlrev_b32_e32 v56, 25, v0
	v_ashrrev_i32_e32 v3, 31, v3
	v_and_b32_e32 v1, 0xff, v0
	v_xor_b32_e32 v2, vcc_lo, v2
	v_cmp_gt_i32_e32 vcc_lo, 0, v4
	v_not_b32_e32 v4, v5
	v_xor_b32_e32 v6, s12, v6
	v_cmp_gt_i32_e64 s12, 0, v5
	v_and_b32_e32 v2, exec_lo, v2
	v_not_b32_e32 v5, v7
	v_ashrrev_i32_e32 v4, 31, v4
	v_xor_b32_e32 v3, vcc_lo, v3
	v_cmp_gt_i32_e32 vcc_lo, 0, v7
	v_and_b32_e32 v2, v2, v6
	v_not_b32_e32 v6, v55
	v_ashrrev_i32_e32 v5, 31, v5
	v_xor_b32_e32 v4, s12, v4
	v_lshlrev_b32_e32 v0, 24, v0
	v_and_b32_e32 v2, v2, v3
	v_cmp_gt_i32_e64 s12, 0, v55
	v_not_b32_e32 v3, v56
	v_ashrrev_i32_e32 v6, 31, v6
	v_xor_b32_e32 v5, vcc_lo, v5
	v_and_b32_e32 v2, v2, v4
	v_cmp_gt_i32_e32 vcc_lo, 0, v56
	v_not_b32_e32 v4, v0
	v_ashrrev_i32_e32 v3, 31, v3
	v_xor_b32_e32 v6, s12, v6
	v_and_b32_e32 v2, v2, v5
	v_lshlrev_b32_e32 v1, 2, v1
	v_cmp_gt_i32_e64 s12, 0, v0
	v_ashrrev_i32_e32 v0, 31, v4
	v_xor_b32_e32 v3, vcc_lo, v3
	v_and_b32_e32 v2, v2, v6
	v_add_lshl_u32 v1, v1, v37, 2
	s_delay_alu instid0(VALU_DEP_4) | instskip(NEXT) | instid1(VALU_DEP_3)
	v_xor_b32_e32 v0, s12, v0
	v_and_b32_e32 v2, v2, v3
	ds_load_b32 v55, v1 offset:16
	v_add_nc_u32_e32 v57, 16, v1
	; wave barrier
	v_and_b32_e32 v0, v2, v0
	s_delay_alu instid0(VALU_DEP_1) | instskip(SKIP_1) | instid1(VALU_DEP_2)
	v_mbcnt_lo_u32_b32 v56, v0, 0
	v_cmp_ne_u32_e64 s12, 0, v0
	v_cmp_eq_u32_e32 vcc_lo, 0, v56
	s_delay_alu instid0(VALU_DEP_2) | instskip(NEXT) | instid1(SALU_CYCLE_1)
	s_and_b32 s24, s12, vcc_lo
	s_and_saveexec_b32 s12, s24
	s_cbranch_execz .LBB302_20
; %bb.19:                               ;   in Loop: Header=BB302_4 Depth=2
	s_waitcnt lgkmcnt(0)
	v_bcnt_u32_b32 v0, v0, v55
	ds_store_b32 v57, v0
.LBB302_20:                             ;   in Loop: Header=BB302_4 Depth=2
	s_or_b32 exec_lo, exec_lo, s12
	; wave barrier
	s_waitcnt lgkmcnt(0)
	s_barrier
	buffer_gl0_inv
	ds_load_2addr_b64 v[4:7], v33 offset0:2 offset1:3
	ds_load_2addr_b64 v[0:3], v36 offset0:2 offset1:3
	s_waitcnt lgkmcnt(1)
	v_add_nc_u32_e32 v58, v5, v4
	s_delay_alu instid0(VALU_DEP_1) | instskip(SKIP_1) | instid1(VALU_DEP_1)
	v_add3_u32 v58, v58, v6, v7
	s_waitcnt lgkmcnt(0)
	v_add3_u32 v58, v58, v0, v1
	s_delay_alu instid0(VALU_DEP_1) | instskip(NEXT) | instid1(VALU_DEP_1)
	v_add3_u32 v3, v58, v2, v3
	v_mov_b32_dpp v58, v3 row_shr:1 row_mask:0xf bank_mask:0xf
	s_delay_alu instid0(VALU_DEP_1) | instskip(NEXT) | instid1(VALU_DEP_1)
	v_cndmask_b32_e64 v58, v58, 0, s0
	v_add_nc_u32_e32 v3, v58, v3
	s_delay_alu instid0(VALU_DEP_1) | instskip(NEXT) | instid1(VALU_DEP_1)
	v_mov_b32_dpp v58, v3 row_shr:2 row_mask:0xf bank_mask:0xf
	v_cndmask_b32_e64 v58, 0, v58, s1
	s_delay_alu instid0(VALU_DEP_1) | instskip(NEXT) | instid1(VALU_DEP_1)
	v_add_nc_u32_e32 v3, v3, v58
	v_mov_b32_dpp v58, v3 row_shr:4 row_mask:0xf bank_mask:0xf
	s_delay_alu instid0(VALU_DEP_1) | instskip(NEXT) | instid1(VALU_DEP_1)
	v_cndmask_b32_e64 v58, 0, v58, s2
	v_add_nc_u32_e32 v3, v3, v58
	s_delay_alu instid0(VALU_DEP_1) | instskip(NEXT) | instid1(VALU_DEP_1)
	v_mov_b32_dpp v58, v3 row_shr:8 row_mask:0xf bank_mask:0xf
	v_cndmask_b32_e64 v58, 0, v58, s3
	s_delay_alu instid0(VALU_DEP_1) | instskip(SKIP_3) | instid1(VALU_DEP_1)
	v_add_nc_u32_e32 v3, v3, v58
	ds_swizzle_b32 v58, v3 offset:swizzle(BROADCAST,32,15)
	s_waitcnt lgkmcnt(0)
	v_cndmask_b32_e64 v58, v58, 0, s4
	v_add_nc_u32_e32 v3, v3, v58
	s_and_saveexec_b32 s12, s5
	s_cbranch_execz .LBB302_22
; %bb.21:                               ;   in Loop: Header=BB302_4 Depth=2
	ds_store_b32 v39, v3
.LBB302_22:                             ;   in Loop: Header=BB302_4 Depth=2
	s_or_b32 exec_lo, exec_lo, s12
	s_waitcnt lgkmcnt(0)
	s_barrier
	buffer_gl0_inv
	s_and_saveexec_b32 s12, s6
	s_cbranch_execz .LBB302_24
; %bb.23:                               ;   in Loop: Header=BB302_4 Depth=2
	ds_load_b32 v58, v40
	s_waitcnt lgkmcnt(0)
	v_mov_b32_dpp v59, v58 row_shr:1 row_mask:0xf bank_mask:0xf
	s_delay_alu instid0(VALU_DEP_1) | instskip(NEXT) | instid1(VALU_DEP_1)
	v_cndmask_b32_e64 v59, v59, 0, s10
	v_add_nc_u32_e32 v58, v59, v58
	s_delay_alu instid0(VALU_DEP_1) | instskip(NEXT) | instid1(VALU_DEP_1)
	v_mov_b32_dpp v59, v58 row_shr:2 row_mask:0xf bank_mask:0xf
	v_cndmask_b32_e64 v59, 0, v59, s11
	s_delay_alu instid0(VALU_DEP_1)
	v_add_nc_u32_e32 v58, v58, v59
	ds_store_b32 v40, v58
.LBB302_24:                             ;   in Loop: Header=BB302_4 Depth=2
	s_or_b32 exec_lo, exec_lo, s12
	v_mov_b32_e32 v58, 0
	s_waitcnt lgkmcnt(0)
	s_barrier
	buffer_gl0_inv
	s_and_saveexec_b32 s12, s7
	s_cbranch_execz .LBB302_26
; %bb.25:                               ;   in Loop: Header=BB302_4 Depth=2
	ds_load_b32 v58, v41
.LBB302_26:                             ;   in Loop: Header=BB302_4 Depth=2
	s_or_b32 exec_lo, exec_lo, s12
	s_waitcnt lgkmcnt(0)
	v_add_nc_u32_e32 v3, v58, v3
	s_cmp_gt_u32 s22, 55
	ds_bpermute_b32 v3, v38, v3
	s_waitcnt lgkmcnt(0)
	v_cndmask_b32_e64 v3, v3, v58, s8
	s_delay_alu instid0(VALU_DEP_1) | instskip(NEXT) | instid1(VALU_DEP_1)
	v_cndmask_b32_e64 v3, v3, 0, s9
	v_add_nc_u32_e32 v4, v3, v4
	s_delay_alu instid0(VALU_DEP_1) | instskip(NEXT) | instid1(VALU_DEP_1)
	v_add_nc_u32_e32 v5, v4, v5
	v_add_nc_u32_e32 v6, v5, v6
	s_delay_alu instid0(VALU_DEP_1) | instskip(NEXT) | instid1(VALU_DEP_1)
	v_add_nc_u32_e32 v58, v6, v7
	;; [unrolled: 3-line block ×3, first 2 shown]
	v_add_nc_u32_e32 v1, v0, v2
	ds_store_2addr_b64 v33, v[3:4], v[5:6] offset0:2 offset1:3
	ds_store_2addr_b64 v36, v[58:59], v[0:1] offset0:2 offset1:3
	s_waitcnt lgkmcnt(0)
	s_barrier
	buffer_gl0_inv
	ds_load_b32 v0, v9
	ds_load_b32 v1, v12
	;; [unrolled: 1-line block ×8, first 2 shown]
	s_waitcnt lgkmcnt(7)
	v_add_nc_u32_e32 v57, v0, v8
	s_waitcnt lgkmcnt(6)
	v_add3_u32 v54, v11, v10, v1
	s_waitcnt lgkmcnt(5)
	v_add3_u32 v51, v14, v13, v2
	;; [unrolled: 2-line block ×7, first 2 shown]
	s_cbranch_scc0 .LBB302_3
; %bb.27:                               ;   in Loop: Header=BB302_2 Depth=1
                                        ; implicit-def: $vgpr14_vgpr15
                                        ; implicit-def: $vgpr10_vgpr11
                                        ; implicit-def: $vgpr6_vgpr7
                                        ; implicit-def: $vgpr2_vgpr3
                                        ; implicit-def: $sgpr22_sgpr23
	s_branch .LBB302_1
.LBB302_28:
	s_add_u32 s0, s18, s14
	s_addc_u32 s1, s19, s15
	v_add_co_u32 v0, s2, s0, v32
	s_delay_alu instid0(VALU_DEP_1) | instskip(NEXT) | instid1(VALU_DEP_2)
	v_add_co_ci_u32_e64 v18, null, s1, 0, s2
	v_add_co_u32 v17, vcc_lo, 0x1000, v0
	s_delay_alu instid0(VALU_DEP_2)
	v_add_co_ci_u32_e32 v18, vcc_lo, 0, v18, vcc_lo
	s_clause 0x7
	global_store_b64 v32, v[13:14], s[0:1]
	global_store_b64 v32, v[15:16], s[0:1] offset:1024
	global_store_b64 v32, v[9:10], s[0:1] offset:2048
	;; [unrolled: 1-line block ×3, first 2 shown]
	global_store_b64 v[17:18], v[5:6], off
	global_store_b64 v[17:18], v[7:8], off offset:1024
	global_store_b64 v[17:18], v[1:2], off offset:2048
	;; [unrolled: 1-line block ×3, first 2 shown]
	s_nop 0
	s_sendmsg sendmsg(MSG_DEALLOC_VGPRS)
	s_endpgm
	.section	.rodata,"a",@progbits
	.p2align	6, 0x0
	.amdhsa_kernel _Z16sort_keys_kernelI22helper_blocked_stripedxLj128ELj8ELj10EEvPKT0_PS1_
		.amdhsa_group_segment_fixed_size 8192
		.amdhsa_private_segment_fixed_size 0
		.amdhsa_kernarg_size 272
		.amdhsa_user_sgpr_count 15
		.amdhsa_user_sgpr_dispatch_ptr 0
		.amdhsa_user_sgpr_queue_ptr 0
		.amdhsa_user_sgpr_kernarg_segment_ptr 1
		.amdhsa_user_sgpr_dispatch_id 0
		.amdhsa_user_sgpr_private_segment_size 0
		.amdhsa_wavefront_size32 1
		.amdhsa_uses_dynamic_stack 0
		.amdhsa_enable_private_segment 0
		.amdhsa_system_sgpr_workgroup_id_x 1
		.amdhsa_system_sgpr_workgroup_id_y 0
		.amdhsa_system_sgpr_workgroup_id_z 0
		.amdhsa_system_sgpr_workgroup_info 0
		.amdhsa_system_vgpr_workitem_id 2
		.amdhsa_next_free_vgpr 60
		.amdhsa_next_free_sgpr 25
		.amdhsa_reserve_vcc 1
		.amdhsa_float_round_mode_32 0
		.amdhsa_float_round_mode_16_64 0
		.amdhsa_float_denorm_mode_32 3
		.amdhsa_float_denorm_mode_16_64 3
		.amdhsa_dx10_clamp 1
		.amdhsa_ieee_mode 1
		.amdhsa_fp16_overflow 0
		.amdhsa_workgroup_processor_mode 1
		.amdhsa_memory_ordered 1
		.amdhsa_forward_progress 0
		.amdhsa_shared_vgpr_count 0
		.amdhsa_exception_fp_ieee_invalid_op 0
		.amdhsa_exception_fp_denorm_src 0
		.amdhsa_exception_fp_ieee_div_zero 0
		.amdhsa_exception_fp_ieee_overflow 0
		.amdhsa_exception_fp_ieee_underflow 0
		.amdhsa_exception_fp_ieee_inexact 0
		.amdhsa_exception_int_div_zero 0
	.end_amdhsa_kernel
	.section	.text._Z16sort_keys_kernelI22helper_blocked_stripedxLj128ELj8ELj10EEvPKT0_PS1_,"axG",@progbits,_Z16sort_keys_kernelI22helper_blocked_stripedxLj128ELj8ELj10EEvPKT0_PS1_,comdat
.Lfunc_end302:
	.size	_Z16sort_keys_kernelI22helper_blocked_stripedxLj128ELj8ELj10EEvPKT0_PS1_, .Lfunc_end302-_Z16sort_keys_kernelI22helper_blocked_stripedxLj128ELj8ELj10EEvPKT0_PS1_
                                        ; -- End function
	.section	.AMDGPU.csdata,"",@progbits
; Kernel info:
; codeLenInByte = 4516
; NumSgprs: 27
; NumVgprs: 60
; ScratchSize: 0
; MemoryBound: 0
; FloatMode: 240
; IeeeMode: 1
; LDSByteSize: 8192 bytes/workgroup (compile time only)
; SGPRBlocks: 3
; VGPRBlocks: 7
; NumSGPRsForWavesPerEU: 27
; NumVGPRsForWavesPerEU: 60
; Occupancy: 16
; WaveLimiterHint : 1
; COMPUTE_PGM_RSRC2:SCRATCH_EN: 0
; COMPUTE_PGM_RSRC2:USER_SGPR: 15
; COMPUTE_PGM_RSRC2:TRAP_HANDLER: 0
; COMPUTE_PGM_RSRC2:TGID_X_EN: 1
; COMPUTE_PGM_RSRC2:TGID_Y_EN: 0
; COMPUTE_PGM_RSRC2:TGID_Z_EN: 0
; COMPUTE_PGM_RSRC2:TIDIG_COMP_CNT: 2
	.section	.text._Z17sort_pairs_kernelI22helper_blocked_stripedxLj128ELj8ELj10EEvPKT0_PS1_,"axG",@progbits,_Z17sort_pairs_kernelI22helper_blocked_stripedxLj128ELj8ELj10EEvPKT0_PS1_,comdat
	.protected	_Z17sort_pairs_kernelI22helper_blocked_stripedxLj128ELj8ELj10EEvPKT0_PS1_ ; -- Begin function _Z17sort_pairs_kernelI22helper_blocked_stripedxLj128ELj8ELj10EEvPKT0_PS1_
	.globl	_Z17sort_pairs_kernelI22helper_blocked_stripedxLj128ELj8ELj10EEvPKT0_PS1_
	.p2align	8
	.type	_Z17sort_pairs_kernelI22helper_blocked_stripedxLj128ELj8ELj10EEvPKT0_PS1_,@function
_Z17sort_pairs_kernelI22helper_blocked_stripedxLj128ELj8ELj10EEvPKT0_PS1_: ; @_Z17sort_pairs_kernelI22helper_blocked_stripedxLj128ELj8ELj10EEvPKT0_PS1_
; %bb.0:
	s_clause 0x1
	s_load_b128 s[16:19], s[0:1], 0x0
	s_load_b32 s11, s[0:1], 0x1c
	v_mbcnt_lo_u32_b32 v18, -1, 0
	s_mov_b32 s21, 0
	s_lshl_b32 s20, s15, 10
	v_bfe_u32 v19, v0, 10, 10
	s_lshl_b64 s[14:15], s[20:21], 3
	v_add_nc_u32_e32 v22, -1, v18
	v_and_b32_e32 v20, 15, v18
	v_and_b32_e32 v23, 3, v18
	;; [unrolled: 1-line block ×3, first 2 shown]
	s_mov_b32 s20, s21
	v_cmp_gt_i32_e32 vcc_lo, 0, v22
	v_and_b32_e32 v17, 0x3ff, v0
	v_cmp_lt_u32_e64 s2, 1, v20
	v_cmp_lt_u32_e64 s3, 3, v20
	;; [unrolled: 1-line block ×3, first 2 shown]
	v_bfe_u32 v0, v0, 20, 10
	v_lshlrev_b32_e32 v1, 6, v17
	v_cmp_eq_u32_e64 s9, 0, v23
	s_waitcnt lgkmcnt(0)
	s_add_u32 s0, s16, s14
	s_addc_u32 s1, s17, s15
	s_lshr_b32 s12, s11, 16
	s_clause 0x3
	global_load_b128 v[13:16], v1, s[0:1]
	global_load_b128 v[9:12], v1, s[0:1] offset:16
	global_load_b128 v[5:8], v1, s[0:1] offset:32
	;; [unrolled: 1-line block ×3, first 2 shown]
	v_cmp_eq_u32_e64 s1, 0, v20
	v_dual_cndmask_b32 v20, v22, v18 :: v_dual_lshlrev_b32 v65, 3, v17
	v_and_b32_e32 v24, 0x60, v17
	v_mad_u32_u24 v0, v0, s12, v19
	s_and_b32 s11, s11, 0xffff
	v_cmp_eq_u32_e64 s0, 0, v18
	v_cmp_lt_u32_e64 s10, 1, v23
	v_or_b32_e32 v23, v18, v24
	v_and_or_b32 v25, 0x300, v65, v18
	v_mad_u64_u32 v[18:19], null, v0, s11, v[17:18]
	v_lshlrev_b32_e32 v66, 5, v17
	v_cmp_eq_u32_e64 s5, 0, v21
	v_lshrrev_b32_e32 v21, 3, v17
	v_or_b32_e32 v24, 31, v24
	v_cmp_gt_u32_e64 s6, 4, v17
	v_cmp_lt_u32_e64 s7, 31, v17
	v_cmp_eq_u32_e64 s8, 0, v17
	v_lshlrev_b32_e32 v22, 2, v17
	v_and_b32_e32 v69, 12, v21
	v_mad_i32_i24 v70, 0xffffffe4, v17, v66
	v_cmp_eq_u32_e64 s11, v24, v17
	v_lshrrev_b32_e32 v74, 5, v18
	v_or_b32_e32 v67, 16, v66
	v_lshlrev_b32_e32 v68, 2, v20
	v_lshlrev_b32_e32 v71, 6, v23
	;; [unrolled: 1-line block ×3, first 2 shown]
	v_add_nc_u32_e32 v73, -4, v69
	v_add_nc_u32_e32 v75, v70, v22
	s_mov_b32 s16, s21
	s_mov_b32 s17, s21
	s_mov_b32 s13, s21
	s_waitcnt vmcnt(3)
	v_add_co_u32 v41, vcc_lo, v13, 1
	v_add_co_ci_u32_e32 v42, vcc_lo, 0, v14, vcc_lo
	v_add_co_u32 v43, vcc_lo, v15, 1
	v_add_co_ci_u32_e32 v44, vcc_lo, 0, v16, vcc_lo
	s_waitcnt vmcnt(2)
	v_add_co_u32 v37, vcc_lo, v9, 1
	v_add_co_ci_u32_e32 v38, vcc_lo, 0, v10, vcc_lo
	v_add_co_u32 v39, vcc_lo, v11, 1
	v_add_co_ci_u32_e32 v40, vcc_lo, 0, v12, vcc_lo
	;; [unrolled: 5-line block ×4, first 2 shown]
	s_branch .LBB303_2
.LBB303_1:                              ;   in Loop: Header=BB303_2 Depth=1
	v_lshlrev_b32_e32 v0, 3, v82
	v_lshlrev_b32_e32 v23, 3, v79
	;; [unrolled: 1-line block ×8, first 2 shown]
	s_barrier
	buffer_gl0_inv
	ds_store_b64 v0, v[29:30]
	ds_store_b64 v21, v[43:44]
	;; [unrolled: 1-line block ×8, first 2 shown]
	s_waitcnt lgkmcnt(0)
	s_barrier
	buffer_gl0_inv
	ds_load_2addr_stride64_b64 v[13:16], v75 offset1:2
	ds_load_2addr_stride64_b64 v[9:12], v75 offset0:4 offset1:6
	ds_load_2addr_stride64_b64 v[5:8], v75 offset0:8 offset1:10
	;; [unrolled: 1-line block ×3, first 2 shown]
	s_waitcnt lgkmcnt(0)
	s_barrier
	buffer_gl0_inv
	ds_store_b64 v0, v[63:64]
	ds_store_b64 v21, v[61:62]
	;; [unrolled: 1-line block ×8, first 2 shown]
	s_waitcnt lgkmcnt(0)
	s_barrier
	buffer_gl0_inv
	ds_load_2addr_stride64_b64 v[41:44], v75 offset1:2
	ds_load_2addr_stride64_b64 v[37:40], v75 offset0:4 offset1:6
	ds_load_2addr_stride64_b64 v[29:32], v75 offset0:8 offset1:10
	;; [unrolled: 1-line block ×3, first 2 shown]
	s_add_i32 s13, s13, 1
	s_delay_alu instid0(SALU_CYCLE_1)
	s_cmp_eq_u32 s13, 10
	v_xor_b32_e32 v14, 0x80000000, v14
	v_xor_b32_e32 v16, 0x80000000, v16
	v_xor_b32_e32 v10, 0x80000000, v10
	v_xor_b32_e32 v12, 0x80000000, v12
	v_xor_b32_e32 v6, 0x80000000, v6
	v_xor_b32_e32 v8, 0x80000000, v8
	v_xor_b32_e32 v2, 0x80000000, v2
	v_xor_b32_e32 v4, 0x80000000, v4
	s_cbranch_scc1 .LBB303_28
.LBB303_2:                              ; =>This Loop Header: Depth=1
                                        ;     Child Loop BB303_4 Depth 2
	v_xor_b32_e32 v14, 0x80000000, v14
	v_xor_b32_e32 v16, 0x80000000, v16
	;; [unrolled: 1-line block ×8, first 2 shown]
	ds_store_2addr_b64 v71, v[13:14], v[15:16] offset1:1
	ds_store_2addr_b64 v71, v[9:10], v[11:12] offset0:2 offset1:3
	ds_store_2addr_b64 v71, v[5:6], v[7:8] offset0:4 offset1:5
	ds_store_2addr_b64 v71, v[1:2], v[3:4] offset0:6 offset1:7
	; wave barrier
	ds_load_2addr_b64 v[21:24], v72 offset1:32
	ds_load_2addr_b64 v[25:28], v72 offset0:64 offset1:96
	ds_load_2addr_b64 v[33:36], v72 offset0:128 offset1:160
	;; [unrolled: 1-line block ×3, first 2 shown]
	; wave barrier
	s_waitcnt lgkmcnt(11)
	ds_store_2addr_b64 v71, v[41:42], v[43:44] offset1:1
	s_waitcnt lgkmcnt(11)
	ds_store_2addr_b64 v71, v[37:38], v[39:40] offset0:2 offset1:3
	s_waitcnt lgkmcnt(11)
	ds_store_2addr_b64 v71, v[29:30], v[31:32] offset0:4 offset1:5
	;; [unrolled: 2-line block ×3, first 2 shown]
	; wave barrier
	ds_load_2addr_b64 v[0:3], v72 offset1:32
	ds_load_2addr_b64 v[4:7], v72 offset0:64 offset1:96
	ds_load_2addr_b64 v[8:11], v72 offset0:128 offset1:160
	;; [unrolled: 1-line block ×3, first 2 shown]
	s_mov_b64 s[22:23], 0
	s_waitcnt lgkmcnt(0)
	s_barrier
	s_branch .LBB303_4
.LBB303_3:                              ;   in Loop: Header=BB303_4 Depth=2
	v_lshlrev_b32_e32 v0, 3, v82
	v_lshlrev_b32_e32 v3, 3, v79
	;; [unrolled: 1-line block ×8, first 2 shown]
	s_barrier
	buffer_gl0_inv
	ds_store_b64 v0, v[29:30]
	ds_store_b64 v1, v[43:44]
	;; [unrolled: 1-line block ×8, first 2 shown]
	s_waitcnt lgkmcnt(0)
	s_barrier
	buffer_gl0_inv
	ds_load_2addr_b64 v[21:24], v72 offset1:32
	ds_load_2addr_b64 v[25:28], v72 offset0:64 offset1:96
	ds_load_2addr_b64 v[33:36], v72 offset0:128 offset1:160
	;; [unrolled: 1-line block ×3, first 2 shown]
	s_waitcnt lgkmcnt(0)
	s_barrier
	buffer_gl0_inv
	ds_store_b64 v0, v[63:64]
	ds_store_b64 v1, v[61:62]
	;; [unrolled: 1-line block ×8, first 2 shown]
	s_waitcnt lgkmcnt(0)
	s_barrier
	buffer_gl0_inv
	ds_load_2addr_b64 v[0:3], v72 offset1:32
	ds_load_2addr_b64 v[4:7], v72 offset0:64 offset1:96
	ds_load_2addr_b64 v[8:11], v72 offset0:128 offset1:160
	;; [unrolled: 1-line block ×3, first 2 shown]
	s_add_u32 s22, s22, 8
	s_addc_u32 s23, s23, 0
	s_waitcnt lgkmcnt(0)
	s_barrier
	s_cbranch_execz .LBB303_1
.LBB303_4:                              ;   Parent Loop BB303_2 Depth=1
                                        ; =>  This Inner Loop Header: Depth=2
	v_dual_mov_b32 v30, v22 :: v_dual_mov_b32 v29, v21
	v_dual_mov_b32 v42, v26 :: v_dual_mov_b32 v41, v25
	;; [unrolled: 1-line block ×3, first 2 shown]
	s_delay_alu instid0(VALU_DEP_3) | instskip(SKIP_2) | instid1(VALU_DEP_3)
	v_lshrrev_b64 v[20:21], s22, v[29:30]
	v_dual_mov_b32 v44, v24 :: v_dual_mov_b32 v43, v23
	v_dual_mov_b32 v40, v28 :: v_dual_mov_b32 v39, v27
	v_dual_mov_b32 v50, v15 :: v_dual_and_b32 v21, 1, v20
	v_dual_mov_b32 v49, v14 :: v_dual_lshlrev_b32 v22, 30, v20
	v_dual_mov_b32 v52, v13 :: v_dual_lshlrev_b32 v23, 29, v20
	s_delay_alu instid0(VALU_DEP_3) | instskip(NEXT) | instid1(VALU_DEP_1)
	v_add_co_u32 v21, s12, v21, -1
	v_cndmask_b32_e64 v25, 0, 1, s12
	s_delay_alu instid0(VALU_DEP_4) | instskip(SKIP_2) | instid1(VALU_DEP_4)
	v_not_b32_e32 v33, v22
	v_dual_mov_b32 v51, v12 :: v_dual_lshlrev_b32 v24, 28, v20
	v_cmp_gt_i32_e64 s12, 0, v22
	v_cmp_ne_u32_e32 vcc_lo, 0, v25
	v_not_b32_e32 v22, v23
	v_ashrrev_i32_e32 v33, 31, v33
	v_lshlrev_b32_e32 v26, 27, v20
	v_dual_mov_b32 v54, v11 :: v_dual_lshlrev_b32 v27, 26, v20
	v_xor_b32_e32 v21, vcc_lo, v21
	v_cmp_gt_i32_e32 vcc_lo, 0, v23
	v_not_b32_e32 v23, v24
	v_ashrrev_i32_e32 v22, 31, v22
	v_xor_b32_e32 v33, s12, v33
	v_dual_mov_b32 v58, v7 :: v_dual_and_b32 v21, exec_lo, v21
	v_cmp_gt_i32_e64 s12, 0, v24
	v_ashrrev_i32_e32 v23, 31, v23
	v_xor_b32_e32 v22, vcc_lo, v22
	s_delay_alu instid0(VALU_DEP_4)
	v_dual_mov_b32 v62, v3 :: v_dual_and_b32 v21, v21, v33
	v_mov_b32_e32 v53, v10
	v_not_b32_e32 v24, v26
	v_lshlrev_b32_e32 v28, 25, v20
	v_cmp_gt_i32_e32 vcc_lo, 0, v26
	v_not_b32_e32 v26, v27
	v_xor_b32_e32 v23, s12, v23
	v_ashrrev_i32_e32 v24, 31, v24
	v_and_b32_e32 v21, v21, v22
	v_dual_mov_b32 v57, v6 :: v_dual_mov_b32 v60, v5
	v_dual_mov_b32 v56, v9 :: v_dual_lshlrev_b32 v25, 24, v20
	v_mov_b32_e32 v59, v4
	v_dual_mov_b32 v61, v2 :: v_dual_mov_b32 v64, v1
	v_mov_b32_e32 v3, s20
	v_cmp_gt_i32_e64 s12, 0, v27
	v_ashrrev_i32_e32 v26, 31, v26
	v_xor_b32_e32 v24, vcc_lo, v24
	v_mov_b32_e32 v55, v8
	v_not_b32_e32 v22, v28
	v_dual_mov_b32 v4, s21 :: v_dual_and_b32 v21, v21, v23
	v_dual_mov_b32 v5, s16 :: v_dual_mov_b32 v6, s17
	v_cmp_gt_i32_e32 vcc_lo, 0, v28
	v_not_b32_e32 v23, v25
	v_ashrrev_i32_e32 v22, 31, v22
	v_xor_b32_e32 v26, s12, v26
	v_and_b32_e32 v21, v21, v24
	v_cmp_gt_i32_e64 s12, 0, v25
	v_ashrrev_i32_e32 v14, 31, v23
	v_xor_b32_e32 v15, vcc_lo, v22
	v_mov_b32_e32 v63, v0
	v_and_b32_e32 v21, v21, v26
	v_and_b32_e32 v0, 0xff, v20
	v_xor_b32_e32 v8, s12, v14
	v_dual_mov_b32 v16, v47 :: v_dual_mov_b32 v17, v48
	s_delay_alu instid0(VALU_DEP_4) | instskip(NEXT) | instid1(VALU_DEP_4)
	v_and_b32_e32 v9, v21, v15
	v_lshl_add_u32 v0, v0, 2, v74
	v_dual_mov_b32 v18, v45 :: v_dual_mov_b32 v19, v46
	v_dual_mov_b32 v31, v35 :: v_dual_mov_b32 v32, v36
	s_delay_alu instid0(VALU_DEP_4) | instskip(NEXT) | instid1(VALU_DEP_4)
	v_and_b32_e32 v2, v9, v8
	v_lshl_add_u32 v9, v0, 2, 16
	buffer_gl0_inv
	ds_store_2addr_b64 v66, v[3:4], v[5:6] offset0:2 offset1:3
	ds_store_2addr_b64 v67, v[3:4], v[5:6] offset0:2 offset1:3
	s_waitcnt lgkmcnt(0)
	v_mbcnt_lo_u32_b32 v8, v2, 0
	v_cmp_ne_u32_e64 s12, 0, v2
	s_barrier
	buffer_gl0_inv
	v_cmp_eq_u32_e32 vcc_lo, 0, v8
	; wave barrier
	s_and_b32 s24, s12, vcc_lo
	s_delay_alu instid0(SALU_CYCLE_1)
	s_and_saveexec_b32 s12, s24
	s_cbranch_execz .LBB303_6
; %bb.5:                                ;   in Loop: Header=BB303_4 Depth=2
	v_bcnt_u32_b32 v0, v2, 0
	ds_store_b32 v9, v0
.LBB303_6:                              ;   in Loop: Header=BB303_4 Depth=2
	s_or_b32 exec_lo, exec_lo, s12
	v_lshrrev_b64 v[0:1], s22, v[43:44]
	; wave barrier
	s_delay_alu instid0(VALU_DEP_1)
	v_and_b32_e32 v2, 1, v0
	v_lshlrev_b32_e32 v3, 30, v0
	v_lshlrev_b32_e32 v4, 29, v0
	;; [unrolled: 1-line block ×4, first 2 shown]
	v_add_co_u32 v2, s12, v2, -1
	s_delay_alu instid0(VALU_DEP_1)
	v_cndmask_b32_e64 v6, 0, 1, s12
	v_not_b32_e32 v12, v3
	v_cmp_gt_i32_e64 s12, 0, v3
	v_not_b32_e32 v3, v4
	v_lshlrev_b32_e32 v10, 26, v0
	v_cmp_ne_u32_e32 vcc_lo, 0, v6
	v_ashrrev_i32_e32 v6, 31, v12
	v_lshlrev_b32_e32 v11, 25, v0
	v_ashrrev_i32_e32 v3, 31, v3
	v_and_b32_e32 v1, 0xff, v0
	v_xor_b32_e32 v2, vcc_lo, v2
	v_cmp_gt_i32_e32 vcc_lo, 0, v4
	v_not_b32_e32 v4, v5
	v_xor_b32_e32 v6, s12, v6
	v_cmp_gt_i32_e64 s12, 0, v5
	v_and_b32_e32 v2, exec_lo, v2
	v_not_b32_e32 v5, v7
	v_ashrrev_i32_e32 v4, 31, v4
	v_xor_b32_e32 v3, vcc_lo, v3
	v_cmp_gt_i32_e32 vcc_lo, 0, v7
	v_and_b32_e32 v2, v2, v6
	v_not_b32_e32 v6, v10
	v_ashrrev_i32_e32 v5, 31, v5
	v_xor_b32_e32 v4, s12, v4
	v_lshlrev_b32_e32 v0, 24, v0
	v_and_b32_e32 v2, v2, v3
	v_cmp_gt_i32_e64 s12, 0, v10
	v_not_b32_e32 v3, v11
	v_ashrrev_i32_e32 v6, 31, v6
	v_xor_b32_e32 v5, vcc_lo, v5
	v_and_b32_e32 v2, v2, v4
	v_cmp_gt_i32_e32 vcc_lo, 0, v11
	v_not_b32_e32 v4, v0
	v_ashrrev_i32_e32 v3, 31, v3
	v_xor_b32_e32 v6, s12, v6
	v_and_b32_e32 v2, v2, v5
	v_lshlrev_b32_e32 v1, 2, v1
	v_cmp_gt_i32_e64 s12, 0, v0
	v_ashrrev_i32_e32 v0, 31, v4
	v_xor_b32_e32 v3, vcc_lo, v3
	v_and_b32_e32 v2, v2, v6
	v_add_lshl_u32 v1, v1, v74, 2
	s_delay_alu instid0(VALU_DEP_4) | instskip(NEXT) | instid1(VALU_DEP_3)
	v_xor_b32_e32 v0, s12, v0
	v_and_b32_e32 v2, v2, v3
	ds_load_b32 v10, v1 offset:16
	v_add_nc_u32_e32 v12, 16, v1
	; wave barrier
	v_and_b32_e32 v0, v2, v0
	s_delay_alu instid0(VALU_DEP_1) | instskip(SKIP_1) | instid1(VALU_DEP_2)
	v_mbcnt_lo_u32_b32 v11, v0, 0
	v_cmp_ne_u32_e64 s12, 0, v0
	v_cmp_eq_u32_e32 vcc_lo, 0, v11
	s_delay_alu instid0(VALU_DEP_2) | instskip(NEXT) | instid1(SALU_CYCLE_1)
	s_and_b32 s24, s12, vcc_lo
	s_and_saveexec_b32 s12, s24
	s_cbranch_execz .LBB303_8
; %bb.7:                                ;   in Loop: Header=BB303_4 Depth=2
	s_waitcnt lgkmcnt(0)
	v_bcnt_u32_b32 v0, v0, v10
	ds_store_b32 v12, v0
.LBB303_8:                              ;   in Loop: Header=BB303_4 Depth=2
	s_or_b32 exec_lo, exec_lo, s12
	v_lshrrev_b64 v[0:1], s22, v[41:42]
	; wave barrier
	s_delay_alu instid0(VALU_DEP_1)
	v_and_b32_e32 v2, 1, v0
	v_lshlrev_b32_e32 v3, 30, v0
	v_lshlrev_b32_e32 v4, 29, v0
	;; [unrolled: 1-line block ×4, first 2 shown]
	v_add_co_u32 v2, s12, v2, -1
	s_delay_alu instid0(VALU_DEP_1)
	v_cndmask_b32_e64 v6, 0, 1, s12
	v_not_b32_e32 v15, v3
	v_cmp_gt_i32_e64 s12, 0, v3
	v_not_b32_e32 v3, v4
	v_lshlrev_b32_e32 v13, 26, v0
	v_cmp_ne_u32_e32 vcc_lo, 0, v6
	v_ashrrev_i32_e32 v6, 31, v15
	v_lshlrev_b32_e32 v14, 25, v0
	v_ashrrev_i32_e32 v3, 31, v3
	v_and_b32_e32 v1, 0xff, v0
	v_xor_b32_e32 v2, vcc_lo, v2
	v_cmp_gt_i32_e32 vcc_lo, 0, v4
	v_not_b32_e32 v4, v5
	v_xor_b32_e32 v6, s12, v6
	v_cmp_gt_i32_e64 s12, 0, v5
	v_and_b32_e32 v2, exec_lo, v2
	v_not_b32_e32 v5, v7
	v_ashrrev_i32_e32 v4, 31, v4
	v_xor_b32_e32 v3, vcc_lo, v3
	v_cmp_gt_i32_e32 vcc_lo, 0, v7
	v_and_b32_e32 v2, v2, v6
	v_not_b32_e32 v6, v13
	v_ashrrev_i32_e32 v5, 31, v5
	v_xor_b32_e32 v4, s12, v4
	v_lshlrev_b32_e32 v0, 24, v0
	v_and_b32_e32 v2, v2, v3
	v_cmp_gt_i32_e64 s12, 0, v13
	v_not_b32_e32 v3, v14
	v_ashrrev_i32_e32 v6, 31, v6
	v_xor_b32_e32 v5, vcc_lo, v5
	v_and_b32_e32 v2, v2, v4
	v_cmp_gt_i32_e32 vcc_lo, 0, v14
	v_not_b32_e32 v4, v0
	v_ashrrev_i32_e32 v3, 31, v3
	v_xor_b32_e32 v6, s12, v6
	v_and_b32_e32 v2, v2, v5
	v_lshlrev_b32_e32 v1, 2, v1
	v_cmp_gt_i32_e64 s12, 0, v0
	v_ashrrev_i32_e32 v0, 31, v4
	v_xor_b32_e32 v3, vcc_lo, v3
	v_and_b32_e32 v2, v2, v6
	v_add_lshl_u32 v1, v1, v74, 2
	s_delay_alu instid0(VALU_DEP_4) | instskip(NEXT) | instid1(VALU_DEP_3)
	v_xor_b32_e32 v0, s12, v0
	v_and_b32_e32 v2, v2, v3
	ds_load_b32 v13, v1 offset:16
	v_add_nc_u32_e32 v15, 16, v1
	; wave barrier
	v_and_b32_e32 v0, v2, v0
	s_delay_alu instid0(VALU_DEP_1) | instskip(SKIP_1) | instid1(VALU_DEP_2)
	v_mbcnt_lo_u32_b32 v14, v0, 0
	v_cmp_ne_u32_e64 s12, 0, v0
	v_cmp_eq_u32_e32 vcc_lo, 0, v14
	s_delay_alu instid0(VALU_DEP_2) | instskip(NEXT) | instid1(SALU_CYCLE_1)
	s_and_b32 s24, s12, vcc_lo
	s_and_saveexec_b32 s12, s24
	s_cbranch_execz .LBB303_10
; %bb.9:                                ;   in Loop: Header=BB303_4 Depth=2
	s_waitcnt lgkmcnt(0)
	v_bcnt_u32_b32 v0, v0, v13
	ds_store_b32 v15, v0
.LBB303_10:                             ;   in Loop: Header=BB303_4 Depth=2
	s_or_b32 exec_lo, exec_lo, s12
	v_lshrrev_b64 v[0:1], s22, v[39:40]
	; wave barrier
	s_delay_alu instid0(VALU_DEP_1)
	v_and_b32_e32 v2, 1, v0
	v_lshlrev_b32_e32 v3, 30, v0
	v_lshlrev_b32_e32 v4, 29, v0
	;; [unrolled: 1-line block ×4, first 2 shown]
	v_add_co_u32 v2, s12, v2, -1
	s_delay_alu instid0(VALU_DEP_1)
	v_cndmask_b32_e64 v6, 0, 1, s12
	v_not_b32_e32 v22, v3
	v_cmp_gt_i32_e64 s12, 0, v3
	v_not_b32_e32 v3, v4
	v_lshlrev_b32_e32 v20, 26, v0
	v_cmp_ne_u32_e32 vcc_lo, 0, v6
	v_ashrrev_i32_e32 v6, 31, v22
	v_lshlrev_b32_e32 v21, 25, v0
	v_ashrrev_i32_e32 v3, 31, v3
	v_and_b32_e32 v1, 0xff, v0
	v_xor_b32_e32 v2, vcc_lo, v2
	v_cmp_gt_i32_e32 vcc_lo, 0, v4
	v_not_b32_e32 v4, v5
	v_xor_b32_e32 v6, s12, v6
	v_cmp_gt_i32_e64 s12, 0, v5
	v_and_b32_e32 v2, exec_lo, v2
	v_not_b32_e32 v5, v7
	v_ashrrev_i32_e32 v4, 31, v4
	v_xor_b32_e32 v3, vcc_lo, v3
	v_cmp_gt_i32_e32 vcc_lo, 0, v7
	v_and_b32_e32 v2, v2, v6
	v_not_b32_e32 v6, v20
	v_ashrrev_i32_e32 v5, 31, v5
	v_xor_b32_e32 v4, s12, v4
	v_lshlrev_b32_e32 v0, 24, v0
	v_and_b32_e32 v2, v2, v3
	v_cmp_gt_i32_e64 s12, 0, v20
	v_not_b32_e32 v3, v21
	v_ashrrev_i32_e32 v6, 31, v6
	v_xor_b32_e32 v5, vcc_lo, v5
	v_and_b32_e32 v2, v2, v4
	v_cmp_gt_i32_e32 vcc_lo, 0, v21
	v_not_b32_e32 v4, v0
	v_ashrrev_i32_e32 v3, 31, v3
	v_xor_b32_e32 v6, s12, v6
	v_and_b32_e32 v2, v2, v5
	v_lshlrev_b32_e32 v1, 2, v1
	v_cmp_gt_i32_e64 s12, 0, v0
	v_ashrrev_i32_e32 v0, 31, v4
	v_xor_b32_e32 v3, vcc_lo, v3
	v_and_b32_e32 v2, v2, v6
	v_add_lshl_u32 v1, v1, v74, 2
	s_delay_alu instid0(VALU_DEP_4) | instskip(NEXT) | instid1(VALU_DEP_3)
	v_xor_b32_e32 v0, s12, v0
	v_and_b32_e32 v2, v2, v3
	ds_load_b32 v20, v1 offset:16
	v_add_nc_u32_e32 v22, 16, v1
	; wave barrier
	v_and_b32_e32 v0, v2, v0
	s_delay_alu instid0(VALU_DEP_1) | instskip(SKIP_1) | instid1(VALU_DEP_2)
	v_mbcnt_lo_u32_b32 v21, v0, 0
	v_cmp_ne_u32_e64 s12, 0, v0
	v_cmp_eq_u32_e32 vcc_lo, 0, v21
	s_delay_alu instid0(VALU_DEP_2) | instskip(NEXT) | instid1(SALU_CYCLE_1)
	s_and_b32 s24, s12, vcc_lo
	s_and_saveexec_b32 s12, s24
	s_cbranch_execz .LBB303_12
; %bb.11:                               ;   in Loop: Header=BB303_4 Depth=2
	s_waitcnt lgkmcnt(0)
	v_bcnt_u32_b32 v0, v0, v20
	ds_store_b32 v22, v0
.LBB303_12:                             ;   in Loop: Header=BB303_4 Depth=2
	s_or_b32 exec_lo, exec_lo, s12
	v_lshrrev_b64 v[0:1], s22, v[37:38]
	; wave barrier
	s_delay_alu instid0(VALU_DEP_1)
	v_and_b32_e32 v2, 1, v0
	v_lshlrev_b32_e32 v3, 30, v0
	v_lshlrev_b32_e32 v4, 29, v0
	;; [unrolled: 1-line block ×4, first 2 shown]
	v_add_co_u32 v2, s12, v2, -1
	s_delay_alu instid0(VALU_DEP_1)
	v_cndmask_b32_e64 v6, 0, 1, s12
	v_not_b32_e32 v25, v3
	v_cmp_gt_i32_e64 s12, 0, v3
	v_not_b32_e32 v3, v4
	v_lshlrev_b32_e32 v23, 26, v0
	v_cmp_ne_u32_e32 vcc_lo, 0, v6
	v_ashrrev_i32_e32 v6, 31, v25
	v_lshlrev_b32_e32 v24, 25, v0
	v_ashrrev_i32_e32 v3, 31, v3
	v_and_b32_e32 v1, 0xff, v0
	v_xor_b32_e32 v2, vcc_lo, v2
	v_cmp_gt_i32_e32 vcc_lo, 0, v4
	v_not_b32_e32 v4, v5
	v_xor_b32_e32 v6, s12, v6
	v_cmp_gt_i32_e64 s12, 0, v5
	v_and_b32_e32 v2, exec_lo, v2
	v_not_b32_e32 v5, v7
	v_ashrrev_i32_e32 v4, 31, v4
	v_xor_b32_e32 v3, vcc_lo, v3
	v_cmp_gt_i32_e32 vcc_lo, 0, v7
	v_and_b32_e32 v2, v2, v6
	v_not_b32_e32 v6, v23
	v_ashrrev_i32_e32 v5, 31, v5
	v_xor_b32_e32 v4, s12, v4
	v_lshlrev_b32_e32 v0, 24, v0
	v_and_b32_e32 v2, v2, v3
	v_cmp_gt_i32_e64 s12, 0, v23
	v_not_b32_e32 v3, v24
	v_ashrrev_i32_e32 v6, 31, v6
	v_xor_b32_e32 v5, vcc_lo, v5
	v_and_b32_e32 v2, v2, v4
	v_cmp_gt_i32_e32 vcc_lo, 0, v24
	v_not_b32_e32 v4, v0
	v_ashrrev_i32_e32 v3, 31, v3
	v_xor_b32_e32 v6, s12, v6
	v_and_b32_e32 v2, v2, v5
	v_lshlrev_b32_e32 v1, 2, v1
	v_cmp_gt_i32_e64 s12, 0, v0
	v_ashrrev_i32_e32 v0, 31, v4
	v_xor_b32_e32 v3, vcc_lo, v3
	v_and_b32_e32 v2, v2, v6
	v_add_lshl_u32 v1, v1, v74, 2
	s_delay_alu instid0(VALU_DEP_4) | instskip(NEXT) | instid1(VALU_DEP_3)
	v_xor_b32_e32 v0, s12, v0
	v_and_b32_e32 v2, v2, v3
	ds_load_b32 v23, v1 offset:16
	v_add_nc_u32_e32 v25, 16, v1
	; wave barrier
	v_and_b32_e32 v0, v2, v0
	s_delay_alu instid0(VALU_DEP_1) | instskip(SKIP_1) | instid1(VALU_DEP_2)
	v_mbcnt_lo_u32_b32 v24, v0, 0
	v_cmp_ne_u32_e64 s12, 0, v0
	v_cmp_eq_u32_e32 vcc_lo, 0, v24
	s_delay_alu instid0(VALU_DEP_2) | instskip(NEXT) | instid1(SALU_CYCLE_1)
	s_and_b32 s24, s12, vcc_lo
	s_and_saveexec_b32 s12, s24
	s_cbranch_execz .LBB303_14
; %bb.13:                               ;   in Loop: Header=BB303_4 Depth=2
	s_waitcnt lgkmcnt(0)
	v_bcnt_u32_b32 v0, v0, v23
	ds_store_b32 v25, v0
.LBB303_14:                             ;   in Loop: Header=BB303_4 Depth=2
	s_or_b32 exec_lo, exec_lo, s12
	v_lshrrev_b64 v[0:1], s22, v[31:32]
	; wave barrier
	s_delay_alu instid0(VALU_DEP_1)
	v_and_b32_e32 v2, 1, v0
	v_lshlrev_b32_e32 v3, 30, v0
	v_lshlrev_b32_e32 v4, 29, v0
	;; [unrolled: 1-line block ×4, first 2 shown]
	v_add_co_u32 v2, s12, v2, -1
	s_delay_alu instid0(VALU_DEP_1)
	v_cndmask_b32_e64 v6, 0, 1, s12
	v_not_b32_e32 v28, v3
	v_cmp_gt_i32_e64 s12, 0, v3
	v_not_b32_e32 v3, v4
	v_lshlrev_b32_e32 v26, 26, v0
	v_cmp_ne_u32_e32 vcc_lo, 0, v6
	v_ashrrev_i32_e32 v6, 31, v28
	v_lshlrev_b32_e32 v27, 25, v0
	v_ashrrev_i32_e32 v3, 31, v3
	v_and_b32_e32 v1, 0xff, v0
	v_xor_b32_e32 v2, vcc_lo, v2
	v_cmp_gt_i32_e32 vcc_lo, 0, v4
	v_not_b32_e32 v4, v5
	v_xor_b32_e32 v6, s12, v6
	v_cmp_gt_i32_e64 s12, 0, v5
	v_and_b32_e32 v2, exec_lo, v2
	v_not_b32_e32 v5, v7
	v_ashrrev_i32_e32 v4, 31, v4
	v_xor_b32_e32 v3, vcc_lo, v3
	v_cmp_gt_i32_e32 vcc_lo, 0, v7
	v_and_b32_e32 v2, v2, v6
	v_not_b32_e32 v6, v26
	v_ashrrev_i32_e32 v5, 31, v5
	v_xor_b32_e32 v4, s12, v4
	v_lshlrev_b32_e32 v0, 24, v0
	v_and_b32_e32 v2, v2, v3
	v_cmp_gt_i32_e64 s12, 0, v26
	v_not_b32_e32 v3, v27
	v_ashrrev_i32_e32 v6, 31, v6
	v_xor_b32_e32 v5, vcc_lo, v5
	v_and_b32_e32 v2, v2, v4
	v_cmp_gt_i32_e32 vcc_lo, 0, v27
	v_not_b32_e32 v4, v0
	v_ashrrev_i32_e32 v3, 31, v3
	v_xor_b32_e32 v6, s12, v6
	v_and_b32_e32 v2, v2, v5
	v_lshlrev_b32_e32 v1, 2, v1
	v_cmp_gt_i32_e64 s12, 0, v0
	v_ashrrev_i32_e32 v0, 31, v4
	v_xor_b32_e32 v3, vcc_lo, v3
	v_and_b32_e32 v2, v2, v6
	v_add_lshl_u32 v1, v1, v74, 2
	s_delay_alu instid0(VALU_DEP_4) | instskip(NEXT) | instid1(VALU_DEP_3)
	v_xor_b32_e32 v0, s12, v0
	v_and_b32_e32 v2, v2, v3
	ds_load_b32 v26, v1 offset:16
	v_add_nc_u32_e32 v28, 16, v1
	; wave barrier
	v_and_b32_e32 v0, v2, v0
	s_delay_alu instid0(VALU_DEP_1) | instskip(SKIP_1) | instid1(VALU_DEP_2)
	v_mbcnt_lo_u32_b32 v27, v0, 0
	v_cmp_ne_u32_e64 s12, 0, v0
	v_cmp_eq_u32_e32 vcc_lo, 0, v27
	s_delay_alu instid0(VALU_DEP_2) | instskip(NEXT) | instid1(SALU_CYCLE_1)
	s_and_b32 s24, s12, vcc_lo
	s_and_saveexec_b32 s12, s24
	s_cbranch_execz .LBB303_16
; %bb.15:                               ;   in Loop: Header=BB303_4 Depth=2
	s_waitcnt lgkmcnt(0)
	v_bcnt_u32_b32 v0, v0, v26
	ds_store_b32 v28, v0
.LBB303_16:                             ;   in Loop: Header=BB303_4 Depth=2
	s_or_b32 exec_lo, exec_lo, s12
	v_lshrrev_b64 v[0:1], s22, v[18:19]
	; wave barrier
	s_delay_alu instid0(VALU_DEP_1)
	v_and_b32_e32 v2, 1, v0
	v_lshlrev_b32_e32 v3, 30, v0
	v_lshlrev_b32_e32 v4, 29, v0
	;; [unrolled: 1-line block ×4, first 2 shown]
	v_add_co_u32 v2, s12, v2, -1
	s_delay_alu instid0(VALU_DEP_1)
	v_cndmask_b32_e64 v6, 0, 1, s12
	v_not_b32_e32 v35, v3
	v_cmp_gt_i32_e64 s12, 0, v3
	v_not_b32_e32 v3, v4
	v_lshlrev_b32_e32 v33, 26, v0
	v_cmp_ne_u32_e32 vcc_lo, 0, v6
	v_ashrrev_i32_e32 v6, 31, v35
	v_lshlrev_b32_e32 v34, 25, v0
	v_ashrrev_i32_e32 v3, 31, v3
	v_and_b32_e32 v1, 0xff, v0
	v_xor_b32_e32 v2, vcc_lo, v2
	v_cmp_gt_i32_e32 vcc_lo, 0, v4
	v_not_b32_e32 v4, v5
	v_xor_b32_e32 v6, s12, v6
	v_cmp_gt_i32_e64 s12, 0, v5
	v_and_b32_e32 v2, exec_lo, v2
	v_not_b32_e32 v5, v7
	v_ashrrev_i32_e32 v4, 31, v4
	v_xor_b32_e32 v3, vcc_lo, v3
	v_cmp_gt_i32_e32 vcc_lo, 0, v7
	v_and_b32_e32 v2, v2, v6
	v_not_b32_e32 v6, v33
	v_ashrrev_i32_e32 v5, 31, v5
	v_xor_b32_e32 v4, s12, v4
	v_lshlrev_b32_e32 v0, 24, v0
	v_and_b32_e32 v2, v2, v3
	v_cmp_gt_i32_e64 s12, 0, v33
	v_not_b32_e32 v3, v34
	v_ashrrev_i32_e32 v6, 31, v6
	v_xor_b32_e32 v5, vcc_lo, v5
	v_and_b32_e32 v2, v2, v4
	v_cmp_gt_i32_e32 vcc_lo, 0, v34
	v_not_b32_e32 v4, v0
	v_ashrrev_i32_e32 v3, 31, v3
	v_xor_b32_e32 v6, s12, v6
	v_and_b32_e32 v2, v2, v5
	v_lshlrev_b32_e32 v1, 2, v1
	v_cmp_gt_i32_e64 s12, 0, v0
	v_ashrrev_i32_e32 v0, 31, v4
	v_xor_b32_e32 v3, vcc_lo, v3
	v_and_b32_e32 v2, v2, v6
	v_add_lshl_u32 v1, v1, v74, 2
	s_delay_alu instid0(VALU_DEP_4) | instskip(NEXT) | instid1(VALU_DEP_3)
	v_xor_b32_e32 v0, s12, v0
	v_and_b32_e32 v2, v2, v3
	ds_load_b32 v33, v1 offset:16
	v_add_nc_u32_e32 v35, 16, v1
	; wave barrier
	v_and_b32_e32 v0, v2, v0
	s_delay_alu instid0(VALU_DEP_1) | instskip(SKIP_1) | instid1(VALU_DEP_2)
	v_mbcnt_lo_u32_b32 v34, v0, 0
	v_cmp_ne_u32_e64 s12, 0, v0
	v_cmp_eq_u32_e32 vcc_lo, 0, v34
	s_delay_alu instid0(VALU_DEP_2) | instskip(NEXT) | instid1(SALU_CYCLE_1)
	s_and_b32 s24, s12, vcc_lo
	s_and_saveexec_b32 s12, s24
	s_cbranch_execz .LBB303_18
; %bb.17:                               ;   in Loop: Header=BB303_4 Depth=2
	s_waitcnt lgkmcnt(0)
	v_bcnt_u32_b32 v0, v0, v33
	ds_store_b32 v35, v0
.LBB303_18:                             ;   in Loop: Header=BB303_4 Depth=2
	s_or_b32 exec_lo, exec_lo, s12
	v_lshrrev_b64 v[0:1], s22, v[16:17]
	; wave barrier
	s_delay_alu instid0(VALU_DEP_1)
	v_and_b32_e32 v2, 1, v0
	v_lshlrev_b32_e32 v3, 30, v0
	v_lshlrev_b32_e32 v4, 29, v0
	;; [unrolled: 1-line block ×4, first 2 shown]
	v_add_co_u32 v2, s12, v2, -1
	s_delay_alu instid0(VALU_DEP_1)
	v_cndmask_b32_e64 v6, 0, 1, s12
	v_not_b32_e32 v46, v3
	v_cmp_gt_i32_e64 s12, 0, v3
	v_not_b32_e32 v3, v4
	v_lshlrev_b32_e32 v36, 26, v0
	v_cmp_ne_u32_e32 vcc_lo, 0, v6
	v_ashrrev_i32_e32 v6, 31, v46
	v_lshlrev_b32_e32 v45, 25, v0
	v_ashrrev_i32_e32 v3, 31, v3
	v_and_b32_e32 v1, 0xff, v0
	v_xor_b32_e32 v2, vcc_lo, v2
	v_cmp_gt_i32_e32 vcc_lo, 0, v4
	v_not_b32_e32 v4, v5
	v_xor_b32_e32 v6, s12, v6
	v_cmp_gt_i32_e64 s12, 0, v5
	v_and_b32_e32 v2, exec_lo, v2
	v_not_b32_e32 v5, v7
	v_ashrrev_i32_e32 v4, 31, v4
	v_xor_b32_e32 v3, vcc_lo, v3
	v_cmp_gt_i32_e32 vcc_lo, 0, v7
	v_and_b32_e32 v2, v2, v6
	v_not_b32_e32 v6, v36
	v_ashrrev_i32_e32 v5, 31, v5
	v_xor_b32_e32 v4, s12, v4
	v_lshlrev_b32_e32 v0, 24, v0
	v_and_b32_e32 v2, v2, v3
	v_cmp_gt_i32_e64 s12, 0, v36
	v_not_b32_e32 v3, v45
	v_ashrrev_i32_e32 v6, 31, v6
	v_xor_b32_e32 v5, vcc_lo, v5
	v_and_b32_e32 v2, v2, v4
	v_cmp_gt_i32_e32 vcc_lo, 0, v45
	v_not_b32_e32 v4, v0
	v_ashrrev_i32_e32 v3, 31, v3
	v_xor_b32_e32 v6, s12, v6
	v_and_b32_e32 v2, v2, v5
	v_lshlrev_b32_e32 v1, 2, v1
	v_cmp_gt_i32_e64 s12, 0, v0
	v_ashrrev_i32_e32 v0, 31, v4
	v_xor_b32_e32 v3, vcc_lo, v3
	v_and_b32_e32 v2, v2, v6
	v_add_lshl_u32 v1, v1, v74, 2
	s_delay_alu instid0(VALU_DEP_4) | instskip(NEXT) | instid1(VALU_DEP_3)
	v_xor_b32_e32 v0, s12, v0
	v_and_b32_e32 v2, v2, v3
	ds_load_b32 v36, v1 offset:16
	v_add_nc_u32_e32 v46, 16, v1
	; wave barrier
	v_and_b32_e32 v0, v2, v0
	s_delay_alu instid0(VALU_DEP_1) | instskip(SKIP_1) | instid1(VALU_DEP_2)
	v_mbcnt_lo_u32_b32 v45, v0, 0
	v_cmp_ne_u32_e64 s12, 0, v0
	v_cmp_eq_u32_e32 vcc_lo, 0, v45
	s_delay_alu instid0(VALU_DEP_2) | instskip(NEXT) | instid1(SALU_CYCLE_1)
	s_and_b32 s24, s12, vcc_lo
	s_and_saveexec_b32 s12, s24
	s_cbranch_execz .LBB303_20
; %bb.19:                               ;   in Loop: Header=BB303_4 Depth=2
	s_waitcnt lgkmcnt(0)
	v_bcnt_u32_b32 v0, v0, v36
	ds_store_b32 v46, v0
.LBB303_20:                             ;   in Loop: Header=BB303_4 Depth=2
	s_or_b32 exec_lo, exec_lo, s12
	; wave barrier
	s_waitcnt lgkmcnt(0)
	s_barrier
	buffer_gl0_inv
	ds_load_2addr_b64 v[4:7], v66 offset0:2 offset1:3
	ds_load_2addr_b64 v[0:3], v67 offset0:2 offset1:3
	s_waitcnt lgkmcnt(1)
	v_add_nc_u32_e32 v47, v5, v4
	s_delay_alu instid0(VALU_DEP_1) | instskip(SKIP_1) | instid1(VALU_DEP_1)
	v_add3_u32 v47, v47, v6, v7
	s_waitcnt lgkmcnt(0)
	v_add3_u32 v47, v47, v0, v1
	s_delay_alu instid0(VALU_DEP_1) | instskip(NEXT) | instid1(VALU_DEP_1)
	v_add3_u32 v3, v47, v2, v3
	v_mov_b32_dpp v47, v3 row_shr:1 row_mask:0xf bank_mask:0xf
	s_delay_alu instid0(VALU_DEP_1) | instskip(NEXT) | instid1(VALU_DEP_1)
	v_cndmask_b32_e64 v47, v47, 0, s1
	v_add_nc_u32_e32 v3, v47, v3
	s_delay_alu instid0(VALU_DEP_1) | instskip(NEXT) | instid1(VALU_DEP_1)
	v_mov_b32_dpp v47, v3 row_shr:2 row_mask:0xf bank_mask:0xf
	v_cndmask_b32_e64 v47, 0, v47, s2
	s_delay_alu instid0(VALU_DEP_1) | instskip(NEXT) | instid1(VALU_DEP_1)
	v_add_nc_u32_e32 v3, v3, v47
	v_mov_b32_dpp v47, v3 row_shr:4 row_mask:0xf bank_mask:0xf
	s_delay_alu instid0(VALU_DEP_1) | instskip(NEXT) | instid1(VALU_DEP_1)
	v_cndmask_b32_e64 v47, 0, v47, s3
	v_add_nc_u32_e32 v3, v3, v47
	s_delay_alu instid0(VALU_DEP_1) | instskip(NEXT) | instid1(VALU_DEP_1)
	v_mov_b32_dpp v47, v3 row_shr:8 row_mask:0xf bank_mask:0xf
	v_cndmask_b32_e64 v47, 0, v47, s4
	s_delay_alu instid0(VALU_DEP_1) | instskip(SKIP_3) | instid1(VALU_DEP_1)
	v_add_nc_u32_e32 v3, v3, v47
	ds_swizzle_b32 v47, v3 offset:swizzle(BROADCAST,32,15)
	s_waitcnt lgkmcnt(0)
	v_cndmask_b32_e64 v47, v47, 0, s5
	v_add_nc_u32_e32 v3, v3, v47
	s_and_saveexec_b32 s12, s11
	s_cbranch_execz .LBB303_22
; %bb.21:                               ;   in Loop: Header=BB303_4 Depth=2
	ds_store_b32 v69, v3
.LBB303_22:                             ;   in Loop: Header=BB303_4 Depth=2
	s_or_b32 exec_lo, exec_lo, s12
	s_waitcnt lgkmcnt(0)
	s_barrier
	buffer_gl0_inv
	s_and_saveexec_b32 s12, s6
	s_cbranch_execz .LBB303_24
; %bb.23:                               ;   in Loop: Header=BB303_4 Depth=2
	ds_load_b32 v47, v70
	s_waitcnt lgkmcnt(0)
	v_mov_b32_dpp v48, v47 row_shr:1 row_mask:0xf bank_mask:0xf
	s_delay_alu instid0(VALU_DEP_1) | instskip(NEXT) | instid1(VALU_DEP_1)
	v_cndmask_b32_e64 v48, v48, 0, s9
	v_add_nc_u32_e32 v47, v48, v47
	s_delay_alu instid0(VALU_DEP_1) | instskip(NEXT) | instid1(VALU_DEP_1)
	v_mov_b32_dpp v48, v47 row_shr:2 row_mask:0xf bank_mask:0xf
	v_cndmask_b32_e64 v48, 0, v48, s10
	s_delay_alu instid0(VALU_DEP_1)
	v_add_nc_u32_e32 v47, v47, v48
	ds_store_b32 v70, v47
.LBB303_24:                             ;   in Loop: Header=BB303_4 Depth=2
	s_or_b32 exec_lo, exec_lo, s12
	v_mov_b32_e32 v47, 0
	s_waitcnt lgkmcnt(0)
	s_barrier
	buffer_gl0_inv
	s_and_saveexec_b32 s12, s7
	s_cbranch_execz .LBB303_26
; %bb.25:                               ;   in Loop: Header=BB303_4 Depth=2
	ds_load_b32 v47, v73
.LBB303_26:                             ;   in Loop: Header=BB303_4 Depth=2
	s_or_b32 exec_lo, exec_lo, s12
	s_waitcnt lgkmcnt(0)
	v_add_nc_u32_e32 v3, v47, v3
	s_cmp_gt_u32 s22, 55
	ds_bpermute_b32 v3, v68, v3
	s_waitcnt lgkmcnt(0)
	v_cndmask_b32_e64 v3, v3, v47, s0
	s_delay_alu instid0(VALU_DEP_1) | instskip(NEXT) | instid1(VALU_DEP_1)
	v_cndmask_b32_e64 v3, v3, 0, s8
	v_add_nc_u32_e32 v4, v3, v4
	s_delay_alu instid0(VALU_DEP_1) | instskip(NEXT) | instid1(VALU_DEP_1)
	v_add_nc_u32_e32 v5, v4, v5
	v_add_nc_u32_e32 v6, v5, v6
	s_delay_alu instid0(VALU_DEP_1) | instskip(NEXT) | instid1(VALU_DEP_1)
	v_add_nc_u32_e32 v47, v6, v7
	;; [unrolled: 3-line block ×3, first 2 shown]
	v_add_nc_u32_e32 v1, v0, v2
	ds_store_2addr_b64 v66, v[3:4], v[5:6] offset0:2 offset1:3
	ds_store_2addr_b64 v67, v[47:48], v[0:1] offset0:2 offset1:3
	s_waitcnt lgkmcnt(0)
	s_barrier
	buffer_gl0_inv
	ds_load_b32 v0, v9
	ds_load_b32 v1, v12
	;; [unrolled: 1-line block ×8, first 2 shown]
	s_waitcnt lgkmcnt(7)
	v_add_nc_u32_e32 v82, v0, v8
	s_waitcnt lgkmcnt(6)
	v_add3_u32 v81, v11, v10, v1
	s_waitcnt lgkmcnt(5)
	v_add3_u32 v80, v14, v13, v2
	;; [unrolled: 2-line block ×7, first 2 shown]
	s_cbranch_scc0 .LBB303_3
; %bb.27:                               ;   in Loop: Header=BB303_2 Depth=1
                                        ; implicit-def: $vgpr47_vgpr48
                                        ; implicit-def: $vgpr35_vgpr36
                                        ; implicit-def: $vgpr27_vgpr28
                                        ; implicit-def: $vgpr23_vgpr24
                                        ; implicit-def: $vgpr14_vgpr15
                                        ; implicit-def: $vgpr10_vgpr11
                                        ; implicit-def: $vgpr6_vgpr7
                                        ; implicit-def: $vgpr2_vgpr3
                                        ; implicit-def: $sgpr22_sgpr23
	s_branch .LBB303_1
.LBB303_28:
	s_waitcnt lgkmcnt(3)
	v_add_co_u32 v13, vcc_lo, v13, v41
	v_add_co_ci_u32_e32 v14, vcc_lo, v14, v42, vcc_lo
	v_add_co_u32 v15, vcc_lo, v15, v43
	v_add_co_ci_u32_e32 v16, vcc_lo, v16, v44, vcc_lo
	s_waitcnt lgkmcnt(2)
	v_add_co_u32 v9, vcc_lo, v9, v37
	v_add_co_ci_u32_e32 v10, vcc_lo, v10, v38, vcc_lo
	v_add_co_u32 v11, vcc_lo, v11, v39
	v_add_co_ci_u32_e32 v12, vcc_lo, v12, v40, vcc_lo
	;; [unrolled: 5-line block ×3, first 2 shown]
	s_add_u32 s0, s18, s14
	s_waitcnt lgkmcnt(0)
	v_add_co_u32 v0, vcc_lo, v1, v17
	s_addc_u32 s1, s19, s15
	v_add_co_u32 v17, s2, s0, v65
	v_add_co_ci_u32_e32 v1, vcc_lo, v2, v18, vcc_lo
	v_add_co_ci_u32_e64 v18, null, s1, 0, s2
	v_add_co_u32 v2, vcc_lo, v3, v19
	v_add_co_ci_u32_e32 v3, vcc_lo, v4, v20, vcc_lo
	v_add_co_u32 v17, vcc_lo, 0x1000, v17
	s_delay_alu instid0(VALU_DEP_4)
	v_add_co_ci_u32_e32 v18, vcc_lo, 0, v18, vcc_lo
	s_clause 0x7
	global_store_b64 v65, v[13:14], s[0:1]
	global_store_b64 v65, v[15:16], s[0:1] offset:1024
	global_store_b64 v65, v[9:10], s[0:1] offset:2048
	;; [unrolled: 1-line block ×3, first 2 shown]
	global_store_b64 v[17:18], v[5:6], off
	global_store_b64 v[17:18], v[7:8], off offset:1024
	global_store_b64 v[17:18], v[0:1], off offset:2048
	;; [unrolled: 1-line block ×3, first 2 shown]
	s_nop 0
	s_sendmsg sendmsg(MSG_DEALLOC_VGPRS)
	s_endpgm
	.section	.rodata,"a",@progbits
	.p2align	6, 0x0
	.amdhsa_kernel _Z17sort_pairs_kernelI22helper_blocked_stripedxLj128ELj8ELj10EEvPKT0_PS1_
		.amdhsa_group_segment_fixed_size 8192
		.amdhsa_private_segment_fixed_size 0
		.amdhsa_kernarg_size 272
		.amdhsa_user_sgpr_count 15
		.amdhsa_user_sgpr_dispatch_ptr 0
		.amdhsa_user_sgpr_queue_ptr 0
		.amdhsa_user_sgpr_kernarg_segment_ptr 1
		.amdhsa_user_sgpr_dispatch_id 0
		.amdhsa_user_sgpr_private_segment_size 0
		.amdhsa_wavefront_size32 1
		.amdhsa_uses_dynamic_stack 0
		.amdhsa_enable_private_segment 0
		.amdhsa_system_sgpr_workgroup_id_x 1
		.amdhsa_system_sgpr_workgroup_id_y 0
		.amdhsa_system_sgpr_workgroup_id_z 0
		.amdhsa_system_sgpr_workgroup_info 0
		.amdhsa_system_vgpr_workitem_id 2
		.amdhsa_next_free_vgpr 83
		.amdhsa_next_free_sgpr 25
		.amdhsa_reserve_vcc 1
		.amdhsa_float_round_mode_32 0
		.amdhsa_float_round_mode_16_64 0
		.amdhsa_float_denorm_mode_32 3
		.amdhsa_float_denorm_mode_16_64 3
		.amdhsa_dx10_clamp 1
		.amdhsa_ieee_mode 1
		.amdhsa_fp16_overflow 0
		.amdhsa_workgroup_processor_mode 1
		.amdhsa_memory_ordered 1
		.amdhsa_forward_progress 0
		.amdhsa_shared_vgpr_count 0
		.amdhsa_exception_fp_ieee_invalid_op 0
		.amdhsa_exception_fp_denorm_src 0
		.amdhsa_exception_fp_ieee_div_zero 0
		.amdhsa_exception_fp_ieee_overflow 0
		.amdhsa_exception_fp_ieee_underflow 0
		.amdhsa_exception_fp_ieee_inexact 0
		.amdhsa_exception_int_div_zero 0
	.end_amdhsa_kernel
	.section	.text._Z17sort_pairs_kernelI22helper_blocked_stripedxLj128ELj8ELj10EEvPKT0_PS1_,"axG",@progbits,_Z17sort_pairs_kernelI22helper_blocked_stripedxLj128ELj8ELj10EEvPKT0_PS1_,comdat
.Lfunc_end303:
	.size	_Z17sort_pairs_kernelI22helper_blocked_stripedxLj128ELj8ELj10EEvPKT0_PS1_, .Lfunc_end303-_Z17sort_pairs_kernelI22helper_blocked_stripedxLj128ELj8ELj10EEvPKT0_PS1_
                                        ; -- End function
	.section	.AMDGPU.csdata,"",@progbits
; Kernel info:
; codeLenInByte = 5092
; NumSgprs: 27
; NumVgprs: 83
; ScratchSize: 0
; MemoryBound: 0
; FloatMode: 240
; IeeeMode: 1
; LDSByteSize: 8192 bytes/workgroup (compile time only)
; SGPRBlocks: 3
; VGPRBlocks: 10
; NumSGPRsForWavesPerEU: 27
; NumVGPRsForWavesPerEU: 83
; Occupancy: 16
; WaveLimiterHint : 1
; COMPUTE_PGM_RSRC2:SCRATCH_EN: 0
; COMPUTE_PGM_RSRC2:USER_SGPR: 15
; COMPUTE_PGM_RSRC2:TRAP_HANDLER: 0
; COMPUTE_PGM_RSRC2:TGID_X_EN: 1
; COMPUTE_PGM_RSRC2:TGID_Y_EN: 0
; COMPUTE_PGM_RSRC2:TGID_Z_EN: 0
; COMPUTE_PGM_RSRC2:TIDIG_COMP_CNT: 2
	.section	.text._Z16sort_keys_kernelI22helper_blocked_stripedxLj192ELj1ELj10EEvPKT0_PS1_,"axG",@progbits,_Z16sort_keys_kernelI22helper_blocked_stripedxLj192ELj1ELj10EEvPKT0_PS1_,comdat
	.protected	_Z16sort_keys_kernelI22helper_blocked_stripedxLj192ELj1ELj10EEvPKT0_PS1_ ; -- Begin function _Z16sort_keys_kernelI22helper_blocked_stripedxLj192ELj1ELj10EEvPKT0_PS1_
	.globl	_Z16sort_keys_kernelI22helper_blocked_stripedxLj192ELj1ELj10EEvPKT0_PS1_
	.p2align	8
	.type	_Z16sort_keys_kernelI22helper_blocked_stripedxLj192ELj1ELj10EEvPKT0_PS1_,@function
_Z16sort_keys_kernelI22helper_blocked_stripedxLj192ELj1ELj10EEvPKT0_PS1_: ; @_Z16sort_keys_kernelI22helper_blocked_stripedxLj192ELj1ELj10EEvPKT0_PS1_
; %bb.0:
	s_clause 0x1
	s_load_b128 s[16:19], s[0:1], 0x0
	s_load_b32 s12, s[0:1], 0x1c
	v_and_b32_e32 v8, 0x3ff, v0
	s_mov_b32 s21, 0
	s_mul_i32 s20, s15, 0xc0
	v_mbcnt_lo_u32_b32 v5, -1, 0
	s_lshl_b64 s[14:15], s[20:21], 3
	v_lshlrev_b32_e32 v1, 3, v8
	s_mov_b32 s20, s21
	v_bfe_u32 v3, v0, 10, 10
	v_and_b32_e32 v6, 16, v5
	v_add_nc_u32_e32 v7, -1, v5
	v_bfe_u32 v0, v0, 20, 10
	v_dual_mov_b32 v11, s20 :: v_dual_and_b32 v4, 15, v5
	v_mov_b32_e32 v12, s21
	v_cmp_eq_u32_e64 s5, 0, v6
	v_cmp_gt_i32_e32 vcc_lo, 0, v7
	s_delay_alu instid0(VALU_DEP_4)
	v_cmp_lt_u32_e64 s2, 1, v4
	v_cmp_lt_u32_e64 s3, 3, v4
	s_waitcnt lgkmcnt(0)
	s_add_u32 s0, s16, s14
	s_addc_u32 s1, s17, s15
	s_lshr_b32 s13, s12, 16
	global_load_b64 v[1:2], v1, s[0:1]
	s_mov_b32 s1, s21
	s_mov_b32 s0, s21
	s_delay_alu instid0(SALU_CYCLE_1)
	v_dual_mov_b32 v10, s1 :: v_dual_mov_b32 v9, s0
	v_dual_cndmask_b32 v7, v7, v5 :: v_dual_and_b32 v6, 0xe0, v8
	v_cmp_eq_u32_e64 s1, 0, v4
	v_cmp_lt_u32_e64 s4, 7, v4
	v_lshrrev_b32_e32 v4, 3, v8
	v_mad_u32_u24 v0, v0, s13, v3
	v_and_b32_e32 v13, 7, v5
	v_lshlrev_b32_e32 v15, 5, v8
	v_min_u32_e32 v14, 0xa0, v6
	s_and_b32 s12, s12, 0xffff
	v_and_b32_e32 v17, 28, v4
	v_mad_u64_u32 v[3:4], null, v0, s12, v[8:9]
	v_cmp_eq_u32_e64 s9, 0, v13
	v_cmp_lt_u32_e64 s10, 1, v13
	v_cmp_lt_u32_e64 s11, 3, v13
	v_lshlrev_b32_e32 v13, 2, v8
	v_or_b32_e32 v0, v5, v6
	v_or_b32_e32 v4, 31, v14
	v_mad_i32_i24 v19, 0xffffffe4, v8, v15
	v_cmp_eq_u32_e64 s0, 0, v5
	v_cmp_gt_u32_e64 s6, 6, v8
	v_cmp_lt_u32_e64 s7, 31, v8
	v_cmp_eq_u32_e64 s8, 0, v8
	v_or_b32_e32 v16, 24, v15
	v_lshlrev_b32_e32 v18, 2, v7
	v_add_nc_u32_e32 v20, -4, v17
	v_lshlrev_b32_e32 v21, 3, v0
	v_cmp_eq_u32_e64 s12, v4, v8
	v_lshrrev_b32_e32 v22, 5, v3
	v_add_nc_u32_e32 v23, v19, v13
	s_waitcnt vmcnt(0)
	v_xor_b32_e32 v2, 0x80000000, v2
	s_branch .LBB304_2
.LBB304_1:                              ;   in Loop: Header=BB304_2 Depth=1
	s_delay_alu instid0(VALU_DEP_1)
	v_lshlrev_b32_e32 v0, 3, v0
	s_barrier
	buffer_gl0_inv
	s_add_i32 s21, s21, 1
	ds_store_b64 v0, v[13:14]
	s_waitcnt lgkmcnt(0)
	s_barrier
	buffer_gl0_inv
	ds_load_b64 v[1:2], v23
	s_cmp_eq_u32 s21, 10
	s_cbranch_scc1 .LBB304_14
.LBB304_2:                              ; =>This Loop Header: Depth=1
                                        ;     Child Loop BB304_4 Depth 2
	s_mov_b64 s[16:17], 0
	s_branch .LBB304_4
.LBB304_3:                              ;   in Loop: Header=BB304_4 Depth=2
	s_delay_alu instid0(VALU_DEP_1)
	v_lshlrev_b32_e32 v1, 3, v0
	s_barrier
	buffer_gl0_inv
	s_add_u32 s16, s16, 8
	ds_store_b64 v1, v[13:14]
	s_waitcnt lgkmcnt(0)
	s_barrier
	buffer_gl0_inv
	ds_load_b64 v[1:2], v21
	s_addc_u32 s17, s17, 0
	s_waitcnt lgkmcnt(0)
	s_barrier
	buffer_gl0_inv
	s_cbranch_execz .LBB304_1
.LBB304_4:                              ;   Parent Loop BB304_2 Depth=1
                                        ; =>  This Inner Loop Header: Depth=2
	s_waitcnt lgkmcnt(0)
	v_dual_mov_b32 v14, v2 :: v_dual_mov_b32 v13, v1
	ds_store_2addr_b64 v15, v[11:12], v[9:10] offset0:3 offset1:4
	ds_store_2addr_b64 v16, v[11:12], v[9:10] offset0:2 offset1:3
	s_waitcnt lgkmcnt(0)
	s_barrier
	buffer_gl0_inv
	v_lshrrev_b64 v[1:2], s16, v[13:14]
	; wave barrier
	s_delay_alu instid0(VALU_DEP_1)
	v_and_b32_e32 v0, 1, v1
	v_lshlrev_b32_e32 v2, 30, v1
	v_lshlrev_b32_e32 v3, 29, v1
	;; [unrolled: 1-line block ×4, first 2 shown]
	v_add_co_u32 v0, s13, v0, -1
	s_delay_alu instid0(VALU_DEP_1)
	v_cndmask_b32_e64 v5, 0, 1, s13
	v_not_b32_e32 v25, v2
	v_cmp_gt_i32_e64 s13, 0, v2
	v_not_b32_e32 v2, v3
	v_lshlrev_b32_e32 v7, 26, v1
	v_cmp_ne_u32_e32 vcc_lo, 0, v5
	v_ashrrev_i32_e32 v25, 31, v25
	v_lshlrev_b32_e32 v24, 25, v1
	v_ashrrev_i32_e32 v2, 31, v2
	v_lshlrev_b32_e32 v5, 24, v1
	v_xor_b32_e32 v0, vcc_lo, v0
	v_cmp_gt_i32_e32 vcc_lo, 0, v3
	v_not_b32_e32 v3, v4
	v_xor_b32_e32 v25, s13, v25
	v_cmp_gt_i32_e64 s13, 0, v4
	v_and_b32_e32 v0, exec_lo, v0
	v_not_b32_e32 v4, v6
	v_ashrrev_i32_e32 v3, 31, v3
	v_xor_b32_e32 v2, vcc_lo, v2
	v_cmp_gt_i32_e32 vcc_lo, 0, v6
	v_and_b32_e32 v0, v0, v25
	v_not_b32_e32 v6, v7
	v_ashrrev_i32_e32 v4, 31, v4
	v_xor_b32_e32 v3, s13, v3
	v_cmp_gt_i32_e64 s13, 0, v7
	v_and_b32_e32 v0, v0, v2
	v_not_b32_e32 v2, v24
	v_ashrrev_i32_e32 v6, 31, v6
	v_xor_b32_e32 v4, vcc_lo, v4
	v_cmp_gt_i32_e32 vcc_lo, 0, v24
	v_and_b32_e32 v0, v0, v3
	v_not_b32_e32 v3, v5
	v_ashrrev_i32_e32 v2, 31, v2
	v_xor_b32_e32 v6, s13, v6
	v_cmp_gt_i32_e64 s13, 0, v5
	v_and_b32_e32 v0, v0, v4
	v_ashrrev_i32_e32 v3, 31, v3
	v_xor_b32_e32 v2, vcc_lo, v2
	v_and_b32_e32 v1, 0xff, v1
	s_delay_alu instid0(VALU_DEP_4) | instskip(NEXT) | instid1(VALU_DEP_4)
	v_and_b32_e32 v0, v0, v6
	v_xor_b32_e32 v3, s13, v3
	s_delay_alu instid0(VALU_DEP_3) | instskip(NEXT) | instid1(VALU_DEP_3)
	v_mad_u32_u24 v1, v1, 6, v22
	v_and_b32_e32 v0, v0, v2
	s_delay_alu instid0(VALU_DEP_2) | instskip(NEXT) | instid1(VALU_DEP_2)
	v_lshl_add_u32 v25, v1, 2, 24
	v_and_b32_e32 v0, v0, v3
	s_delay_alu instid0(VALU_DEP_1) | instskip(SKIP_1) | instid1(VALU_DEP_2)
	v_mbcnt_lo_u32_b32 v24, v0, 0
	v_cmp_ne_u32_e64 s13, 0, v0
	v_cmp_eq_u32_e32 vcc_lo, 0, v24
	s_delay_alu instid0(VALU_DEP_2) | instskip(NEXT) | instid1(SALU_CYCLE_1)
	s_and_b32 s20, s13, vcc_lo
	s_and_saveexec_b32 s13, s20
	s_cbranch_execz .LBB304_6
; %bb.5:                                ;   in Loop: Header=BB304_4 Depth=2
	v_bcnt_u32_b32 v0, v0, 0
	ds_store_b32 v25, v0
.LBB304_6:                              ;   in Loop: Header=BB304_4 Depth=2
	s_or_b32 exec_lo, exec_lo, s13
	; wave barrier
	s_waitcnt lgkmcnt(0)
	s_barrier
	buffer_gl0_inv
	ds_load_2addr_b64 v[4:7], v15 offset0:3 offset1:4
	ds_load_2addr_b64 v[0:3], v16 offset0:2 offset1:3
	s_waitcnt lgkmcnt(1)
	v_add_nc_u32_e32 v26, v5, v4
	s_delay_alu instid0(VALU_DEP_1) | instskip(SKIP_1) | instid1(VALU_DEP_1)
	v_add3_u32 v26, v26, v6, v7
	s_waitcnt lgkmcnt(0)
	v_add3_u32 v26, v26, v0, v1
	s_delay_alu instid0(VALU_DEP_1) | instskip(NEXT) | instid1(VALU_DEP_1)
	v_add3_u32 v3, v26, v2, v3
	v_mov_b32_dpp v26, v3 row_shr:1 row_mask:0xf bank_mask:0xf
	s_delay_alu instid0(VALU_DEP_1) | instskip(NEXT) | instid1(VALU_DEP_1)
	v_cndmask_b32_e64 v26, v26, 0, s1
	v_add_nc_u32_e32 v3, v26, v3
	s_delay_alu instid0(VALU_DEP_1) | instskip(NEXT) | instid1(VALU_DEP_1)
	v_mov_b32_dpp v26, v3 row_shr:2 row_mask:0xf bank_mask:0xf
	v_cndmask_b32_e64 v26, 0, v26, s2
	s_delay_alu instid0(VALU_DEP_1) | instskip(NEXT) | instid1(VALU_DEP_1)
	v_add_nc_u32_e32 v3, v3, v26
	v_mov_b32_dpp v26, v3 row_shr:4 row_mask:0xf bank_mask:0xf
	s_delay_alu instid0(VALU_DEP_1) | instskip(NEXT) | instid1(VALU_DEP_1)
	v_cndmask_b32_e64 v26, 0, v26, s3
	v_add_nc_u32_e32 v3, v3, v26
	s_delay_alu instid0(VALU_DEP_1) | instskip(NEXT) | instid1(VALU_DEP_1)
	v_mov_b32_dpp v26, v3 row_shr:8 row_mask:0xf bank_mask:0xf
	v_cndmask_b32_e64 v26, 0, v26, s4
	s_delay_alu instid0(VALU_DEP_1) | instskip(SKIP_3) | instid1(VALU_DEP_1)
	v_add_nc_u32_e32 v3, v3, v26
	ds_swizzle_b32 v26, v3 offset:swizzle(BROADCAST,32,15)
	s_waitcnt lgkmcnt(0)
	v_cndmask_b32_e64 v26, v26, 0, s5
	v_add_nc_u32_e32 v3, v3, v26
	s_and_saveexec_b32 s13, s12
	s_cbranch_execz .LBB304_8
; %bb.7:                                ;   in Loop: Header=BB304_4 Depth=2
	ds_store_b32 v17, v3
.LBB304_8:                              ;   in Loop: Header=BB304_4 Depth=2
	s_or_b32 exec_lo, exec_lo, s13
	s_waitcnt lgkmcnt(0)
	s_barrier
	buffer_gl0_inv
	s_and_saveexec_b32 s13, s6
	s_cbranch_execz .LBB304_10
; %bb.9:                                ;   in Loop: Header=BB304_4 Depth=2
	ds_load_b32 v26, v19
	s_waitcnt lgkmcnt(0)
	v_mov_b32_dpp v27, v26 row_shr:1 row_mask:0xf bank_mask:0xf
	s_delay_alu instid0(VALU_DEP_1) | instskip(NEXT) | instid1(VALU_DEP_1)
	v_cndmask_b32_e64 v27, v27, 0, s9
	v_add_nc_u32_e32 v26, v27, v26
	s_delay_alu instid0(VALU_DEP_1) | instskip(NEXT) | instid1(VALU_DEP_1)
	v_mov_b32_dpp v27, v26 row_shr:2 row_mask:0xf bank_mask:0xf
	v_cndmask_b32_e64 v27, 0, v27, s10
	s_delay_alu instid0(VALU_DEP_1) | instskip(NEXT) | instid1(VALU_DEP_1)
	v_add_nc_u32_e32 v26, v26, v27
	v_mov_b32_dpp v27, v26 row_shr:4 row_mask:0xf bank_mask:0xf
	s_delay_alu instid0(VALU_DEP_1) | instskip(NEXT) | instid1(VALU_DEP_1)
	v_cndmask_b32_e64 v27, 0, v27, s11
	v_add_nc_u32_e32 v26, v26, v27
	ds_store_b32 v19, v26
.LBB304_10:                             ;   in Loop: Header=BB304_4 Depth=2
	s_or_b32 exec_lo, exec_lo, s13
	v_mov_b32_e32 v26, 0
	s_waitcnt lgkmcnt(0)
	s_barrier
	buffer_gl0_inv
	s_and_saveexec_b32 s13, s7
	s_cbranch_execz .LBB304_12
; %bb.11:                               ;   in Loop: Header=BB304_4 Depth=2
	ds_load_b32 v26, v20
.LBB304_12:                             ;   in Loop: Header=BB304_4 Depth=2
	s_or_b32 exec_lo, exec_lo, s13
	s_waitcnt lgkmcnt(0)
	v_add_nc_u32_e32 v3, v26, v3
	s_cmp_gt_u32 s16, 55
	ds_bpermute_b32 v3, v18, v3
	s_waitcnt lgkmcnt(0)
	v_cndmask_b32_e64 v3, v3, v26, s0
	s_delay_alu instid0(VALU_DEP_1) | instskip(NEXT) | instid1(VALU_DEP_1)
	v_cndmask_b32_e64 v3, v3, 0, s8
	v_add_nc_u32_e32 v4, v3, v4
	s_delay_alu instid0(VALU_DEP_1) | instskip(NEXT) | instid1(VALU_DEP_1)
	v_add_nc_u32_e32 v5, v4, v5
	v_add_nc_u32_e32 v6, v5, v6
	s_delay_alu instid0(VALU_DEP_1) | instskip(NEXT) | instid1(VALU_DEP_1)
	v_add_nc_u32_e32 v26, v6, v7
	;; [unrolled: 3-line block ×3, first 2 shown]
	v_add_nc_u32_e32 v1, v0, v2
	ds_store_2addr_b64 v15, v[3:4], v[5:6] offset0:3 offset1:4
	ds_store_2addr_b64 v16, v[26:27], v[0:1] offset0:2 offset1:3
	s_waitcnt lgkmcnt(0)
	s_barrier
	buffer_gl0_inv
	ds_load_b32 v0, v25
	s_waitcnt lgkmcnt(0)
	v_add_nc_u32_e32 v0, v0, v24
	s_cbranch_scc0 .LBB304_3
; %bb.13:                               ;   in Loop: Header=BB304_2 Depth=1
                                        ; implicit-def: $vgpr1_vgpr2
                                        ; implicit-def: $sgpr16_sgpr17
	s_branch .LBB304_1
.LBB304_14:
	s_waitcnt lgkmcnt(0)
	v_xor_b32_e32 v2, 0x80000000, v2
	v_lshlrev_b32_e32 v0, 3, v8
	s_add_u32 s0, s18, s14
	s_addc_u32 s1, s19, s15
	global_store_b64 v0, v[1:2], s[0:1]
	s_nop 0
	s_sendmsg sendmsg(MSG_DEALLOC_VGPRS)
	s_endpgm
	.section	.rodata,"a",@progbits
	.p2align	6, 0x0
	.amdhsa_kernel _Z16sort_keys_kernelI22helper_blocked_stripedxLj192ELj1ELj10EEvPKT0_PS1_
		.amdhsa_group_segment_fixed_size 6176
		.amdhsa_private_segment_fixed_size 0
		.amdhsa_kernarg_size 272
		.amdhsa_user_sgpr_count 15
		.amdhsa_user_sgpr_dispatch_ptr 0
		.amdhsa_user_sgpr_queue_ptr 0
		.amdhsa_user_sgpr_kernarg_segment_ptr 1
		.amdhsa_user_sgpr_dispatch_id 0
		.amdhsa_user_sgpr_private_segment_size 0
		.amdhsa_wavefront_size32 1
		.amdhsa_uses_dynamic_stack 0
		.amdhsa_enable_private_segment 0
		.amdhsa_system_sgpr_workgroup_id_x 1
		.amdhsa_system_sgpr_workgroup_id_y 0
		.amdhsa_system_sgpr_workgroup_id_z 0
		.amdhsa_system_sgpr_workgroup_info 0
		.amdhsa_system_vgpr_workitem_id 2
		.amdhsa_next_free_vgpr 28
		.amdhsa_next_free_sgpr 22
		.amdhsa_reserve_vcc 1
		.amdhsa_float_round_mode_32 0
		.amdhsa_float_round_mode_16_64 0
		.amdhsa_float_denorm_mode_32 3
		.amdhsa_float_denorm_mode_16_64 3
		.amdhsa_dx10_clamp 1
		.amdhsa_ieee_mode 1
		.amdhsa_fp16_overflow 0
		.amdhsa_workgroup_processor_mode 1
		.amdhsa_memory_ordered 1
		.amdhsa_forward_progress 0
		.amdhsa_shared_vgpr_count 0
		.amdhsa_exception_fp_ieee_invalid_op 0
		.amdhsa_exception_fp_denorm_src 0
		.amdhsa_exception_fp_ieee_div_zero 0
		.amdhsa_exception_fp_ieee_overflow 0
		.amdhsa_exception_fp_ieee_underflow 0
		.amdhsa_exception_fp_ieee_inexact 0
		.amdhsa_exception_int_div_zero 0
	.end_amdhsa_kernel
	.section	.text._Z16sort_keys_kernelI22helper_blocked_stripedxLj192ELj1ELj10EEvPKT0_PS1_,"axG",@progbits,_Z16sort_keys_kernelI22helper_blocked_stripedxLj192ELj1ELj10EEvPKT0_PS1_,comdat
.Lfunc_end304:
	.size	_Z16sort_keys_kernelI22helper_blocked_stripedxLj192ELj1ELj10EEvPKT0_PS1_, .Lfunc_end304-_Z16sort_keys_kernelI22helper_blocked_stripedxLj192ELj1ELj10EEvPKT0_PS1_
                                        ; -- End function
	.section	.AMDGPU.csdata,"",@progbits
; Kernel info:
; codeLenInByte = 1472
; NumSgprs: 24
; NumVgprs: 28
; ScratchSize: 0
; MemoryBound: 0
; FloatMode: 240
; IeeeMode: 1
; LDSByteSize: 6176 bytes/workgroup (compile time only)
; SGPRBlocks: 2
; VGPRBlocks: 3
; NumSGPRsForWavesPerEU: 24
; NumVGPRsForWavesPerEU: 28
; Occupancy: 15
; WaveLimiterHint : 0
; COMPUTE_PGM_RSRC2:SCRATCH_EN: 0
; COMPUTE_PGM_RSRC2:USER_SGPR: 15
; COMPUTE_PGM_RSRC2:TRAP_HANDLER: 0
; COMPUTE_PGM_RSRC2:TGID_X_EN: 1
; COMPUTE_PGM_RSRC2:TGID_Y_EN: 0
; COMPUTE_PGM_RSRC2:TGID_Z_EN: 0
; COMPUTE_PGM_RSRC2:TIDIG_COMP_CNT: 2
	.section	.text._Z17sort_pairs_kernelI22helper_blocked_stripedxLj192ELj1ELj10EEvPKT0_PS1_,"axG",@progbits,_Z17sort_pairs_kernelI22helper_blocked_stripedxLj192ELj1ELj10EEvPKT0_PS1_,comdat
	.protected	_Z17sort_pairs_kernelI22helper_blocked_stripedxLj192ELj1ELj10EEvPKT0_PS1_ ; -- Begin function _Z17sort_pairs_kernelI22helper_blocked_stripedxLj192ELj1ELj10EEvPKT0_PS1_
	.globl	_Z17sort_pairs_kernelI22helper_blocked_stripedxLj192ELj1ELj10EEvPKT0_PS1_
	.p2align	8
	.type	_Z17sort_pairs_kernelI22helper_blocked_stripedxLj192ELj1ELj10EEvPKT0_PS1_,@function
_Z17sort_pairs_kernelI22helper_blocked_stripedxLj192ELj1ELj10EEvPKT0_PS1_: ; @_Z17sort_pairs_kernelI22helper_blocked_stripedxLj192ELj1ELj10EEvPKT0_PS1_
; %bb.0:
	s_clause 0x1
	s_load_b128 s[16:19], s[0:1], 0x0
	s_load_b32 s12, s[0:1], 0x1c
	v_and_b32_e32 v8, 0x3ff, v0
	s_mov_b32 s21, 0
	s_mul_i32 s20, s15, 0xc0
	v_mbcnt_lo_u32_b32 v5, -1, 0
	s_lshl_b64 s[14:15], s[20:21], 3
	v_lshlrev_b32_e32 v1, 3, v8
	s_mov_b32 s20, s21
	v_bfe_u32 v3, v0, 10, 10
	v_bfe_u32 v0, v0, 20, 10
	v_dual_mov_b32 v11, s20 :: v_dual_and_b32 v4, 15, v5
	v_and_b32_e32 v6, 16, v5
	v_dual_mov_b32 v12, s21 :: v_dual_add_nc_u32 v7, -1, v5
	s_delay_alu instid0(VALU_DEP_3)
	v_cmp_lt_u32_e64 s2, 1, v4
	v_cmp_lt_u32_e64 s3, 3, v4
	;; [unrolled: 1-line block ×3, first 2 shown]
	v_cmp_eq_u32_e64 s5, 0, v6
	s_waitcnt lgkmcnt(0)
	s_add_u32 s0, s16, s14
	s_addc_u32 s1, s17, s15
	s_lshr_b32 s13, s12, 16
	global_load_b64 v[1:2], v1, s[0:1]
	s_mov_b32 s1, s21
	s_mov_b32 s0, s21
	s_delay_alu instid0(SALU_CYCLE_1)
	v_dual_mov_b32 v10, s1 :: v_dual_mov_b32 v9, s0
	v_cmp_eq_u32_e64 s1, 0, v4
	v_cmp_gt_i32_e32 vcc_lo, 0, v7
	v_and_b32_e32 v6, 0xe0, v8
	v_lshrrev_b32_e32 v4, 3, v8
	v_mad_u32_u24 v0, v0, s13, v3
	s_and_b32 s12, s12, 0xffff
	v_cndmask_b32_e32 v7, v7, v5, vcc_lo
	v_and_b32_e32 v13, 7, v5
	v_lshlrev_b32_e32 v17, 5, v8
	v_min_u32_e32 v14, 0xa0, v6
	v_and_b32_e32 v19, 28, v4
	v_mad_u64_u32 v[3:4], null, v0, s12, v[8:9]
	v_cmp_eq_u32_e64 s9, 0, v13
	v_cmp_lt_u32_e64 s10, 1, v13
	v_cmp_lt_u32_e64 s11, 3, v13
	v_lshlrev_b32_e32 v13, 2, v8
	v_or_b32_e32 v0, v5, v6
	v_or_b32_e32 v4, 31, v14
	v_mad_i32_i24 v21, 0xffffffe4, v8, v17
	v_lshrrev_b32_e32 v24, 5, v3
	v_cmp_eq_u32_e64 s0, 0, v5
	v_cmp_gt_u32_e64 s6, 6, v8
	v_cmp_lt_u32_e64 s7, 31, v8
	v_cmp_eq_u32_e64 s8, 0, v8
	v_or_b32_e32 v18, 24, v17
	v_lshlrev_b32_e32 v20, 2, v7
	v_add_nc_u32_e32 v22, -4, v19
	v_lshlrev_b32_e32 v23, 3, v0
	v_cmp_eq_u32_e64 s12, v4, v8
	v_add_nc_u32_e32 v25, v21, v13
	s_waitcnt vmcnt(0)
	v_add_co_u32 v3, vcc_lo, v1, 1
	v_add_co_ci_u32_e32 v4, vcc_lo, 0, v2, vcc_lo
	v_xor_b32_e32 v2, 0x80000000, v2
	s_branch .LBB305_2
.LBB305_1:                              ;   in Loop: Header=BB305_2 Depth=1
	s_delay_alu instid0(VALU_DEP_1)
	v_lshlrev_b32_e32 v0, 3, v0
	s_barrier
	buffer_gl0_inv
	s_add_i32 s21, s21, 1
	ds_store_b64 v0, v[13:14]
	s_waitcnt lgkmcnt(0)
	s_barrier
	buffer_gl0_inv
	ds_load_b64 v[1:2], v25
	s_waitcnt lgkmcnt(0)
	s_barrier
	buffer_gl0_inv
	ds_store_b64 v0, v[15:16]
	s_waitcnt lgkmcnt(0)
	s_barrier
	buffer_gl0_inv
	ds_load_b64 v[3:4], v25
	s_cmp_lg_u32 s21, 10
	s_cbranch_scc0 .LBB305_14
.LBB305_2:                              ; =>This Loop Header: Depth=1
                                        ;     Child Loop BB305_4 Depth 2
	s_mov_b64 s[16:17], 0
	s_branch .LBB305_4
.LBB305_3:                              ;   in Loop: Header=BB305_4 Depth=2
	s_delay_alu instid0(VALU_DEP_1)
	v_lshlrev_b32_e32 v3, 3, v0
	s_barrier
	buffer_gl0_inv
	s_add_u32 s16, s16, 8
	ds_store_b64 v3, v[13:14]
	s_waitcnt lgkmcnt(0)
	s_barrier
	buffer_gl0_inv
	ds_load_b64 v[1:2], v23
	s_waitcnt lgkmcnt(0)
	s_barrier
	buffer_gl0_inv
	ds_store_b64 v3, v[15:16]
	s_waitcnt lgkmcnt(0)
	s_barrier
	buffer_gl0_inv
	ds_load_b64 v[3:4], v23
	s_addc_u32 s17, s17, 0
	s_waitcnt lgkmcnt(0)
	s_barrier
	buffer_gl0_inv
	s_cbranch_execz .LBB305_1
.LBB305_4:                              ;   Parent Loop BB305_2 Depth=1
                                        ; =>  This Inner Loop Header: Depth=2
	s_delay_alu instid0(VALU_DEP_1)
	v_dual_mov_b32 v14, v2 :: v_dual_mov_b32 v13, v1
	ds_store_2addr_b64 v17, v[11:12], v[9:10] offset0:3 offset1:4
	ds_store_2addr_b64 v18, v[11:12], v[9:10] offset0:2 offset1:3
	s_waitcnt lgkmcnt(0)
	s_barrier
	buffer_gl0_inv
	v_lshrrev_b64 v[1:2], s16, v[13:14]
	; wave barrier
	s_delay_alu instid0(VALU_DEP_1)
	v_and_b32_e32 v0, 1, v1
	v_lshlrev_b32_e32 v2, 30, v1
	v_lshlrev_b32_e32 v5, 29, v1
	;; [unrolled: 1-line block ×4, first 2 shown]
	v_add_co_u32 v0, s13, v0, -1
	s_delay_alu instid0(VALU_DEP_1)
	v_cndmask_b32_e64 v7, 0, 1, s13
	v_not_b32_e32 v27, v2
	v_cmp_gt_i32_e64 s13, 0, v2
	v_not_b32_e32 v2, v5
	v_lshlrev_b32_e32 v16, 26, v1
	v_cmp_ne_u32_e32 vcc_lo, 0, v7
	v_ashrrev_i32_e32 v27, 31, v27
	v_lshlrev_b32_e32 v26, 25, v1
	v_ashrrev_i32_e32 v2, 31, v2
	v_lshlrev_b32_e32 v7, 24, v1
	v_xor_b32_e32 v0, vcc_lo, v0
	v_cmp_gt_i32_e32 vcc_lo, 0, v5
	v_not_b32_e32 v5, v6
	v_xor_b32_e32 v27, s13, v27
	v_cmp_gt_i32_e64 s13, 0, v6
	v_and_b32_e32 v0, exec_lo, v0
	v_not_b32_e32 v6, v15
	v_ashrrev_i32_e32 v5, 31, v5
	v_xor_b32_e32 v2, vcc_lo, v2
	v_cmp_gt_i32_e32 vcc_lo, 0, v15
	v_and_b32_e32 v0, v0, v27
	v_not_b32_e32 v15, v16
	v_ashrrev_i32_e32 v6, 31, v6
	v_xor_b32_e32 v5, s13, v5
	v_cmp_gt_i32_e64 s13, 0, v16
	v_and_b32_e32 v0, v0, v2
	v_not_b32_e32 v2, v26
	v_ashrrev_i32_e32 v15, 31, v15
	v_xor_b32_e32 v6, vcc_lo, v6
	v_cmp_gt_i32_e32 vcc_lo, 0, v26
	v_and_b32_e32 v0, v0, v5
	v_not_b32_e32 v5, v7
	v_ashrrev_i32_e32 v2, 31, v2
	v_xor_b32_e32 v15, s13, v15
	v_cmp_gt_i32_e64 s13, 0, v7
	v_and_b32_e32 v0, v0, v6
	v_ashrrev_i32_e32 v5, 31, v5
	v_xor_b32_e32 v2, vcc_lo, v2
	v_and_b32_e32 v1, 0xff, v1
	s_delay_alu instid0(VALU_DEP_4) | instskip(SKIP_2) | instid1(VALU_DEP_4)
	v_and_b32_e32 v0, v0, v15
	v_mov_b32_e32 v16, v4
	v_xor_b32_e32 v5, s13, v5
	v_mad_u32_u24 v1, v1, 6, v24
	s_delay_alu instid0(VALU_DEP_4) | instskip(NEXT) | instid1(VALU_DEP_2)
	v_dual_mov_b32 v15, v3 :: v_dual_and_b32 v0, v0, v2
	v_lshl_add_u32 v27, v1, 2, 24
	s_delay_alu instid0(VALU_DEP_2) | instskip(NEXT) | instid1(VALU_DEP_1)
	v_and_b32_e32 v0, v0, v5
	v_mbcnt_lo_u32_b32 v26, v0, 0
	v_cmp_ne_u32_e64 s13, 0, v0
	s_delay_alu instid0(VALU_DEP_2) | instskip(NEXT) | instid1(VALU_DEP_2)
	v_cmp_eq_u32_e32 vcc_lo, 0, v26
	s_and_b32 s20, s13, vcc_lo
	s_delay_alu instid0(SALU_CYCLE_1)
	s_and_saveexec_b32 s13, s20
	s_cbranch_execz .LBB305_6
; %bb.5:                                ;   in Loop: Header=BB305_4 Depth=2
	v_bcnt_u32_b32 v0, v0, 0
	ds_store_b32 v27, v0
.LBB305_6:                              ;   in Loop: Header=BB305_4 Depth=2
	s_or_b32 exec_lo, exec_lo, s13
	; wave barrier
	s_waitcnt lgkmcnt(0)
	s_barrier
	buffer_gl0_inv
	ds_load_2addr_b64 v[4:7], v17 offset0:3 offset1:4
	ds_load_2addr_b64 v[0:3], v18 offset0:2 offset1:3
	s_waitcnt lgkmcnt(1)
	v_add_nc_u32_e32 v28, v5, v4
	s_delay_alu instid0(VALU_DEP_1) | instskip(SKIP_1) | instid1(VALU_DEP_1)
	v_add3_u32 v28, v28, v6, v7
	s_waitcnt lgkmcnt(0)
	v_add3_u32 v28, v28, v0, v1
	s_delay_alu instid0(VALU_DEP_1) | instskip(NEXT) | instid1(VALU_DEP_1)
	v_add3_u32 v3, v28, v2, v3
	v_mov_b32_dpp v28, v3 row_shr:1 row_mask:0xf bank_mask:0xf
	s_delay_alu instid0(VALU_DEP_1) | instskip(NEXT) | instid1(VALU_DEP_1)
	v_cndmask_b32_e64 v28, v28, 0, s1
	v_add_nc_u32_e32 v3, v28, v3
	s_delay_alu instid0(VALU_DEP_1) | instskip(NEXT) | instid1(VALU_DEP_1)
	v_mov_b32_dpp v28, v3 row_shr:2 row_mask:0xf bank_mask:0xf
	v_cndmask_b32_e64 v28, 0, v28, s2
	s_delay_alu instid0(VALU_DEP_1) | instskip(NEXT) | instid1(VALU_DEP_1)
	v_add_nc_u32_e32 v3, v3, v28
	v_mov_b32_dpp v28, v3 row_shr:4 row_mask:0xf bank_mask:0xf
	s_delay_alu instid0(VALU_DEP_1) | instskip(NEXT) | instid1(VALU_DEP_1)
	v_cndmask_b32_e64 v28, 0, v28, s3
	v_add_nc_u32_e32 v3, v3, v28
	s_delay_alu instid0(VALU_DEP_1) | instskip(NEXT) | instid1(VALU_DEP_1)
	v_mov_b32_dpp v28, v3 row_shr:8 row_mask:0xf bank_mask:0xf
	v_cndmask_b32_e64 v28, 0, v28, s4
	s_delay_alu instid0(VALU_DEP_1) | instskip(SKIP_3) | instid1(VALU_DEP_1)
	v_add_nc_u32_e32 v3, v3, v28
	ds_swizzle_b32 v28, v3 offset:swizzle(BROADCAST,32,15)
	s_waitcnt lgkmcnt(0)
	v_cndmask_b32_e64 v28, v28, 0, s5
	v_add_nc_u32_e32 v3, v3, v28
	s_and_saveexec_b32 s13, s12
	s_cbranch_execz .LBB305_8
; %bb.7:                                ;   in Loop: Header=BB305_4 Depth=2
	ds_store_b32 v19, v3
.LBB305_8:                              ;   in Loop: Header=BB305_4 Depth=2
	s_or_b32 exec_lo, exec_lo, s13
	s_waitcnt lgkmcnt(0)
	s_barrier
	buffer_gl0_inv
	s_and_saveexec_b32 s13, s6
	s_cbranch_execz .LBB305_10
; %bb.9:                                ;   in Loop: Header=BB305_4 Depth=2
	ds_load_b32 v28, v21
	s_waitcnt lgkmcnt(0)
	v_mov_b32_dpp v29, v28 row_shr:1 row_mask:0xf bank_mask:0xf
	s_delay_alu instid0(VALU_DEP_1) | instskip(NEXT) | instid1(VALU_DEP_1)
	v_cndmask_b32_e64 v29, v29, 0, s9
	v_add_nc_u32_e32 v28, v29, v28
	s_delay_alu instid0(VALU_DEP_1) | instskip(NEXT) | instid1(VALU_DEP_1)
	v_mov_b32_dpp v29, v28 row_shr:2 row_mask:0xf bank_mask:0xf
	v_cndmask_b32_e64 v29, 0, v29, s10
	s_delay_alu instid0(VALU_DEP_1) | instskip(NEXT) | instid1(VALU_DEP_1)
	v_add_nc_u32_e32 v28, v28, v29
	v_mov_b32_dpp v29, v28 row_shr:4 row_mask:0xf bank_mask:0xf
	s_delay_alu instid0(VALU_DEP_1) | instskip(NEXT) | instid1(VALU_DEP_1)
	v_cndmask_b32_e64 v29, 0, v29, s11
	v_add_nc_u32_e32 v28, v28, v29
	ds_store_b32 v21, v28
.LBB305_10:                             ;   in Loop: Header=BB305_4 Depth=2
	s_or_b32 exec_lo, exec_lo, s13
	v_mov_b32_e32 v28, 0
	s_waitcnt lgkmcnt(0)
	s_barrier
	buffer_gl0_inv
	s_and_saveexec_b32 s13, s7
	s_cbranch_execz .LBB305_12
; %bb.11:                               ;   in Loop: Header=BB305_4 Depth=2
	ds_load_b32 v28, v22
.LBB305_12:                             ;   in Loop: Header=BB305_4 Depth=2
	s_or_b32 exec_lo, exec_lo, s13
	s_waitcnt lgkmcnt(0)
	v_add_nc_u32_e32 v3, v28, v3
	s_cmp_gt_u32 s16, 55
	ds_bpermute_b32 v3, v20, v3
	s_waitcnt lgkmcnt(0)
	v_cndmask_b32_e64 v3, v3, v28, s0
	s_delay_alu instid0(VALU_DEP_1) | instskip(NEXT) | instid1(VALU_DEP_1)
	v_cndmask_b32_e64 v3, v3, 0, s8
	v_add_nc_u32_e32 v4, v3, v4
	s_delay_alu instid0(VALU_DEP_1) | instskip(NEXT) | instid1(VALU_DEP_1)
	v_add_nc_u32_e32 v5, v4, v5
	v_add_nc_u32_e32 v6, v5, v6
	s_delay_alu instid0(VALU_DEP_1) | instskip(NEXT) | instid1(VALU_DEP_1)
	v_add_nc_u32_e32 v28, v6, v7
	;; [unrolled: 3-line block ×3, first 2 shown]
	v_add_nc_u32_e32 v1, v0, v2
	ds_store_2addr_b64 v17, v[3:4], v[5:6] offset0:3 offset1:4
	ds_store_2addr_b64 v18, v[28:29], v[0:1] offset0:2 offset1:3
	s_waitcnt lgkmcnt(0)
	s_barrier
	buffer_gl0_inv
	ds_load_b32 v0, v27
	s_waitcnt lgkmcnt(0)
	v_add_nc_u32_e32 v0, v0, v26
	s_cbranch_scc0 .LBB305_3
; %bb.13:                               ;   in Loop: Header=BB305_2 Depth=1
                                        ; implicit-def: $vgpr3_vgpr4
                                        ; implicit-def: $vgpr1_vgpr2
                                        ; implicit-def: $sgpr16_sgpr17
	s_branch .LBB305_1
.LBB305_14:
	s_waitcnt lgkmcnt(0)
	v_add_co_u32 v0, vcc_lo, v3, v1
	v_add_co_ci_u32_e32 v1, vcc_lo, v4, v2, vcc_lo
	v_lshlrev_b32_e32 v2, 3, v8
	s_delay_alu instid0(VALU_DEP_3) | instskip(NEXT) | instid1(VALU_DEP_3)
	v_add_co_u32 v0, vcc_lo, v0, 0
	v_add_co_ci_u32_e32 v1, vcc_lo, 0x80000000, v1, vcc_lo
	s_add_u32 s0, s18, s14
	s_addc_u32 s1, s19, s15
	global_store_b64 v2, v[0:1], s[0:1]
	s_nop 0
	s_sendmsg sendmsg(MSG_DEALLOC_VGPRS)
	s_endpgm
	.section	.rodata,"a",@progbits
	.p2align	6, 0x0
	.amdhsa_kernel _Z17sort_pairs_kernelI22helper_blocked_stripedxLj192ELj1ELj10EEvPKT0_PS1_
		.amdhsa_group_segment_fixed_size 6176
		.amdhsa_private_segment_fixed_size 0
		.amdhsa_kernarg_size 272
		.amdhsa_user_sgpr_count 15
		.amdhsa_user_sgpr_dispatch_ptr 0
		.amdhsa_user_sgpr_queue_ptr 0
		.amdhsa_user_sgpr_kernarg_segment_ptr 1
		.amdhsa_user_sgpr_dispatch_id 0
		.amdhsa_user_sgpr_private_segment_size 0
		.amdhsa_wavefront_size32 1
		.amdhsa_uses_dynamic_stack 0
		.amdhsa_enable_private_segment 0
		.amdhsa_system_sgpr_workgroup_id_x 1
		.amdhsa_system_sgpr_workgroup_id_y 0
		.amdhsa_system_sgpr_workgroup_id_z 0
		.amdhsa_system_sgpr_workgroup_info 0
		.amdhsa_system_vgpr_workitem_id 2
		.amdhsa_next_free_vgpr 30
		.amdhsa_next_free_sgpr 22
		.amdhsa_reserve_vcc 1
		.amdhsa_float_round_mode_32 0
		.amdhsa_float_round_mode_16_64 0
		.amdhsa_float_denorm_mode_32 3
		.amdhsa_float_denorm_mode_16_64 3
		.amdhsa_dx10_clamp 1
		.amdhsa_ieee_mode 1
		.amdhsa_fp16_overflow 0
		.amdhsa_workgroup_processor_mode 1
		.amdhsa_memory_ordered 1
		.amdhsa_forward_progress 0
		.amdhsa_shared_vgpr_count 0
		.amdhsa_exception_fp_ieee_invalid_op 0
		.amdhsa_exception_fp_denorm_src 0
		.amdhsa_exception_fp_ieee_div_zero 0
		.amdhsa_exception_fp_ieee_overflow 0
		.amdhsa_exception_fp_ieee_underflow 0
		.amdhsa_exception_fp_ieee_inexact 0
		.amdhsa_exception_int_div_zero 0
	.end_amdhsa_kernel
	.section	.text._Z17sort_pairs_kernelI22helper_blocked_stripedxLj192ELj1ELj10EEvPKT0_PS1_,"axG",@progbits,_Z17sort_pairs_kernelI22helper_blocked_stripedxLj192ELj1ELj10EEvPKT0_PS1_,comdat
.Lfunc_end305:
	.size	_Z17sort_pairs_kernelI22helper_blocked_stripedxLj192ELj1ELj10EEvPKT0_PS1_, .Lfunc_end305-_Z17sort_pairs_kernelI22helper_blocked_stripedxLj192ELj1ELj10EEvPKT0_PS1_
                                        ; -- End function
	.section	.AMDGPU.csdata,"",@progbits
; Kernel info:
; codeLenInByte = 1612
; NumSgprs: 24
; NumVgprs: 30
; ScratchSize: 0
; MemoryBound: 0
; FloatMode: 240
; IeeeMode: 1
; LDSByteSize: 6176 bytes/workgroup (compile time only)
; SGPRBlocks: 2
; VGPRBlocks: 3
; NumSGPRsForWavesPerEU: 24
; NumVGPRsForWavesPerEU: 30
; Occupancy: 15
; WaveLimiterHint : 0
; COMPUTE_PGM_RSRC2:SCRATCH_EN: 0
; COMPUTE_PGM_RSRC2:USER_SGPR: 15
; COMPUTE_PGM_RSRC2:TRAP_HANDLER: 0
; COMPUTE_PGM_RSRC2:TGID_X_EN: 1
; COMPUTE_PGM_RSRC2:TGID_Y_EN: 0
; COMPUTE_PGM_RSRC2:TGID_Z_EN: 0
; COMPUTE_PGM_RSRC2:TIDIG_COMP_CNT: 2
	.section	.text._Z16sort_keys_kernelI22helper_blocked_stripedxLj192ELj3ELj10EEvPKT0_PS1_,"axG",@progbits,_Z16sort_keys_kernelI22helper_blocked_stripedxLj192ELj3ELj10EEvPKT0_PS1_,comdat
	.protected	_Z16sort_keys_kernelI22helper_blocked_stripedxLj192ELj3ELj10EEvPKT0_PS1_ ; -- Begin function _Z16sort_keys_kernelI22helper_blocked_stripedxLj192ELj3ELj10EEvPKT0_PS1_
	.globl	_Z16sort_keys_kernelI22helper_blocked_stripedxLj192ELj3ELj10EEvPKT0_PS1_
	.p2align	8
	.type	_Z16sort_keys_kernelI22helper_blocked_stripedxLj192ELj3ELj10EEvPKT0_PS1_,@function
_Z16sort_keys_kernelI22helper_blocked_stripedxLj192ELj3ELj10EEvPKT0_PS1_: ; @_Z16sort_keys_kernelI22helper_blocked_stripedxLj192ELj3ELj10EEvPKT0_PS1_
; %bb.0:
	s_clause 0x1
	s_load_b128 s[16:19], s[0:1], 0x0
	s_load_b32 s2, s[0:1], 0x1c
	s_mov_b32 s21, 0
	s_mul_i32 s20, s15, 0x240
	v_bfe_u32 v9, v0, 10, 10
	s_lshl_b64 s[14:15], s[20:21], 3
	s_mov_b32 s20, s21
	v_and_b32_e32 v8, 0x3ff, v0
	v_bfe_u32 v0, v0, 20, 10
	v_mbcnt_lo_u32_b32 v12, -1, 0
	s_delay_alu instid0(VALU_DEP_3) | instskip(NEXT) | instid1(VALU_DEP_2)
	v_mul_u32_u24_e32 v1, 3, v8
	v_cmp_eq_u32_e64 s8, 0, v12
	s_delay_alu instid0(VALU_DEP_2)
	v_lshlrev_b32_e32 v1, 3, v1
	s_waitcnt lgkmcnt(0)
	s_add_u32 s0, s16, s14
	s_addc_u32 s1, s17, s15
	s_mov_b32 s16, s21
	s_clause 0x1
	global_load_b64 v[5:6], v1, s[0:1] offset:16
	global_load_b128 v[1:4], v1, s[0:1]
	s_lshr_b32 s0, s2, 16
	s_mov_b32 s17, s21
	v_mad_u32_u24 v0, v0, s0, v9
	s_and_b32 s0, s2, 0xffff
	s_delay_alu instid0(VALU_DEP_1) | instid1(SALU_CYCLE_1)
	v_mad_u64_u32 v[9:10], null, v0, s0, v[8:9]
	v_and_b32_e32 v10, 15, v12
	s_delay_alu instid0(VALU_DEP_1) | instskip(NEXT) | instid1(VALU_DEP_3)
	v_cmp_eq_u32_e64 s0, 0, v10
	v_lshrrev_b32_e32 v23, 5, v9
	v_add_nc_u32_e32 v9, -1, v12
	v_cmp_lt_u32_e64 s1, 1, v10
	v_cmp_lt_u32_e64 s2, 3, v10
	;; [unrolled: 1-line block ×3, first 2 shown]
	s_delay_alu instid0(VALU_DEP_4) | instskip(SKIP_1) | instid1(VALU_DEP_1)
	v_cmp_gt_i32_e32 vcc_lo, 0, v9
	v_cndmask_b32_e32 v9, v9, v12, vcc_lo
	v_lshlrev_b32_e32 v24, 2, v9
	v_and_b32_e32 v9, 7, v12
	s_delay_alu instid0(VALU_DEP_1)
	v_cmp_eq_u32_e64 s10, 0, v9
	v_cmp_lt_u32_e64 s11, 1, v9
	v_cmp_lt_u32_e64 s12, 3, v9
	v_mov_b32_e32 v9, s20
	v_lshrrev_b32_e32 v7, 5, v8
	v_lshlrev_b32_e32 v19, 5, v8
	v_cmp_gt_u32_e64 s6, 6, v8
	v_cmp_lt_u32_e64 s7, 31, v8
	v_cmp_eq_u32_e64 s9, 0, v8
	v_mul_u32_u24_e32 v11, 0x60, v7
	v_lshlrev_b32_e32 v25, 2, v7
	v_mad_i32_i24 v26, 0xffffffe4, v8, v19
	v_or_b32_e32 v22, 24, v19
	s_delay_alu instid0(VALU_DEP_4) | instskip(SKIP_3) | instid1(VALU_DEP_4)
	v_dual_mov_b32 v10, s21 :: v_dual_lshlrev_b32 v13, 3, v11
	v_or_b32_e32 v0, v12, v11
	v_and_b32_e32 v11, 0xe0, v8
	v_add_nc_u32_e32 v27, -4, v25
	v_mad_u32_u24 v20, v12, 24, v13
	s_delay_alu instid0(VALU_DEP_4) | instskip(NEXT) | instid1(VALU_DEP_4)
	v_lshlrev_b32_e32 v21, 3, v0
	v_min_u32_e32 v0, 0xa0, v11
	v_and_b32_e32 v13, 16, v12
	s_delay_alu instid0(VALU_DEP_2) | instskip(NEXT) | instid1(VALU_DEP_2)
	v_or_b32_e32 v0, 31, v0
	v_cmp_eq_u32_e64 s4, 0, v13
	s_delay_alu instid0(VALU_DEP_2) | instskip(SKIP_1) | instid1(VALU_DEP_1)
	v_cmp_eq_u32_e64 s5, v0, v8
	v_mul_u32_u24_e32 v0, 3, v11
	v_or_b32_e32 v0, v12, v0
	v_dual_mov_b32 v11, s16 :: v_dual_mov_b32 v12, s17
	s_delay_alu instid0(VALU_DEP_2) | instskip(SKIP_1) | instid1(VALU_DEP_1)
	v_lshlrev_b32_e32 v28, 3, v0
	v_lshlrev_b32_e32 v0, 2, v8
	v_add_nc_u32_e32 v29, v26, v0
	s_branch .LBB306_2
.LBB306_1:                              ;   in Loop: Header=BB306_2 Depth=1
	v_lshlrev_b32_e32 v0, 3, v30
	v_lshlrev_b32_e32 v1, 3, v7
	;; [unrolled: 1-line block ×3, first 2 shown]
	s_barrier
	buffer_gl0_inv
	ds_store_b64 v0, v[13:14]
	ds_store_b64 v1, v[17:18]
	;; [unrolled: 1-line block ×3, first 2 shown]
	s_waitcnt lgkmcnt(0)
	s_barrier
	buffer_gl0_inv
	ds_load_2addr_stride64_b64 v[1:4], v29 offset1:3
	ds_load_b64 v[5:6], v29 offset:3072
	s_add_i32 s21, s21, 1
	s_delay_alu instid0(SALU_CYCLE_1)
	s_cmp_eq_u32 s21, 10
	s_waitcnt lgkmcnt(1)
	v_xor_b32_e32 v2, 0x80000000, v2
	v_xor_b32_e32 v4, 0x80000000, v4
	s_waitcnt lgkmcnt(0)
	v_xor_b32_e32 v6, 0x80000000, v6
	s_cbranch_scc1 .LBB306_18
.LBB306_2:                              ; =>This Loop Header: Depth=1
                                        ;     Child Loop BB306_4 Depth 2
	s_waitcnt vmcnt(0)
	v_xor_b32_e32 v2, 0x80000000, v2
	v_xor_b32_e32 v4, 0x80000000, v4
	;; [unrolled: 1-line block ×3, first 2 shown]
	s_mov_b64 s[16:17], 0
	ds_store_2addr_b64 v20, v[1:2], v[3:4] offset1:1
	ds_store_b64 v20, v[5:6] offset:16
	; wave barrier
	ds_load_2addr_b64 v[0:3], v21 offset1:32
	ds_load_b64 v[4:5], v21 offset:512
	s_waitcnt lgkmcnt(0)
	s_barrier
	buffer_gl0_inv
	; wave barrier
	s_barrier
	s_branch .LBB306_4
.LBB306_3:                              ;   in Loop: Header=BB306_4 Depth=2
	v_lshlrev_b32_e32 v0, 3, v30
	v_lshlrev_b32_e32 v1, 3, v7
	s_delay_alu instid0(VALU_DEP_3)
	v_lshlrev_b32_e32 v2, 3, v6
	s_barrier
	buffer_gl0_inv
	ds_store_b64 v0, v[13:14]
	ds_store_b64 v1, v[17:18]
	;; [unrolled: 1-line block ×3, first 2 shown]
	s_waitcnt lgkmcnt(0)
	s_barrier
	buffer_gl0_inv
	ds_load_2addr_b64 v[0:3], v28 offset1:32
	ds_load_b64 v[4:5], v28 offset:512
	s_add_u32 s16, s16, 8
	s_addc_u32 s17, s17, 0
	s_waitcnt lgkmcnt(0)
	s_barrier
	s_cbranch_execz .LBB306_1
.LBB306_4:                              ;   Parent Loop BB306_2 Depth=1
                                        ; =>  This Inner Loop Header: Depth=2
	v_dual_mov_b32 v14, v1 :: v_dual_mov_b32 v13, v0
	buffer_gl0_inv
	ds_store_2addr_b64 v19, v[9:10], v[11:12] offset0:3 offset1:4
	ds_store_2addr_b64 v22, v[9:10], v[11:12] offset0:2 offset1:3
	s_waitcnt lgkmcnt(0)
	s_barrier
	v_lshrrev_b64 v[6:7], s16, v[13:14]
	buffer_gl0_inv
	; wave barrier
	v_and_b32_e32 v0, 1, v6
	v_lshlrev_b32_e32 v1, 30, v6
	v_lshlrev_b32_e32 v7, 29, v6
	;; [unrolled: 1-line block ×4, first 2 shown]
	v_add_co_u32 v0, s13, v0, -1
	s_delay_alu instid0(VALU_DEP_1)
	v_cndmask_b32_e64 v16, 0, 1, s13
	v_not_b32_e32 v31, v1
	v_cmp_gt_i32_e64 s13, 0, v1
	v_not_b32_e32 v1, v7
	v_lshlrev_b32_e32 v18, 26, v6
	v_cmp_ne_u32_e32 vcc_lo, 0, v16
	v_ashrrev_i32_e32 v31, 31, v31
	v_lshlrev_b32_e32 v30, 25, v6
	v_ashrrev_i32_e32 v1, 31, v1
	v_lshlrev_b32_e32 v16, 24, v6
	v_xor_b32_e32 v0, vcc_lo, v0
	v_cmp_gt_i32_e32 vcc_lo, 0, v7
	v_not_b32_e32 v7, v15
	v_xor_b32_e32 v31, s13, v31
	v_cmp_gt_i32_e64 s13, 0, v15
	v_and_b32_e32 v0, exec_lo, v0
	v_not_b32_e32 v15, v17
	v_ashrrev_i32_e32 v7, 31, v7
	v_xor_b32_e32 v1, vcc_lo, v1
	v_cmp_gt_i32_e32 vcc_lo, 0, v17
	v_and_b32_e32 v0, v0, v31
	v_not_b32_e32 v17, v18
	v_ashrrev_i32_e32 v15, 31, v15
	v_xor_b32_e32 v7, s13, v7
	v_cmp_gt_i32_e64 s13, 0, v18
	v_and_b32_e32 v0, v0, v1
	v_not_b32_e32 v1, v30
	v_ashrrev_i32_e32 v17, 31, v17
	v_xor_b32_e32 v15, vcc_lo, v15
	v_cmp_gt_i32_e32 vcc_lo, 0, v30
	v_and_b32_e32 v0, v0, v7
	v_not_b32_e32 v7, v16
	v_ashrrev_i32_e32 v1, 31, v1
	v_xor_b32_e32 v17, s13, v17
	v_cmp_gt_i32_e64 s13, 0, v16
	v_and_b32_e32 v0, v0, v15
	v_ashrrev_i32_e32 v7, 31, v7
	v_xor_b32_e32 v1, vcc_lo, v1
	v_dual_mov_b32 v16, v5 :: v_dual_mov_b32 v15, v4
	s_delay_alu instid0(VALU_DEP_4) | instskip(NEXT) | instid1(VALU_DEP_4)
	v_and_b32_e32 v0, v0, v17
	v_xor_b32_e32 v7, s13, v7
	v_dual_mov_b32 v18, v3 :: v_dual_mov_b32 v17, v2
	s_delay_alu instid0(VALU_DEP_3) | instskip(SKIP_1) | instid1(VALU_DEP_2)
	v_and_b32_e32 v0, v0, v1
	v_and_b32_e32 v1, 0xff, v6
	;; [unrolled: 1-line block ×3, first 2 shown]
	s_delay_alu instid0(VALU_DEP_2) | instskip(NEXT) | instid1(VALU_DEP_2)
	v_mad_u32_u24 v1, v1, 6, v23
	v_mbcnt_lo_u32_b32 v30, v0, 0
	v_cmp_ne_u32_e64 s13, 0, v0
	s_delay_alu instid0(VALU_DEP_3) | instskip(NEXT) | instid1(VALU_DEP_3)
	v_lshl_add_u32 v31, v1, 2, 24
	v_cmp_eq_u32_e32 vcc_lo, 0, v30
	s_delay_alu instid0(VALU_DEP_3) | instskip(NEXT) | instid1(SALU_CYCLE_1)
	s_and_b32 s20, s13, vcc_lo
	s_and_saveexec_b32 s13, s20
	s_cbranch_execz .LBB306_6
; %bb.5:                                ;   in Loop: Header=BB306_4 Depth=2
	v_bcnt_u32_b32 v0, v0, 0
	ds_store_b32 v31, v0
.LBB306_6:                              ;   in Loop: Header=BB306_4 Depth=2
	s_or_b32 exec_lo, exec_lo, s13
	v_lshrrev_b64 v[0:1], s16, v[17:18]
	; wave barrier
	s_delay_alu instid0(VALU_DEP_1)
	v_and_b32_e32 v2, 1, v0
	v_lshlrev_b32_e32 v3, 30, v0
	v_lshlrev_b32_e32 v4, 29, v0
	;; [unrolled: 1-line block ×4, first 2 shown]
	v_add_co_u32 v2, s13, v2, -1
	s_delay_alu instid0(VALU_DEP_1)
	v_cndmask_b32_e64 v6, 0, 1, s13
	v_not_b32_e32 v34, v3
	v_cmp_gt_i32_e64 s13, 0, v3
	v_not_b32_e32 v3, v4
	v_lshlrev_b32_e32 v32, 26, v0
	v_cmp_ne_u32_e32 vcc_lo, 0, v6
	v_ashrrev_i32_e32 v6, 31, v34
	v_lshlrev_b32_e32 v33, 25, v0
	v_ashrrev_i32_e32 v3, 31, v3
	v_and_b32_e32 v1, 0xff, v0
	v_xor_b32_e32 v2, vcc_lo, v2
	v_cmp_gt_i32_e32 vcc_lo, 0, v4
	v_not_b32_e32 v4, v5
	v_xor_b32_e32 v6, s13, v6
	v_cmp_gt_i32_e64 s13, 0, v5
	v_and_b32_e32 v2, exec_lo, v2
	v_not_b32_e32 v5, v7
	v_ashrrev_i32_e32 v4, 31, v4
	v_xor_b32_e32 v3, vcc_lo, v3
	v_cmp_gt_i32_e32 vcc_lo, 0, v7
	v_and_b32_e32 v2, v2, v6
	v_not_b32_e32 v6, v32
	v_ashrrev_i32_e32 v5, 31, v5
	v_xor_b32_e32 v4, s13, v4
	v_lshlrev_b32_e32 v0, 24, v0
	v_and_b32_e32 v2, v2, v3
	v_cmp_gt_i32_e64 s13, 0, v32
	v_not_b32_e32 v3, v33
	v_ashrrev_i32_e32 v6, 31, v6
	v_xor_b32_e32 v5, vcc_lo, v5
	v_and_b32_e32 v2, v2, v4
	v_cmp_gt_i32_e32 vcc_lo, 0, v33
	v_not_b32_e32 v4, v0
	v_ashrrev_i32_e32 v3, 31, v3
	v_xor_b32_e32 v6, s13, v6
	v_and_b32_e32 v2, v2, v5
	v_mul_u32_u24_e32 v1, 6, v1
	v_cmp_gt_i32_e64 s13, 0, v0
	v_ashrrev_i32_e32 v0, 31, v4
	v_xor_b32_e32 v3, vcc_lo, v3
	v_and_b32_e32 v2, v2, v6
	v_add_lshl_u32 v1, v1, v23, 2
	s_delay_alu instid0(VALU_DEP_4) | instskip(NEXT) | instid1(VALU_DEP_3)
	v_xor_b32_e32 v0, s13, v0
	v_and_b32_e32 v2, v2, v3
	ds_load_b32 v32, v1 offset:24
	v_add_nc_u32_e32 v34, 24, v1
	; wave barrier
	v_and_b32_e32 v0, v2, v0
	s_delay_alu instid0(VALU_DEP_1) | instskip(SKIP_1) | instid1(VALU_DEP_2)
	v_mbcnt_lo_u32_b32 v33, v0, 0
	v_cmp_ne_u32_e64 s13, 0, v0
	v_cmp_eq_u32_e32 vcc_lo, 0, v33
	s_delay_alu instid0(VALU_DEP_2) | instskip(NEXT) | instid1(SALU_CYCLE_1)
	s_and_b32 s20, s13, vcc_lo
	s_and_saveexec_b32 s13, s20
	s_cbranch_execz .LBB306_8
; %bb.7:                                ;   in Loop: Header=BB306_4 Depth=2
	s_waitcnt lgkmcnt(0)
	v_bcnt_u32_b32 v0, v0, v32
	ds_store_b32 v34, v0
.LBB306_8:                              ;   in Loop: Header=BB306_4 Depth=2
	s_or_b32 exec_lo, exec_lo, s13
	v_lshrrev_b64 v[0:1], s16, v[15:16]
	; wave barrier
	s_delay_alu instid0(VALU_DEP_1)
	v_and_b32_e32 v2, 1, v0
	v_lshlrev_b32_e32 v3, 30, v0
	v_lshlrev_b32_e32 v4, 29, v0
	;; [unrolled: 1-line block ×4, first 2 shown]
	v_add_co_u32 v2, s13, v2, -1
	s_delay_alu instid0(VALU_DEP_1)
	v_cndmask_b32_e64 v6, 0, 1, s13
	v_not_b32_e32 v37, v3
	v_cmp_gt_i32_e64 s13, 0, v3
	v_not_b32_e32 v3, v4
	v_lshlrev_b32_e32 v35, 26, v0
	v_cmp_ne_u32_e32 vcc_lo, 0, v6
	v_ashrrev_i32_e32 v6, 31, v37
	v_lshlrev_b32_e32 v36, 25, v0
	v_ashrrev_i32_e32 v3, 31, v3
	v_and_b32_e32 v1, 0xff, v0
	v_xor_b32_e32 v2, vcc_lo, v2
	v_cmp_gt_i32_e32 vcc_lo, 0, v4
	v_not_b32_e32 v4, v5
	v_xor_b32_e32 v6, s13, v6
	v_cmp_gt_i32_e64 s13, 0, v5
	v_and_b32_e32 v2, exec_lo, v2
	v_not_b32_e32 v5, v7
	v_ashrrev_i32_e32 v4, 31, v4
	v_xor_b32_e32 v3, vcc_lo, v3
	v_cmp_gt_i32_e32 vcc_lo, 0, v7
	v_and_b32_e32 v2, v2, v6
	v_not_b32_e32 v6, v35
	v_ashrrev_i32_e32 v5, 31, v5
	v_xor_b32_e32 v4, s13, v4
	v_lshlrev_b32_e32 v0, 24, v0
	v_and_b32_e32 v2, v2, v3
	v_cmp_gt_i32_e64 s13, 0, v35
	v_not_b32_e32 v3, v36
	v_ashrrev_i32_e32 v6, 31, v6
	v_xor_b32_e32 v5, vcc_lo, v5
	v_and_b32_e32 v2, v2, v4
	v_cmp_gt_i32_e32 vcc_lo, 0, v36
	v_not_b32_e32 v4, v0
	v_ashrrev_i32_e32 v3, 31, v3
	v_xor_b32_e32 v6, s13, v6
	v_and_b32_e32 v2, v2, v5
	v_mul_u32_u24_e32 v1, 6, v1
	v_cmp_gt_i32_e64 s13, 0, v0
	v_ashrrev_i32_e32 v0, 31, v4
	v_xor_b32_e32 v3, vcc_lo, v3
	v_and_b32_e32 v2, v2, v6
	v_add_lshl_u32 v1, v1, v23, 2
	s_delay_alu instid0(VALU_DEP_4) | instskip(NEXT) | instid1(VALU_DEP_3)
	v_xor_b32_e32 v0, s13, v0
	v_and_b32_e32 v2, v2, v3
	ds_load_b32 v35, v1 offset:24
	v_add_nc_u32_e32 v37, 24, v1
	; wave barrier
	v_and_b32_e32 v0, v2, v0
	s_delay_alu instid0(VALU_DEP_1) | instskip(SKIP_1) | instid1(VALU_DEP_2)
	v_mbcnt_lo_u32_b32 v36, v0, 0
	v_cmp_ne_u32_e64 s13, 0, v0
	v_cmp_eq_u32_e32 vcc_lo, 0, v36
	s_delay_alu instid0(VALU_DEP_2) | instskip(NEXT) | instid1(SALU_CYCLE_1)
	s_and_b32 s20, s13, vcc_lo
	s_and_saveexec_b32 s13, s20
	s_cbranch_execz .LBB306_10
; %bb.9:                                ;   in Loop: Header=BB306_4 Depth=2
	s_waitcnt lgkmcnt(0)
	v_bcnt_u32_b32 v0, v0, v35
	ds_store_b32 v37, v0
.LBB306_10:                             ;   in Loop: Header=BB306_4 Depth=2
	s_or_b32 exec_lo, exec_lo, s13
	; wave barrier
	s_waitcnt lgkmcnt(0)
	s_barrier
	buffer_gl0_inv
	ds_load_2addr_b64 v[4:7], v19 offset0:3 offset1:4
	ds_load_2addr_b64 v[0:3], v22 offset0:2 offset1:3
	s_waitcnt lgkmcnt(1)
	v_add_nc_u32_e32 v38, v5, v4
	s_delay_alu instid0(VALU_DEP_1) | instskip(SKIP_1) | instid1(VALU_DEP_1)
	v_add3_u32 v38, v38, v6, v7
	s_waitcnt lgkmcnt(0)
	v_add3_u32 v38, v38, v0, v1
	s_delay_alu instid0(VALU_DEP_1) | instskip(NEXT) | instid1(VALU_DEP_1)
	v_add3_u32 v3, v38, v2, v3
	v_mov_b32_dpp v38, v3 row_shr:1 row_mask:0xf bank_mask:0xf
	s_delay_alu instid0(VALU_DEP_1) | instskip(NEXT) | instid1(VALU_DEP_1)
	v_cndmask_b32_e64 v38, v38, 0, s0
	v_add_nc_u32_e32 v3, v38, v3
	s_delay_alu instid0(VALU_DEP_1) | instskip(NEXT) | instid1(VALU_DEP_1)
	v_mov_b32_dpp v38, v3 row_shr:2 row_mask:0xf bank_mask:0xf
	v_cndmask_b32_e64 v38, 0, v38, s1
	s_delay_alu instid0(VALU_DEP_1) | instskip(NEXT) | instid1(VALU_DEP_1)
	v_add_nc_u32_e32 v3, v3, v38
	v_mov_b32_dpp v38, v3 row_shr:4 row_mask:0xf bank_mask:0xf
	s_delay_alu instid0(VALU_DEP_1) | instskip(NEXT) | instid1(VALU_DEP_1)
	v_cndmask_b32_e64 v38, 0, v38, s2
	v_add_nc_u32_e32 v3, v3, v38
	s_delay_alu instid0(VALU_DEP_1) | instskip(NEXT) | instid1(VALU_DEP_1)
	v_mov_b32_dpp v38, v3 row_shr:8 row_mask:0xf bank_mask:0xf
	v_cndmask_b32_e64 v38, 0, v38, s3
	s_delay_alu instid0(VALU_DEP_1) | instskip(SKIP_3) | instid1(VALU_DEP_1)
	v_add_nc_u32_e32 v3, v3, v38
	ds_swizzle_b32 v38, v3 offset:swizzle(BROADCAST,32,15)
	s_waitcnt lgkmcnt(0)
	v_cndmask_b32_e64 v38, v38, 0, s4
	v_add_nc_u32_e32 v3, v3, v38
	s_and_saveexec_b32 s13, s5
	s_cbranch_execz .LBB306_12
; %bb.11:                               ;   in Loop: Header=BB306_4 Depth=2
	ds_store_b32 v25, v3
.LBB306_12:                             ;   in Loop: Header=BB306_4 Depth=2
	s_or_b32 exec_lo, exec_lo, s13
	s_waitcnt lgkmcnt(0)
	s_barrier
	buffer_gl0_inv
	s_and_saveexec_b32 s13, s6
	s_cbranch_execz .LBB306_14
; %bb.13:                               ;   in Loop: Header=BB306_4 Depth=2
	ds_load_b32 v38, v26
	s_waitcnt lgkmcnt(0)
	v_mov_b32_dpp v39, v38 row_shr:1 row_mask:0xf bank_mask:0xf
	s_delay_alu instid0(VALU_DEP_1) | instskip(NEXT) | instid1(VALU_DEP_1)
	v_cndmask_b32_e64 v39, v39, 0, s10
	v_add_nc_u32_e32 v38, v39, v38
	s_delay_alu instid0(VALU_DEP_1) | instskip(NEXT) | instid1(VALU_DEP_1)
	v_mov_b32_dpp v39, v38 row_shr:2 row_mask:0xf bank_mask:0xf
	v_cndmask_b32_e64 v39, 0, v39, s11
	s_delay_alu instid0(VALU_DEP_1) | instskip(NEXT) | instid1(VALU_DEP_1)
	v_add_nc_u32_e32 v38, v38, v39
	v_mov_b32_dpp v39, v38 row_shr:4 row_mask:0xf bank_mask:0xf
	s_delay_alu instid0(VALU_DEP_1) | instskip(NEXT) | instid1(VALU_DEP_1)
	v_cndmask_b32_e64 v39, 0, v39, s12
	v_add_nc_u32_e32 v38, v38, v39
	ds_store_b32 v26, v38
.LBB306_14:                             ;   in Loop: Header=BB306_4 Depth=2
	s_or_b32 exec_lo, exec_lo, s13
	v_mov_b32_e32 v38, 0
	s_waitcnt lgkmcnt(0)
	s_barrier
	buffer_gl0_inv
	s_and_saveexec_b32 s13, s7
	s_cbranch_execz .LBB306_16
; %bb.15:                               ;   in Loop: Header=BB306_4 Depth=2
	ds_load_b32 v38, v27
.LBB306_16:                             ;   in Loop: Header=BB306_4 Depth=2
	s_or_b32 exec_lo, exec_lo, s13
	s_waitcnt lgkmcnt(0)
	v_add_nc_u32_e32 v3, v38, v3
	s_cmp_gt_u32 s16, 55
	ds_bpermute_b32 v3, v24, v3
	s_waitcnt lgkmcnt(0)
	v_cndmask_b32_e64 v3, v3, v38, s8
	s_delay_alu instid0(VALU_DEP_1) | instskip(NEXT) | instid1(VALU_DEP_1)
	v_cndmask_b32_e64 v3, v3, 0, s9
	v_add_nc_u32_e32 v4, v3, v4
	s_delay_alu instid0(VALU_DEP_1) | instskip(NEXT) | instid1(VALU_DEP_1)
	v_add_nc_u32_e32 v5, v4, v5
	v_add_nc_u32_e32 v6, v5, v6
	s_delay_alu instid0(VALU_DEP_1) | instskip(NEXT) | instid1(VALU_DEP_1)
	v_add_nc_u32_e32 v38, v6, v7
	;; [unrolled: 3-line block ×3, first 2 shown]
	v_add_nc_u32_e32 v1, v0, v2
	ds_store_2addr_b64 v19, v[3:4], v[5:6] offset0:3 offset1:4
	ds_store_2addr_b64 v22, v[38:39], v[0:1] offset0:2 offset1:3
	s_waitcnt lgkmcnt(0)
	s_barrier
	buffer_gl0_inv
	ds_load_b32 v0, v31
	ds_load_b32 v1, v34
	;; [unrolled: 1-line block ×3, first 2 shown]
	s_waitcnt lgkmcnt(2)
	v_add_nc_u32_e32 v30, v0, v30
	s_waitcnt lgkmcnt(1)
	v_add3_u32 v7, v33, v32, v1
	s_waitcnt lgkmcnt(0)
	v_add3_u32 v6, v36, v35, v2
	s_cbranch_scc0 .LBB306_3
; %bb.17:                               ;   in Loop: Header=BB306_2 Depth=1
                                        ; implicit-def: $vgpr4_vgpr5
                                        ; implicit-def: $vgpr2_vgpr3
                                        ; implicit-def: $sgpr16_sgpr17
	s_branch .LBB306_1
.LBB306_18:
	v_lshlrev_b32_e32 v0, 3, v8
	s_add_u32 s0, s18, s14
	s_addc_u32 s1, s19, s15
	s_clause 0x2
	global_store_b64 v0, v[1:2], s[0:1]
	global_store_b64 v0, v[3:4], s[0:1] offset:1536
	global_store_b64 v0, v[5:6], s[0:1] offset:3072
	s_nop 0
	s_sendmsg sendmsg(MSG_DEALLOC_VGPRS)
	s_endpgm
	.section	.rodata,"a",@progbits
	.p2align	6, 0x0
	.amdhsa_kernel _Z16sort_keys_kernelI22helper_blocked_stripedxLj192ELj3ELj10EEvPKT0_PS1_
		.amdhsa_group_segment_fixed_size 6176
		.amdhsa_private_segment_fixed_size 0
		.amdhsa_kernarg_size 272
		.amdhsa_user_sgpr_count 15
		.amdhsa_user_sgpr_dispatch_ptr 0
		.amdhsa_user_sgpr_queue_ptr 0
		.amdhsa_user_sgpr_kernarg_segment_ptr 1
		.amdhsa_user_sgpr_dispatch_id 0
		.amdhsa_user_sgpr_private_segment_size 0
		.amdhsa_wavefront_size32 1
		.amdhsa_uses_dynamic_stack 0
		.amdhsa_enable_private_segment 0
		.amdhsa_system_sgpr_workgroup_id_x 1
		.amdhsa_system_sgpr_workgroup_id_y 0
		.amdhsa_system_sgpr_workgroup_id_z 0
		.amdhsa_system_sgpr_workgroup_info 0
		.amdhsa_system_vgpr_workitem_id 2
		.amdhsa_next_free_vgpr 40
		.amdhsa_next_free_sgpr 22
		.amdhsa_reserve_vcc 1
		.amdhsa_float_round_mode_32 0
		.amdhsa_float_round_mode_16_64 0
		.amdhsa_float_denorm_mode_32 3
		.amdhsa_float_denorm_mode_16_64 3
		.amdhsa_dx10_clamp 1
		.amdhsa_ieee_mode 1
		.amdhsa_fp16_overflow 0
		.amdhsa_workgroup_processor_mode 1
		.amdhsa_memory_ordered 1
		.amdhsa_forward_progress 0
		.amdhsa_shared_vgpr_count 0
		.amdhsa_exception_fp_ieee_invalid_op 0
		.amdhsa_exception_fp_denorm_src 0
		.amdhsa_exception_fp_ieee_div_zero 0
		.amdhsa_exception_fp_ieee_overflow 0
		.amdhsa_exception_fp_ieee_underflow 0
		.amdhsa_exception_fp_ieee_inexact 0
		.amdhsa_exception_int_div_zero 0
	.end_amdhsa_kernel
	.section	.text._Z16sort_keys_kernelI22helper_blocked_stripedxLj192ELj3ELj10EEvPKT0_PS1_,"axG",@progbits,_Z16sort_keys_kernelI22helper_blocked_stripedxLj192ELj3ELj10EEvPKT0_PS1_,comdat
.Lfunc_end306:
	.size	_Z16sort_keys_kernelI22helper_blocked_stripedxLj192ELj3ELj10EEvPKT0_PS1_, .Lfunc_end306-_Z16sort_keys_kernelI22helper_blocked_stripedxLj192ELj3ELj10EEvPKT0_PS1_
                                        ; -- End function
	.section	.AMDGPU.csdata,"",@progbits
; Kernel info:
; codeLenInByte = 2440
; NumSgprs: 24
; NumVgprs: 40
; ScratchSize: 0
; MemoryBound: 0
; FloatMode: 240
; IeeeMode: 1
; LDSByteSize: 6176 bytes/workgroup (compile time only)
; SGPRBlocks: 2
; VGPRBlocks: 4
; NumSGPRsForWavesPerEU: 24
; NumVGPRsForWavesPerEU: 40
; Occupancy: 15
; WaveLimiterHint : 1
; COMPUTE_PGM_RSRC2:SCRATCH_EN: 0
; COMPUTE_PGM_RSRC2:USER_SGPR: 15
; COMPUTE_PGM_RSRC2:TRAP_HANDLER: 0
; COMPUTE_PGM_RSRC2:TGID_X_EN: 1
; COMPUTE_PGM_RSRC2:TGID_Y_EN: 0
; COMPUTE_PGM_RSRC2:TGID_Z_EN: 0
; COMPUTE_PGM_RSRC2:TIDIG_COMP_CNT: 2
	.section	.text._Z17sort_pairs_kernelI22helper_blocked_stripedxLj192ELj3ELj10EEvPKT0_PS1_,"axG",@progbits,_Z17sort_pairs_kernelI22helper_blocked_stripedxLj192ELj3ELj10EEvPKT0_PS1_,comdat
	.protected	_Z17sort_pairs_kernelI22helper_blocked_stripedxLj192ELj3ELj10EEvPKT0_PS1_ ; -- Begin function _Z17sort_pairs_kernelI22helper_blocked_stripedxLj192ELj3ELj10EEvPKT0_PS1_
	.globl	_Z17sort_pairs_kernelI22helper_blocked_stripedxLj192ELj3ELj10EEvPKT0_PS1_
	.p2align	8
	.type	_Z17sort_pairs_kernelI22helper_blocked_stripedxLj192ELj3ELj10EEvPKT0_PS1_,@function
_Z17sort_pairs_kernelI22helper_blocked_stripedxLj192ELj3ELj10EEvPKT0_PS1_: ; @_Z17sort_pairs_kernelI22helper_blocked_stripedxLj192ELj3ELj10EEvPKT0_PS1_
; %bb.0:
	s_clause 0x1
	s_load_b128 s[16:19], s[0:1], 0x0
	s_load_b32 s12, s[0:1], 0x1c
	v_and_b32_e32 v9, 0x3ff, v0
	s_mov_b32 s21, 0
	s_mul_i32 s20, s15, 0x240
	v_mbcnt_lo_u32_b32 v7, -1, 0
	s_lshl_b64 s[14:15], s[20:21], 3
	v_mul_u32_u24_e32 v1, 3, v9
	s_mov_b32 s20, s21
	s_delay_alu instid0(VALU_DEP_2) | instskip(NEXT) | instid1(VALU_DEP_2)
	v_add_nc_u32_e32 v16, -1, v7
	v_dual_mov_b32 v12, s20 :: v_dual_lshlrev_b32 v5, 3, v1
	v_dual_mov_b32 v13, s21 :: v_dual_and_b32 v8, 16, v7
	s_delay_alu instid0(VALU_DEP_3) | instskip(SKIP_2) | instid1(VALU_DEP_4)
	v_cmp_gt_i32_e32 vcc_lo, 0, v16
	v_and_b32_e32 v17, 7, v7
	v_and_b32_e32 v6, 15, v7
	v_cmp_eq_u32_e64 s5, 0, v8
	s_waitcnt lgkmcnt(0)
	s_add_u32 s0, s16, s14
	s_addc_u32 s1, s17, s15
	s_clause 0x1
	global_load_b128 v[1:4], v5, s[0:1]
	global_load_b64 v[14:15], v5, s[0:1] offset:16
	s_mov_b32 s1, s21
	s_mov_b32 s0, s21
	v_mov_b32_e32 v11, s1
	v_bfe_u32 v5, v0, 10, 10
	v_bfe_u32 v0, v0, 20, 10
	s_lshr_b32 s13, s12, 16
	v_mov_b32_e32 v10, s0
	v_cmp_eq_u32_e64 s1, 0, v6
	v_cmp_lt_u32_e64 s2, 1, v6
	v_cmp_lt_u32_e64 s3, 3, v6
	;; [unrolled: 1-line block ×3, first 2 shown]
	v_and_b32_e32 v6, 0xe0, v9
	v_dual_cndmask_b32 v8, v16, v7 :: v_dual_lshlrev_b32 v19, 2, v9
	v_mad_u32_u24 v0, v0, s13, v5
	v_lshrrev_b32_e32 v18, 5, v9
	s_and_b32 s12, s12, 0xffff
	v_cmp_eq_u32_e64 s9, 0, v17
	v_cmp_lt_u32_e64 s10, 1, v17
	v_cmp_lt_u32_e64 s11, 3, v17
	v_min_u32_e32 v17, 0xa0, v6
	v_lshlrev_b32_e32 v32, 2, v8
	v_mul_u32_u24_e32 v8, 3, v6
	v_mad_u64_u32 v[5:6], null, v0, s12, v[9:10]
	v_mul_u32_u24_e32 v16, 0x60, v18
	v_lshlrev_b32_e32 v30, 5, v9
	s_delay_alu instid0(VALU_DEP_4)
	v_or_b32_e32 v6, v7, v8
	v_lshlrev_b32_e32 v33, 2, v18
	v_cmp_eq_u32_e64 s0, 0, v7
	v_lshlrev_b32_e32 v18, 3, v16
	v_lshrrev_b32_e32 v39, 5, v5
	v_or_b32_e32 v16, v7, v16
	v_lshlrev_b32_e32 v38, 3, v6
	v_mad_i32_i24 v34, 0xffffffe4, v9, v30
	v_or_b32_e32 v0, 31, v17
	v_mad_u32_u24 v36, v7, 24, v18
	v_lshlrev_b32_e32 v37, 3, v16
	v_cmp_gt_u32_e64 s6, 6, v9
	v_cmp_lt_u32_e64 s7, 31, v9
	v_cmp_eq_u32_e64 s8, 0, v9
	v_or_b32_e32 v31, 24, v30
	v_add_nc_u32_e32 v35, -4, v33
	v_cmp_eq_u32_e64 s12, v0, v9
	v_add_nc_u32_e32 v40, v34, v19
	s_waitcnt vmcnt(1)
	v_add_co_u32 v5, vcc_lo, v1, 1
	v_add_co_ci_u32_e32 v6, vcc_lo, 0, v2, vcc_lo
	v_add_co_u32 v7, vcc_lo, v3, 1
	v_add_co_ci_u32_e32 v8, vcc_lo, 0, v4, vcc_lo
	s_waitcnt vmcnt(0)
	v_add_co_u32 v16, vcc_lo, v14, 1
	v_add_co_ci_u32_e32 v17, vcc_lo, 0, v15, vcc_lo
	s_branch .LBB307_2
.LBB307_1:                              ;   in Loop: Header=BB307_2 Depth=1
	v_lshlrev_b32_e32 v0, 3, v44
	v_lshlrev_b32_e32 v5, 3, v43
	;; [unrolled: 1-line block ×3, first 2 shown]
	s_barrier
	buffer_gl0_inv
	ds_store_b64 v0, v[14:15]
	ds_store_b64 v5, v[24:25]
	;; [unrolled: 1-line block ×3, first 2 shown]
	s_waitcnt lgkmcnt(0)
	s_barrier
	buffer_gl0_inv
	ds_load_2addr_stride64_b64 v[1:4], v40 offset1:3
	ds_load_b64 v[14:15], v40 offset:3072
	s_waitcnt lgkmcnt(0)
	s_barrier
	buffer_gl0_inv
	ds_store_b64 v0, v[20:21]
	ds_store_b64 v5, v[18:19]
	ds_store_b64 v6, v[16:17]
	s_waitcnt lgkmcnt(0)
	s_barrier
	buffer_gl0_inv
	ds_load_2addr_stride64_b64 v[5:8], v40 offset1:3
	ds_load_b64 v[16:17], v40 offset:3072
	s_add_i32 s21, s21, 1
	s_delay_alu instid0(SALU_CYCLE_1)
	s_cmp_eq_u32 s21, 10
	v_xor_b32_e32 v2, 0x80000000, v2
	v_xor_b32_e32 v4, 0x80000000, v4
	;; [unrolled: 1-line block ×3, first 2 shown]
	s_cbranch_scc1 .LBB307_18
.LBB307_2:                              ; =>This Loop Header: Depth=1
                                        ;     Child Loop BB307_4 Depth 2
	s_delay_alu instid0(VALU_DEP_3) | instskip(NEXT) | instid1(VALU_DEP_3)
	v_xor_b32_e32 v2, 0x80000000, v2
	v_xor_b32_e32 v4, 0x80000000, v4
	s_delay_alu instid0(VALU_DEP_3)
	v_xor_b32_e32 v15, 0x80000000, v15
	s_mov_b64 s[16:17], 0
	ds_store_2addr_b64 v36, v[1:2], v[3:4] offset1:1
	ds_store_b64 v36, v[14:15] offset:16
	; wave barrier
	ds_load_2addr_b64 v[0:3], v37 offset1:32
	ds_load_b64 v[26:27], v37 offset:512
	; wave barrier
	s_waitcnt lgkmcnt(5)
	ds_store_2addr_b64 v36, v[5:6], v[7:8] offset1:1
	s_waitcnt lgkmcnt(5)
	ds_store_b64 v36, v[16:17] offset:16
	; wave barrier
	ds_load_2addr_b64 v[4:7], v37 offset1:32
	ds_load_b64 v[28:29], v37 offset:512
	s_waitcnt lgkmcnt(0)
	s_barrier
	s_branch .LBB307_4
.LBB307_3:                              ;   in Loop: Header=BB307_4 Depth=2
	v_lshlrev_b32_e32 v4, 3, v44
	v_lshlrev_b32_e32 v5, 3, v43
	s_delay_alu instid0(VALU_DEP_3)
	v_lshlrev_b32_e32 v6, 3, v8
	s_barrier
	buffer_gl0_inv
	ds_store_b64 v4, v[14:15]
	ds_store_b64 v5, v[24:25]
	;; [unrolled: 1-line block ×3, first 2 shown]
	s_waitcnt lgkmcnt(0)
	s_barrier
	buffer_gl0_inv
	ds_load_2addr_b64 v[0:3], v38 offset1:32
	ds_load_b64 v[26:27], v38 offset:512
	s_waitcnt lgkmcnt(0)
	s_barrier
	buffer_gl0_inv
	ds_store_b64 v4, v[20:21]
	ds_store_b64 v5, v[18:19]
	;; [unrolled: 1-line block ×3, first 2 shown]
	s_waitcnt lgkmcnt(0)
	s_barrier
	buffer_gl0_inv
	ds_load_2addr_b64 v[4:7], v38 offset1:32
	ds_load_b64 v[28:29], v38 offset:512
	s_add_u32 s16, s16, 8
	s_addc_u32 s17, s17, 0
	s_waitcnt lgkmcnt(0)
	s_barrier
	s_cbranch_execz .LBB307_1
.LBB307_4:                              ;   Parent Loop BB307_2 Depth=1
                                        ; =>  This Inner Loop Header: Depth=2
	v_dual_mov_b32 v15, v1 :: v_dual_mov_b32 v14, v0
	buffer_gl0_inv
	ds_store_2addr_b64 v30, v[12:13], v[10:11] offset0:3 offset1:4
	ds_store_2addr_b64 v31, v[12:13], v[10:11] offset0:2 offset1:3
	s_waitcnt lgkmcnt(0)
	s_barrier
	v_lshrrev_b64 v[41:42], s16, v[14:15]
	buffer_gl0_inv
	; wave barrier
	v_dual_mov_b32 v22, v26 :: v_dual_mov_b32 v25, v3
	v_dual_mov_b32 v23, v27 :: v_dual_and_b32 v0, 1, v41
	v_lshlrev_b32_e32 v1, 30, v41
	v_lshlrev_b32_e32 v8, 29, v41
	;; [unrolled: 1-line block ×3, first 2 shown]
	s_delay_alu instid0(VALU_DEP_4) | instskip(NEXT) | instid1(VALU_DEP_1)
	v_add_co_u32 v0, s13, v0, -1
	v_cndmask_b32_e64 v17, 0, 1, s13
	v_not_b32_e32 v21, v1
	v_cmp_gt_i32_e64 s13, 0, v1
	v_not_b32_e32 v1, v8
	v_lshlrev_b32_e32 v18, 27, v41
	v_cmp_ne_u32_e32 vcc_lo, 0, v17
	v_ashrrev_i32_e32 v21, 31, v21
	v_dual_mov_b32 v24, v2 :: v_dual_lshlrev_b32 v19, 26, v41
	v_ashrrev_i32_e32 v1, 31, v1
	v_xor_b32_e32 v0, vcc_lo, v0
	v_cmp_gt_i32_e32 vcc_lo, 0, v8
	v_not_b32_e32 v8, v16
	v_xor_b32_e32 v21, s13, v21
	v_cmp_gt_i32_e64 s13, 0, v16
	v_and_b32_e32 v0, exec_lo, v0
	v_not_b32_e32 v16, v18
	v_ashrrev_i32_e32 v8, 31, v8
	v_xor_b32_e32 v1, vcc_lo, v1
	v_cmp_gt_i32_e32 vcc_lo, 0, v18
	v_and_b32_e32 v0, v0, v21
	v_not_b32_e32 v18, v19
	v_ashrrev_i32_e32 v16, 31, v16
	v_xor_b32_e32 v8, s13, v8
	v_cmp_gt_i32_e64 s13, 0, v19
	v_and_b32_e32 v0, v0, v1
	v_ashrrev_i32_e32 v18, 31, v18
	v_xor_b32_e32 v16, vcc_lo, v16
	v_lshlrev_b32_e32 v20, 25, v41
	v_lshlrev_b32_e32 v17, 24, v41
	v_and_b32_e32 v0, v0, v8
	v_xor_b32_e32 v18, s13, v18
	s_delay_alu instid0(VALU_DEP_2) | instskip(NEXT) | instid1(VALU_DEP_1)
	v_and_b32_e32 v0, v0, v16
	v_dual_mov_b32 v19, v7 :: v_dual_and_b32 v0, v0, v18
	v_mov_b32_e32 v18, v6
	v_not_b32_e32 v1, v20
	v_cmp_gt_i32_e32 vcc_lo, 0, v20
	v_not_b32_e32 v8, v17
	v_cmp_gt_i32_e64 s13, 0, v17
	v_mov_b32_e32 v16, v28
	v_ashrrev_i32_e32 v1, 31, v1
	v_mov_b32_e32 v21, v5
	v_ashrrev_i32_e32 v8, 31, v8
	v_dual_mov_b32 v17, v29 :: v_dual_mov_b32 v20, v4
	s_delay_alu instid0(VALU_DEP_4) | instskip(NEXT) | instid1(VALU_DEP_3)
	v_xor_b32_e32 v1, vcc_lo, v1
	v_xor_b32_e32 v8, s13, v8
	s_delay_alu instid0(VALU_DEP_2) | instskip(SKIP_1) | instid1(VALU_DEP_2)
	v_and_b32_e32 v0, v0, v1
	v_and_b32_e32 v1, 0xff, v41
	;; [unrolled: 1-line block ×3, first 2 shown]
	s_delay_alu instid0(VALU_DEP_2) | instskip(NEXT) | instid1(VALU_DEP_2)
	v_mad_u32_u24 v1, v1, 6, v39
	v_mbcnt_lo_u32_b32 v8, v0, 0
	v_cmp_ne_u32_e64 s13, 0, v0
	s_delay_alu instid0(VALU_DEP_3) | instskip(NEXT) | instid1(VALU_DEP_3)
	v_lshl_add_u32 v26, v1, 2, 24
	v_cmp_eq_u32_e32 vcc_lo, 0, v8
	s_delay_alu instid0(VALU_DEP_3) | instskip(NEXT) | instid1(SALU_CYCLE_1)
	s_and_b32 s20, s13, vcc_lo
	s_and_saveexec_b32 s13, s20
	s_cbranch_execz .LBB307_6
; %bb.5:                                ;   in Loop: Header=BB307_4 Depth=2
	v_bcnt_u32_b32 v0, v0, 0
	ds_store_b32 v26, v0
.LBB307_6:                              ;   in Loop: Header=BB307_4 Depth=2
	s_or_b32 exec_lo, exec_lo, s13
	v_lshrrev_b64 v[0:1], s16, v[24:25]
	; wave barrier
	s_delay_alu instid0(VALU_DEP_1)
	v_and_b32_e32 v2, 1, v0
	v_lshlrev_b32_e32 v3, 30, v0
	v_lshlrev_b32_e32 v4, 29, v0
	;; [unrolled: 1-line block ×4, first 2 shown]
	v_add_co_u32 v2, s13, v2, -1
	s_delay_alu instid0(VALU_DEP_1)
	v_cndmask_b32_e64 v6, 0, 1, s13
	v_not_b32_e32 v29, v3
	v_cmp_gt_i32_e64 s13, 0, v3
	v_not_b32_e32 v3, v4
	v_lshlrev_b32_e32 v27, 26, v0
	v_cmp_ne_u32_e32 vcc_lo, 0, v6
	v_ashrrev_i32_e32 v6, 31, v29
	v_lshlrev_b32_e32 v28, 25, v0
	v_ashrrev_i32_e32 v3, 31, v3
	v_and_b32_e32 v1, 0xff, v0
	v_xor_b32_e32 v2, vcc_lo, v2
	v_cmp_gt_i32_e32 vcc_lo, 0, v4
	v_not_b32_e32 v4, v5
	v_xor_b32_e32 v6, s13, v6
	v_cmp_gt_i32_e64 s13, 0, v5
	v_and_b32_e32 v2, exec_lo, v2
	v_not_b32_e32 v5, v7
	v_ashrrev_i32_e32 v4, 31, v4
	v_xor_b32_e32 v3, vcc_lo, v3
	v_cmp_gt_i32_e32 vcc_lo, 0, v7
	v_and_b32_e32 v2, v2, v6
	v_not_b32_e32 v6, v27
	v_ashrrev_i32_e32 v5, 31, v5
	v_xor_b32_e32 v4, s13, v4
	v_lshlrev_b32_e32 v0, 24, v0
	v_and_b32_e32 v2, v2, v3
	v_cmp_gt_i32_e64 s13, 0, v27
	v_not_b32_e32 v3, v28
	v_ashrrev_i32_e32 v6, 31, v6
	v_xor_b32_e32 v5, vcc_lo, v5
	v_and_b32_e32 v2, v2, v4
	v_cmp_gt_i32_e32 vcc_lo, 0, v28
	v_not_b32_e32 v4, v0
	v_ashrrev_i32_e32 v3, 31, v3
	v_xor_b32_e32 v6, s13, v6
	v_and_b32_e32 v2, v2, v5
	v_mul_u32_u24_e32 v1, 6, v1
	v_cmp_gt_i32_e64 s13, 0, v0
	v_ashrrev_i32_e32 v0, 31, v4
	v_xor_b32_e32 v3, vcc_lo, v3
	v_and_b32_e32 v2, v2, v6
	v_add_lshl_u32 v1, v1, v39, 2
	s_delay_alu instid0(VALU_DEP_4) | instskip(NEXT) | instid1(VALU_DEP_3)
	v_xor_b32_e32 v0, s13, v0
	v_and_b32_e32 v2, v2, v3
	ds_load_b32 v27, v1 offset:24
	v_add_nc_u32_e32 v29, 24, v1
	; wave barrier
	v_and_b32_e32 v0, v2, v0
	s_delay_alu instid0(VALU_DEP_1) | instskip(SKIP_1) | instid1(VALU_DEP_2)
	v_mbcnt_lo_u32_b32 v28, v0, 0
	v_cmp_ne_u32_e64 s13, 0, v0
	v_cmp_eq_u32_e32 vcc_lo, 0, v28
	s_delay_alu instid0(VALU_DEP_2) | instskip(NEXT) | instid1(SALU_CYCLE_1)
	s_and_b32 s20, s13, vcc_lo
	s_and_saveexec_b32 s13, s20
	s_cbranch_execz .LBB307_8
; %bb.7:                                ;   in Loop: Header=BB307_4 Depth=2
	s_waitcnt lgkmcnt(0)
	v_bcnt_u32_b32 v0, v0, v27
	ds_store_b32 v29, v0
.LBB307_8:                              ;   in Loop: Header=BB307_4 Depth=2
	s_or_b32 exec_lo, exec_lo, s13
	v_lshrrev_b64 v[0:1], s16, v[22:23]
	; wave barrier
	s_delay_alu instid0(VALU_DEP_1)
	v_and_b32_e32 v2, 1, v0
	v_lshlrev_b32_e32 v3, 30, v0
	v_lshlrev_b32_e32 v4, 29, v0
	;; [unrolled: 1-line block ×4, first 2 shown]
	v_add_co_u32 v2, s13, v2, -1
	s_delay_alu instid0(VALU_DEP_1)
	v_cndmask_b32_e64 v6, 0, 1, s13
	v_not_b32_e32 v43, v3
	v_cmp_gt_i32_e64 s13, 0, v3
	v_not_b32_e32 v3, v4
	v_lshlrev_b32_e32 v41, 26, v0
	v_cmp_ne_u32_e32 vcc_lo, 0, v6
	v_ashrrev_i32_e32 v6, 31, v43
	v_lshlrev_b32_e32 v42, 25, v0
	v_ashrrev_i32_e32 v3, 31, v3
	v_and_b32_e32 v1, 0xff, v0
	v_xor_b32_e32 v2, vcc_lo, v2
	v_cmp_gt_i32_e32 vcc_lo, 0, v4
	v_not_b32_e32 v4, v5
	v_xor_b32_e32 v6, s13, v6
	v_cmp_gt_i32_e64 s13, 0, v5
	v_and_b32_e32 v2, exec_lo, v2
	v_not_b32_e32 v5, v7
	v_ashrrev_i32_e32 v4, 31, v4
	v_xor_b32_e32 v3, vcc_lo, v3
	v_cmp_gt_i32_e32 vcc_lo, 0, v7
	v_and_b32_e32 v2, v2, v6
	v_not_b32_e32 v6, v41
	v_ashrrev_i32_e32 v5, 31, v5
	v_xor_b32_e32 v4, s13, v4
	v_lshlrev_b32_e32 v0, 24, v0
	v_and_b32_e32 v2, v2, v3
	v_cmp_gt_i32_e64 s13, 0, v41
	v_not_b32_e32 v3, v42
	v_ashrrev_i32_e32 v6, 31, v6
	v_xor_b32_e32 v5, vcc_lo, v5
	v_and_b32_e32 v2, v2, v4
	v_cmp_gt_i32_e32 vcc_lo, 0, v42
	v_not_b32_e32 v4, v0
	v_ashrrev_i32_e32 v3, 31, v3
	v_xor_b32_e32 v6, s13, v6
	v_and_b32_e32 v2, v2, v5
	v_mul_u32_u24_e32 v1, 6, v1
	v_cmp_gt_i32_e64 s13, 0, v0
	v_ashrrev_i32_e32 v0, 31, v4
	v_xor_b32_e32 v3, vcc_lo, v3
	v_and_b32_e32 v2, v2, v6
	v_add_lshl_u32 v1, v1, v39, 2
	s_delay_alu instid0(VALU_DEP_4) | instskip(NEXT) | instid1(VALU_DEP_3)
	v_xor_b32_e32 v0, s13, v0
	v_and_b32_e32 v2, v2, v3
	ds_load_b32 v41, v1 offset:24
	v_add_nc_u32_e32 v43, 24, v1
	; wave barrier
	v_and_b32_e32 v0, v2, v0
	s_delay_alu instid0(VALU_DEP_1) | instskip(SKIP_1) | instid1(VALU_DEP_2)
	v_mbcnt_lo_u32_b32 v42, v0, 0
	v_cmp_ne_u32_e64 s13, 0, v0
	v_cmp_eq_u32_e32 vcc_lo, 0, v42
	s_delay_alu instid0(VALU_DEP_2) | instskip(NEXT) | instid1(SALU_CYCLE_1)
	s_and_b32 s20, s13, vcc_lo
	s_and_saveexec_b32 s13, s20
	s_cbranch_execz .LBB307_10
; %bb.9:                                ;   in Loop: Header=BB307_4 Depth=2
	s_waitcnt lgkmcnt(0)
	v_bcnt_u32_b32 v0, v0, v41
	ds_store_b32 v43, v0
.LBB307_10:                             ;   in Loop: Header=BB307_4 Depth=2
	s_or_b32 exec_lo, exec_lo, s13
	; wave barrier
	s_waitcnt lgkmcnt(0)
	s_barrier
	buffer_gl0_inv
	ds_load_2addr_b64 v[4:7], v30 offset0:3 offset1:4
	ds_load_2addr_b64 v[0:3], v31 offset0:2 offset1:3
	s_waitcnt lgkmcnt(1)
	v_add_nc_u32_e32 v44, v5, v4
	s_delay_alu instid0(VALU_DEP_1) | instskip(SKIP_1) | instid1(VALU_DEP_1)
	v_add3_u32 v44, v44, v6, v7
	s_waitcnt lgkmcnt(0)
	v_add3_u32 v44, v44, v0, v1
	s_delay_alu instid0(VALU_DEP_1) | instskip(NEXT) | instid1(VALU_DEP_1)
	v_add3_u32 v3, v44, v2, v3
	v_mov_b32_dpp v44, v3 row_shr:1 row_mask:0xf bank_mask:0xf
	s_delay_alu instid0(VALU_DEP_1) | instskip(NEXT) | instid1(VALU_DEP_1)
	v_cndmask_b32_e64 v44, v44, 0, s1
	v_add_nc_u32_e32 v3, v44, v3
	s_delay_alu instid0(VALU_DEP_1) | instskip(NEXT) | instid1(VALU_DEP_1)
	v_mov_b32_dpp v44, v3 row_shr:2 row_mask:0xf bank_mask:0xf
	v_cndmask_b32_e64 v44, 0, v44, s2
	s_delay_alu instid0(VALU_DEP_1) | instskip(NEXT) | instid1(VALU_DEP_1)
	v_add_nc_u32_e32 v3, v3, v44
	v_mov_b32_dpp v44, v3 row_shr:4 row_mask:0xf bank_mask:0xf
	s_delay_alu instid0(VALU_DEP_1) | instskip(NEXT) | instid1(VALU_DEP_1)
	v_cndmask_b32_e64 v44, 0, v44, s3
	v_add_nc_u32_e32 v3, v3, v44
	s_delay_alu instid0(VALU_DEP_1) | instskip(NEXT) | instid1(VALU_DEP_1)
	v_mov_b32_dpp v44, v3 row_shr:8 row_mask:0xf bank_mask:0xf
	v_cndmask_b32_e64 v44, 0, v44, s4
	s_delay_alu instid0(VALU_DEP_1) | instskip(SKIP_3) | instid1(VALU_DEP_1)
	v_add_nc_u32_e32 v3, v3, v44
	ds_swizzle_b32 v44, v3 offset:swizzle(BROADCAST,32,15)
	s_waitcnt lgkmcnt(0)
	v_cndmask_b32_e64 v44, v44, 0, s5
	v_add_nc_u32_e32 v3, v3, v44
	s_and_saveexec_b32 s13, s12
	s_cbranch_execz .LBB307_12
; %bb.11:                               ;   in Loop: Header=BB307_4 Depth=2
	ds_store_b32 v33, v3
.LBB307_12:                             ;   in Loop: Header=BB307_4 Depth=2
	s_or_b32 exec_lo, exec_lo, s13
	s_waitcnt lgkmcnt(0)
	s_barrier
	buffer_gl0_inv
	s_and_saveexec_b32 s13, s6
	s_cbranch_execz .LBB307_14
; %bb.13:                               ;   in Loop: Header=BB307_4 Depth=2
	ds_load_b32 v44, v34
	s_waitcnt lgkmcnt(0)
	v_mov_b32_dpp v45, v44 row_shr:1 row_mask:0xf bank_mask:0xf
	s_delay_alu instid0(VALU_DEP_1) | instskip(NEXT) | instid1(VALU_DEP_1)
	v_cndmask_b32_e64 v45, v45, 0, s9
	v_add_nc_u32_e32 v44, v45, v44
	s_delay_alu instid0(VALU_DEP_1) | instskip(NEXT) | instid1(VALU_DEP_1)
	v_mov_b32_dpp v45, v44 row_shr:2 row_mask:0xf bank_mask:0xf
	v_cndmask_b32_e64 v45, 0, v45, s10
	s_delay_alu instid0(VALU_DEP_1) | instskip(NEXT) | instid1(VALU_DEP_1)
	v_add_nc_u32_e32 v44, v44, v45
	v_mov_b32_dpp v45, v44 row_shr:4 row_mask:0xf bank_mask:0xf
	s_delay_alu instid0(VALU_DEP_1) | instskip(NEXT) | instid1(VALU_DEP_1)
	v_cndmask_b32_e64 v45, 0, v45, s11
	v_add_nc_u32_e32 v44, v44, v45
	ds_store_b32 v34, v44
.LBB307_14:                             ;   in Loop: Header=BB307_4 Depth=2
	s_or_b32 exec_lo, exec_lo, s13
	v_mov_b32_e32 v44, 0
	s_waitcnt lgkmcnt(0)
	s_barrier
	buffer_gl0_inv
	s_and_saveexec_b32 s13, s7
	s_cbranch_execz .LBB307_16
; %bb.15:                               ;   in Loop: Header=BB307_4 Depth=2
	ds_load_b32 v44, v35
.LBB307_16:                             ;   in Loop: Header=BB307_4 Depth=2
	s_or_b32 exec_lo, exec_lo, s13
	s_waitcnt lgkmcnt(0)
	v_add_nc_u32_e32 v3, v44, v3
	s_cmp_gt_u32 s16, 55
	ds_bpermute_b32 v3, v32, v3
	s_waitcnt lgkmcnt(0)
	v_cndmask_b32_e64 v3, v3, v44, s0
	s_delay_alu instid0(VALU_DEP_1) | instskip(NEXT) | instid1(VALU_DEP_1)
	v_cndmask_b32_e64 v3, v3, 0, s8
	v_add_nc_u32_e32 v4, v3, v4
	s_delay_alu instid0(VALU_DEP_1) | instskip(NEXT) | instid1(VALU_DEP_1)
	v_add_nc_u32_e32 v5, v4, v5
	v_add_nc_u32_e32 v6, v5, v6
	s_delay_alu instid0(VALU_DEP_1) | instskip(NEXT) | instid1(VALU_DEP_1)
	v_add_nc_u32_e32 v44, v6, v7
	;; [unrolled: 3-line block ×3, first 2 shown]
	v_add_nc_u32_e32 v1, v0, v2
	ds_store_2addr_b64 v30, v[3:4], v[5:6] offset0:3 offset1:4
	ds_store_2addr_b64 v31, v[44:45], v[0:1] offset0:2 offset1:3
	s_waitcnt lgkmcnt(0)
	s_barrier
	buffer_gl0_inv
	ds_load_b32 v0, v26
	ds_load_b32 v1, v29
	;; [unrolled: 1-line block ×3, first 2 shown]
	s_waitcnt lgkmcnt(2)
	v_add_nc_u32_e32 v44, v0, v8
	s_waitcnt lgkmcnt(1)
	v_add3_u32 v43, v28, v27, v1
	s_waitcnt lgkmcnt(0)
	v_add3_u32 v8, v42, v41, v2
	s_cbranch_scc0 .LBB307_3
; %bb.17:                               ;   in Loop: Header=BB307_2 Depth=1
                                        ; implicit-def: $vgpr26_vgpr27
                                        ; implicit-def: $vgpr2_vgpr3
                                        ; implicit-def: $vgpr28_vgpr29
                                        ; implicit-def: $vgpr6_vgpr7
                                        ; implicit-def: $sgpr16_sgpr17
	s_branch .LBB307_1
.LBB307_18:
	s_waitcnt lgkmcnt(1)
	v_add_co_u32 v0, vcc_lo, v1, v5
	v_add_co_ci_u32_e32 v1, vcc_lo, v2, v6, vcc_lo
	v_add_co_u32 v2, vcc_lo, v3, v7
	v_add_co_ci_u32_e32 v3, vcc_lo, v4, v8, vcc_lo
	v_lshlrev_b32_e32 v6, 3, v9
	s_waitcnt lgkmcnt(0)
	v_add_co_u32 v4, vcc_lo, v14, v16
	v_add_co_ci_u32_e32 v5, vcc_lo, v15, v17, vcc_lo
	s_add_u32 s0, s18, s14
	s_addc_u32 s1, s19, s15
	s_clause 0x2
	global_store_b64 v6, v[0:1], s[0:1]
	global_store_b64 v6, v[2:3], s[0:1] offset:1536
	global_store_b64 v6, v[4:5], s[0:1] offset:3072
	s_nop 0
	s_sendmsg sendmsg(MSG_DEALLOC_VGPRS)
	s_endpgm
	.section	.rodata,"a",@progbits
	.p2align	6, 0x0
	.amdhsa_kernel _Z17sort_pairs_kernelI22helper_blocked_stripedxLj192ELj3ELj10EEvPKT0_PS1_
		.amdhsa_group_segment_fixed_size 6176
		.amdhsa_private_segment_fixed_size 0
		.amdhsa_kernarg_size 272
		.amdhsa_user_sgpr_count 15
		.amdhsa_user_sgpr_dispatch_ptr 0
		.amdhsa_user_sgpr_queue_ptr 0
		.amdhsa_user_sgpr_kernarg_segment_ptr 1
		.amdhsa_user_sgpr_dispatch_id 0
		.amdhsa_user_sgpr_private_segment_size 0
		.amdhsa_wavefront_size32 1
		.amdhsa_uses_dynamic_stack 0
		.amdhsa_enable_private_segment 0
		.amdhsa_system_sgpr_workgroup_id_x 1
		.amdhsa_system_sgpr_workgroup_id_y 0
		.amdhsa_system_sgpr_workgroup_id_z 0
		.amdhsa_system_sgpr_workgroup_info 0
		.amdhsa_system_vgpr_workitem_id 2
		.amdhsa_next_free_vgpr 46
		.amdhsa_next_free_sgpr 22
		.amdhsa_reserve_vcc 1
		.amdhsa_float_round_mode_32 0
		.amdhsa_float_round_mode_16_64 0
		.amdhsa_float_denorm_mode_32 3
		.amdhsa_float_denorm_mode_16_64 3
		.amdhsa_dx10_clamp 1
		.amdhsa_ieee_mode 1
		.amdhsa_fp16_overflow 0
		.amdhsa_workgroup_processor_mode 1
		.amdhsa_memory_ordered 1
		.amdhsa_forward_progress 0
		.amdhsa_shared_vgpr_count 0
		.amdhsa_exception_fp_ieee_invalid_op 0
		.amdhsa_exception_fp_denorm_src 0
		.amdhsa_exception_fp_ieee_div_zero 0
		.amdhsa_exception_fp_ieee_overflow 0
		.amdhsa_exception_fp_ieee_underflow 0
		.amdhsa_exception_fp_ieee_inexact 0
		.amdhsa_exception_int_div_zero 0
	.end_amdhsa_kernel
	.section	.text._Z17sort_pairs_kernelI22helper_blocked_stripedxLj192ELj3ELj10EEvPKT0_PS1_,"axG",@progbits,_Z17sort_pairs_kernelI22helper_blocked_stripedxLj192ELj3ELj10EEvPKT0_PS1_,comdat
.Lfunc_end307:
	.size	_Z17sort_pairs_kernelI22helper_blocked_stripedxLj192ELj3ELj10EEvPKT0_PS1_, .Lfunc_end307-_Z17sort_pairs_kernelI22helper_blocked_stripedxLj192ELj3ELj10EEvPKT0_PS1_
                                        ; -- End function
	.section	.AMDGPU.csdata,"",@progbits
; Kernel info:
; codeLenInByte = 2692
; NumSgprs: 24
; NumVgprs: 46
; ScratchSize: 0
; MemoryBound: 0
; FloatMode: 240
; IeeeMode: 1
; LDSByteSize: 6176 bytes/workgroup (compile time only)
; SGPRBlocks: 2
; VGPRBlocks: 5
; NumSGPRsForWavesPerEU: 24
; NumVGPRsForWavesPerEU: 46
; Occupancy: 15
; WaveLimiterHint : 1
; COMPUTE_PGM_RSRC2:SCRATCH_EN: 0
; COMPUTE_PGM_RSRC2:USER_SGPR: 15
; COMPUTE_PGM_RSRC2:TRAP_HANDLER: 0
; COMPUTE_PGM_RSRC2:TGID_X_EN: 1
; COMPUTE_PGM_RSRC2:TGID_Y_EN: 0
; COMPUTE_PGM_RSRC2:TGID_Z_EN: 0
; COMPUTE_PGM_RSRC2:TIDIG_COMP_CNT: 2
	.section	.text._Z16sort_keys_kernelI22helper_blocked_stripedxLj192ELj4ELj10EEvPKT0_PS1_,"axG",@progbits,_Z16sort_keys_kernelI22helper_blocked_stripedxLj192ELj4ELj10EEvPKT0_PS1_,comdat
	.protected	_Z16sort_keys_kernelI22helper_blocked_stripedxLj192ELj4ELj10EEvPKT0_PS1_ ; -- Begin function _Z16sort_keys_kernelI22helper_blocked_stripedxLj192ELj4ELj10EEvPKT0_PS1_
	.globl	_Z16sort_keys_kernelI22helper_blocked_stripedxLj192ELj4ELj10EEvPKT0_PS1_
	.p2align	8
	.type	_Z16sort_keys_kernelI22helper_blocked_stripedxLj192ELj4ELj10EEvPKT0_PS1_,@function
_Z16sort_keys_kernelI22helper_blocked_stripedxLj192ELj4ELj10EEvPKT0_PS1_: ; @_Z16sort_keys_kernelI22helper_blocked_stripedxLj192ELj4ELj10EEvPKT0_PS1_
; %bb.0:
	s_clause 0x1
	s_load_b128 s[16:19], s[0:1], 0x0
	s_load_b32 s2, s[0:1], 0x1c
	s_mov_b32 s23, 0
	s_mul_i32 s22, s15, 0x300
	v_bfe_u32 v10, v0, 10, 10
	s_lshl_b64 s[20:21], s[22:23], 3
	s_mov_b32 s22, s23
	v_and_b32_e32 v9, 0x3ff, v0
	v_bfe_u32 v0, v0, 20, 10
	v_mbcnt_lo_u32_b32 v12, -1, 0
	s_delay_alu instid0(VALU_DEP_3) | instskip(NEXT) | instid1(VALU_DEP_2)
	v_lshlrev_b32_e32 v22, 5, v9
	v_and_b32_e32 v13, 3, v12
	v_cmp_eq_u32_e64 s11, 0, v12
	s_waitcnt lgkmcnt(0)
	s_add_u32 s0, s16, s20
	s_addc_u32 s1, s17, s21
	s_mov_b32 s16, s23
	s_clause 0x1
	global_load_b128 v[1:4], v22, s[0:1] offset:16
	global_load_b128 v[5:8], v22, s[0:1]
	s_lshr_b32 s1, s2, 16
	s_and_b32 s2, s2, 0xffff
	v_mad_u32_u24 v0, v0, s1, v10
	s_mov_b32 s17, s23
	v_cmp_eq_u32_e64 s0, 3, v13
	v_cmp_eq_u32_e64 s1, 2, v13
	v_and_b32_e32 v24, 28, v12
	v_mad_u64_u32 v[10:11], null, v0, s2, v[9:10]
	v_and_b32_e32 v11, 0xe0, v9
	v_cmp_eq_u32_e64 s2, 1, v13
	v_add_nc_u32_e32 v13, -1, v12
	v_and_b32_e32 v0, 15, v12
	v_lshrrev_b32_e32 v29, 5, v10
	v_min_u32_e32 v10, 0xa0, v11
	s_delay_alu instid0(VALU_DEP_4)
	v_cmp_gt_i32_e32 vcc_lo, 0, v13
	v_lshlrev_b32_e32 v23, 2, v9
	v_cmp_eq_u32_e64 s3, 0, v0
	v_cmp_lt_u32_e64 s4, 1, v0
	v_or_b32_e32 v10, 31, v10
	v_cmp_lt_u32_e64 s5, 3, v0
	v_cmp_lt_u32_e64 s6, 7, v0
	v_cndmask_b32_e32 v0, v13, v12, vcc_lo
	v_and_b32_e32 v11, 16, v12
	v_cmp_eq_u32_e64 s8, v10, v9
	v_lshrrev_b32_e32 v10, 3, v9
	s_delay_alu instid0(VALU_DEP_4) | instskip(SKIP_2) | instid1(VALU_DEP_4)
	v_lshlrev_b32_e32 v30, 2, v0
	v_and_b32_e32 v0, 7, v12
	v_cmp_eq_u32_e64 s7, 0, v11
	v_and_b32_e32 v31, 28, v10
	v_and_or_b32 v10, 0x380, v23, v12
	v_mov_b32_e32 v12, s16
	v_cmp_eq_u32_e64 s13, 0, v0
	v_cmp_lt_u32_e64 s14, 1, v0
	v_cmp_lt_u32_e64 s15, 3, v0
	v_lshlrev_b32_e32 v34, 3, v10
	v_mov_b32_e32 v10, s22
	v_cmp_gt_u32_e64 s9, 6, v9
	v_cmp_lt_u32_e64 s10, 31, v9
	v_cmp_eq_u32_e64 s12, 0, v9
	v_add_nc_u32_e32 v33, -4, v31
	v_mov_b32_e32 v11, s23
	v_or_b32_e32 v28, 24, v22
	v_mad_i32_i24 v32, 0xffffffe4, v9, v22
	v_mov_b32_e32 v13, s17
	v_or_b32_e32 v25, 32, v24
	v_or_b32_e32 v26, 64, v24
	;; [unrolled: 1-line block ×3, first 2 shown]
	s_branch .LBB308_2
.LBB308_1:                              ;   in Loop: Header=BB308_2 Depth=1
	v_lshlrev_b32_e32 v0, 3, v38
	v_lshlrev_b32_e32 v1, 3, v36
	v_lshlrev_b32_e32 v2, 3, v35
	s_barrier
	buffer_gl0_inv
	v_lshlrev_b32_e32 v3, 3, v8
	ds_store_b64 v0, v[14:15]
	ds_store_b64 v1, v[20:21]
	;; [unrolled: 1-line block ×3, first 2 shown]
	v_add_nc_u32_e32 v0, v32, v23
	s_add_i32 s23, s23, 1
	ds_store_b64 v3, v[16:17]
	s_waitcnt lgkmcnt(0)
	s_barrier
	buffer_gl0_inv
	ds_load_2addr_stride64_b64 v[5:8], v0 offset1:3
	ds_load_2addr_stride64_b64 v[1:4], v0 offset0:6 offset1:9
	s_cmp_eq_u32 s23, 10
	s_waitcnt lgkmcnt(1)
	v_xor_b32_e32 v6, 0x80000000, v6
	v_xor_b32_e32 v8, 0x80000000, v8
	s_waitcnt lgkmcnt(0)
	v_xor_b32_e32 v2, 0x80000000, v2
	v_xor_b32_e32 v4, 0x80000000, v4
	s_cbranch_scc1 .LBB308_20
.LBB308_2:                              ; =>This Loop Header: Depth=1
                                        ;     Child Loop BB308_4 Depth 2
	s_waitcnt vmcnt(0)
	v_xor_b32_e32 v0, 0x80000000, v6
	v_xor_b32_e32 v6, 0x80000000, v8
	ds_bpermute_b32 v8, v24, v5
	ds_bpermute_b32 v14, v24, v7
	v_xor_b32_e32 v2, 0x80000000, v2
	ds_bpermute_b32 v15, v24, v0
	ds_bpermute_b32 v16, v24, v6
	ds_bpermute_b32 v17, v24, v1
	ds_bpermute_b32 v18, v25, v0
	ds_bpermute_b32 v19, v25, v6
	ds_bpermute_b32 v20, v24, v2
	ds_bpermute_b32 v35, v25, v5
	ds_bpermute_b32 v36, v25, v7
	ds_bpermute_b32 v38, v26, v5
	ds_bpermute_b32 v39, v26, v7
	ds_bpermute_b32 v5, v27, v5
	ds_bpermute_b32 v7, v27, v7
	ds_bpermute_b32 v41, v25, v2
	ds_bpermute_b32 v42, v26, v0
	v_xor_b32_e32 v4, 0x80000000, v4
	ds_bpermute_b32 v37, v25, v1
	ds_bpermute_b32 v43, v27, v2
	;; [unrolled: 1-line block ×3, first 2 shown]
	s_waitcnt lgkmcnt(17)
	v_cndmask_b32_e64 v8, v8, v14, s2
	ds_bpermute_b32 v14, v26, v6
	ds_bpermute_b32 v6, v27, v6
	s_waitcnt lgkmcnt(17)
	v_cndmask_b32_e64 v15, v15, v16, s2
	ds_bpermute_b32 v16, v27, v0
	s_waitcnt lgkmcnt(17)
	v_cndmask_b32_e64 v0, v8, v17, s1
	s_waitcnt lgkmcnt(15)
	v_cndmask_b32_e64 v8, v18, v19, s2
	ds_bpermute_b32 v18, v26, v1
	s_waitcnt lgkmcnt(15)
	v_cndmask_b32_e64 v15, v15, v20, s1
	ds_bpermute_b32 v19, v26, v2
	ds_bpermute_b32 v20, v27, v1
	;; [unrolled: 1-line block ×9, first 2 shown]
	s_waitcnt lgkmcnt(22)
	v_cndmask_b32_e64 v2, v35, v36, s2
	s_waitcnt lgkmcnt(17)
	v_cndmask_b32_e64 v3, v8, v41, s1
	v_cndmask_b32_e64 v4, v38, v39, s2
	s_waitcnt lgkmcnt(12)
	v_cndmask_b32_e64 v8, v42, v14, s2
	v_cndmask_b32_e64 v5, v5, v7, s2
	;; [unrolled: 1-line block ×3, first 2 shown]
	s_waitcnt lgkmcnt(10)
	v_cndmask_b32_e64 v6, v16, v6, s2
	v_cndmask_b32_e64 v0, v0, v21, s0
	s_mov_b64 s[24:25], 0
	s_waitcnt lgkmcnt(9)
	v_cndmask_b32_e64 v4, v4, v18, s1
	s_waitcnt lgkmcnt(0)
	v_cndmask_b32_e64 v7, v8, v19, s1
	v_cndmask_b32_e64 v8, v5, v20, s1
	;; [unrolled: 1-line block ×10, first 2 shown]
	s_barrier
	s_branch .LBB308_4
.LBB308_3:                              ;   in Loop: Header=BB308_4 Depth=2
	v_lshlrev_b32_e32 v0, 3, v38
	v_lshlrev_b32_e32 v1, 3, v36
	;; [unrolled: 1-line block ×4, first 2 shown]
	s_barrier
	buffer_gl0_inv
	ds_store_b64 v0, v[14:15]
	ds_store_b64 v1, v[20:21]
	;; [unrolled: 1-line block ×4, first 2 shown]
	s_waitcnt lgkmcnt(0)
	s_barrier
	buffer_gl0_inv
	ds_load_2addr_b64 v[0:3], v34 offset1:32
	ds_load_2addr_b64 v[4:7], v34 offset0:64 offset1:96
	s_add_u32 s24, s24, 8
	s_addc_u32 s25, s25, 0
	s_waitcnt lgkmcnt(0)
	s_barrier
	s_cbranch_execz .LBB308_1
.LBB308_4:                              ;   Parent Loop BB308_2 Depth=1
                                        ; =>  This Inner Loop Header: Depth=2
	v_dual_mov_b32 v15, v1 :: v_dual_mov_b32 v14, v0
	buffer_gl0_inv
	ds_store_2addr_b64 v22, v[10:11], v[12:13] offset0:3 offset1:4
	ds_store_2addr_b64 v28, v[10:11], v[12:13] offset0:2 offset1:3
	s_waitcnt lgkmcnt(0)
	s_barrier
	v_lshrrev_b64 v[35:36], s24, v[14:15]
	buffer_gl0_inv
	; wave barrier
	v_and_b32_e32 v0, 1, v35
	v_lshlrev_b32_e32 v1, 30, v35
	v_lshlrev_b32_e32 v8, 29, v35
	;; [unrolled: 1-line block ×4, first 2 shown]
	v_add_co_u32 v0, s16, v0, -1
	s_delay_alu instid0(VALU_DEP_1)
	v_cndmask_b32_e64 v17, 0, 1, s16
	v_not_b32_e32 v21, v1
	v_cmp_gt_i32_e64 s16, 0, v1
	v_not_b32_e32 v1, v8
	v_lshlrev_b32_e32 v19, 26, v35
	v_cmp_ne_u32_e32 vcc_lo, 0, v17
	v_ashrrev_i32_e32 v21, 31, v21
	v_lshlrev_b32_e32 v20, 25, v35
	v_ashrrev_i32_e32 v1, 31, v1
	v_lshlrev_b32_e32 v17, 24, v35
	v_xor_b32_e32 v0, vcc_lo, v0
	v_cmp_gt_i32_e32 vcc_lo, 0, v8
	v_not_b32_e32 v8, v16
	v_xor_b32_e32 v21, s16, v21
	v_cmp_gt_i32_e64 s16, 0, v16
	v_and_b32_e32 v0, exec_lo, v0
	v_not_b32_e32 v16, v18
	v_ashrrev_i32_e32 v8, 31, v8
	v_xor_b32_e32 v1, vcc_lo, v1
	v_cmp_gt_i32_e32 vcc_lo, 0, v18
	v_and_b32_e32 v0, v0, v21
	v_not_b32_e32 v18, v19
	v_ashrrev_i32_e32 v16, 31, v16
	v_xor_b32_e32 v8, s16, v8
	v_cmp_gt_i32_e64 s16, 0, v19
	v_and_b32_e32 v0, v0, v1
	v_not_b32_e32 v1, v20
	v_ashrrev_i32_e32 v18, 31, v18
	v_xor_b32_e32 v16, vcc_lo, v16
	v_cmp_gt_i32_e32 vcc_lo, 0, v20
	v_dual_mov_b32 v21, v3 :: v_dual_and_b32 v0, v0, v8
	v_mov_b32_e32 v20, v2
	v_not_b32_e32 v8, v17
	v_ashrrev_i32_e32 v1, 31, v1
	v_xor_b32_e32 v18, s16, v18
	v_and_b32_e32 v0, v0, v16
	v_cmp_gt_i32_e64 s16, 0, v17
	v_ashrrev_i32_e32 v8, 31, v8
	v_xor_b32_e32 v1, vcc_lo, v1
	s_delay_alu instid0(VALU_DEP_4) | instskip(SKIP_1) | instid1(VALU_DEP_4)
	v_dual_mov_b32 v17, v7 :: v_dual_and_b32 v0, v0, v18
	v_mov_b32_e32 v19, v5
	v_xor_b32_e32 v8, s16, v8
	v_mov_b32_e32 v16, v6
	v_mov_b32_e32 v18, v4
	v_and_b32_e32 v0, v0, v1
	v_and_b32_e32 v1, 0xff, v35
	s_delay_alu instid0(VALU_DEP_2) | instskip(NEXT) | instid1(VALU_DEP_2)
	v_and_b32_e32 v0, v0, v8
	v_mad_u32_u24 v1, v1, 6, v29
	s_delay_alu instid0(VALU_DEP_2) | instskip(SKIP_1) | instid1(VALU_DEP_3)
	v_mbcnt_lo_u32_b32 v8, v0, 0
	v_cmp_ne_u32_e64 s16, 0, v0
	v_lshl_add_u32 v35, v1, 2, 24
	s_delay_alu instid0(VALU_DEP_3) | instskip(NEXT) | instid1(VALU_DEP_3)
	v_cmp_eq_u32_e32 vcc_lo, 0, v8
	s_and_b32 s17, s16, vcc_lo
	s_delay_alu instid0(SALU_CYCLE_1)
	s_and_saveexec_b32 s16, s17
	s_cbranch_execz .LBB308_6
; %bb.5:                                ;   in Loop: Header=BB308_4 Depth=2
	v_bcnt_u32_b32 v0, v0, 0
	ds_store_b32 v35, v0
.LBB308_6:                              ;   in Loop: Header=BB308_4 Depth=2
	s_or_b32 exec_lo, exec_lo, s16
	v_lshrrev_b64 v[0:1], s24, v[20:21]
	; wave barrier
	s_delay_alu instid0(VALU_DEP_1)
	v_and_b32_e32 v2, 1, v0
	v_lshlrev_b32_e32 v3, 30, v0
	v_lshlrev_b32_e32 v4, 29, v0
	;; [unrolled: 1-line block ×4, first 2 shown]
	v_add_co_u32 v2, s16, v2, -1
	s_delay_alu instid0(VALU_DEP_1)
	v_cndmask_b32_e64 v6, 0, 1, s16
	v_not_b32_e32 v38, v3
	v_cmp_gt_i32_e64 s16, 0, v3
	v_not_b32_e32 v3, v4
	v_lshlrev_b32_e32 v36, 26, v0
	v_cmp_ne_u32_e32 vcc_lo, 0, v6
	v_ashrrev_i32_e32 v6, 31, v38
	v_lshlrev_b32_e32 v37, 25, v0
	v_ashrrev_i32_e32 v3, 31, v3
	v_and_b32_e32 v1, 0xff, v0
	v_xor_b32_e32 v2, vcc_lo, v2
	v_cmp_gt_i32_e32 vcc_lo, 0, v4
	v_not_b32_e32 v4, v5
	v_xor_b32_e32 v6, s16, v6
	v_cmp_gt_i32_e64 s16, 0, v5
	v_and_b32_e32 v2, exec_lo, v2
	v_not_b32_e32 v5, v7
	v_ashrrev_i32_e32 v4, 31, v4
	v_xor_b32_e32 v3, vcc_lo, v3
	v_cmp_gt_i32_e32 vcc_lo, 0, v7
	v_and_b32_e32 v2, v2, v6
	v_not_b32_e32 v6, v36
	v_ashrrev_i32_e32 v5, 31, v5
	v_xor_b32_e32 v4, s16, v4
	v_lshlrev_b32_e32 v0, 24, v0
	v_and_b32_e32 v2, v2, v3
	v_cmp_gt_i32_e64 s16, 0, v36
	v_not_b32_e32 v3, v37
	v_ashrrev_i32_e32 v6, 31, v6
	v_xor_b32_e32 v5, vcc_lo, v5
	v_and_b32_e32 v2, v2, v4
	v_cmp_gt_i32_e32 vcc_lo, 0, v37
	v_not_b32_e32 v4, v0
	v_ashrrev_i32_e32 v3, 31, v3
	v_xor_b32_e32 v6, s16, v6
	v_and_b32_e32 v2, v2, v5
	v_mul_u32_u24_e32 v1, 6, v1
	v_cmp_gt_i32_e64 s16, 0, v0
	v_ashrrev_i32_e32 v0, 31, v4
	v_xor_b32_e32 v3, vcc_lo, v3
	v_and_b32_e32 v2, v2, v6
	v_add_lshl_u32 v1, v1, v29, 2
	s_delay_alu instid0(VALU_DEP_4) | instskip(NEXT) | instid1(VALU_DEP_3)
	v_xor_b32_e32 v0, s16, v0
	v_and_b32_e32 v2, v2, v3
	ds_load_b32 v36, v1 offset:24
	v_add_nc_u32_e32 v38, 24, v1
	; wave barrier
	v_and_b32_e32 v0, v2, v0
	s_delay_alu instid0(VALU_DEP_1) | instskip(SKIP_1) | instid1(VALU_DEP_2)
	v_mbcnt_lo_u32_b32 v37, v0, 0
	v_cmp_ne_u32_e64 s16, 0, v0
	v_cmp_eq_u32_e32 vcc_lo, 0, v37
	s_delay_alu instid0(VALU_DEP_2) | instskip(NEXT) | instid1(SALU_CYCLE_1)
	s_and_b32 s17, s16, vcc_lo
	s_and_saveexec_b32 s16, s17
	s_cbranch_execz .LBB308_8
; %bb.7:                                ;   in Loop: Header=BB308_4 Depth=2
	s_waitcnt lgkmcnt(0)
	v_bcnt_u32_b32 v0, v0, v36
	ds_store_b32 v38, v0
.LBB308_8:                              ;   in Loop: Header=BB308_4 Depth=2
	s_or_b32 exec_lo, exec_lo, s16
	v_lshrrev_b64 v[0:1], s24, v[18:19]
	; wave barrier
	s_delay_alu instid0(VALU_DEP_1)
	v_and_b32_e32 v2, 1, v0
	v_lshlrev_b32_e32 v3, 30, v0
	v_lshlrev_b32_e32 v4, 29, v0
	;; [unrolled: 1-line block ×4, first 2 shown]
	v_add_co_u32 v2, s16, v2, -1
	s_delay_alu instid0(VALU_DEP_1)
	v_cndmask_b32_e64 v6, 0, 1, s16
	v_not_b32_e32 v41, v3
	v_cmp_gt_i32_e64 s16, 0, v3
	v_not_b32_e32 v3, v4
	v_lshlrev_b32_e32 v39, 26, v0
	v_cmp_ne_u32_e32 vcc_lo, 0, v6
	v_ashrrev_i32_e32 v6, 31, v41
	v_lshlrev_b32_e32 v40, 25, v0
	v_ashrrev_i32_e32 v3, 31, v3
	v_and_b32_e32 v1, 0xff, v0
	v_xor_b32_e32 v2, vcc_lo, v2
	v_cmp_gt_i32_e32 vcc_lo, 0, v4
	v_not_b32_e32 v4, v5
	v_xor_b32_e32 v6, s16, v6
	v_cmp_gt_i32_e64 s16, 0, v5
	v_and_b32_e32 v2, exec_lo, v2
	v_not_b32_e32 v5, v7
	v_ashrrev_i32_e32 v4, 31, v4
	v_xor_b32_e32 v3, vcc_lo, v3
	v_cmp_gt_i32_e32 vcc_lo, 0, v7
	v_and_b32_e32 v2, v2, v6
	v_not_b32_e32 v6, v39
	v_ashrrev_i32_e32 v5, 31, v5
	v_xor_b32_e32 v4, s16, v4
	v_lshlrev_b32_e32 v0, 24, v0
	v_and_b32_e32 v2, v2, v3
	v_cmp_gt_i32_e64 s16, 0, v39
	v_not_b32_e32 v3, v40
	v_ashrrev_i32_e32 v6, 31, v6
	v_xor_b32_e32 v5, vcc_lo, v5
	v_and_b32_e32 v2, v2, v4
	v_cmp_gt_i32_e32 vcc_lo, 0, v40
	v_not_b32_e32 v4, v0
	v_ashrrev_i32_e32 v3, 31, v3
	v_xor_b32_e32 v6, s16, v6
	v_and_b32_e32 v2, v2, v5
	v_mul_u32_u24_e32 v1, 6, v1
	v_cmp_gt_i32_e64 s16, 0, v0
	v_ashrrev_i32_e32 v0, 31, v4
	v_xor_b32_e32 v3, vcc_lo, v3
	v_and_b32_e32 v2, v2, v6
	v_add_lshl_u32 v1, v1, v29, 2
	s_delay_alu instid0(VALU_DEP_4) | instskip(NEXT) | instid1(VALU_DEP_3)
	v_xor_b32_e32 v0, s16, v0
	v_and_b32_e32 v2, v2, v3
	ds_load_b32 v39, v1 offset:24
	v_add_nc_u32_e32 v41, 24, v1
	; wave barrier
	v_and_b32_e32 v0, v2, v0
	s_delay_alu instid0(VALU_DEP_1) | instskip(SKIP_1) | instid1(VALU_DEP_2)
	v_mbcnt_lo_u32_b32 v40, v0, 0
	v_cmp_ne_u32_e64 s16, 0, v0
	v_cmp_eq_u32_e32 vcc_lo, 0, v40
	s_delay_alu instid0(VALU_DEP_2) | instskip(NEXT) | instid1(SALU_CYCLE_1)
	s_and_b32 s17, s16, vcc_lo
	s_and_saveexec_b32 s16, s17
	s_cbranch_execz .LBB308_10
; %bb.9:                                ;   in Loop: Header=BB308_4 Depth=2
	s_waitcnt lgkmcnt(0)
	v_bcnt_u32_b32 v0, v0, v39
	ds_store_b32 v41, v0
.LBB308_10:                             ;   in Loop: Header=BB308_4 Depth=2
	s_or_b32 exec_lo, exec_lo, s16
	v_lshrrev_b64 v[0:1], s24, v[16:17]
	; wave barrier
	s_delay_alu instid0(VALU_DEP_1)
	v_and_b32_e32 v2, 1, v0
	v_lshlrev_b32_e32 v3, 30, v0
	v_lshlrev_b32_e32 v4, 29, v0
	;; [unrolled: 1-line block ×4, first 2 shown]
	v_add_co_u32 v2, s16, v2, -1
	s_delay_alu instid0(VALU_DEP_1)
	v_cndmask_b32_e64 v6, 0, 1, s16
	v_not_b32_e32 v44, v3
	v_cmp_gt_i32_e64 s16, 0, v3
	v_not_b32_e32 v3, v4
	v_lshlrev_b32_e32 v42, 26, v0
	v_cmp_ne_u32_e32 vcc_lo, 0, v6
	v_ashrrev_i32_e32 v6, 31, v44
	v_lshlrev_b32_e32 v43, 25, v0
	v_ashrrev_i32_e32 v3, 31, v3
	v_and_b32_e32 v1, 0xff, v0
	v_xor_b32_e32 v2, vcc_lo, v2
	v_cmp_gt_i32_e32 vcc_lo, 0, v4
	v_not_b32_e32 v4, v5
	v_xor_b32_e32 v6, s16, v6
	v_cmp_gt_i32_e64 s16, 0, v5
	v_and_b32_e32 v2, exec_lo, v2
	v_not_b32_e32 v5, v7
	v_ashrrev_i32_e32 v4, 31, v4
	v_xor_b32_e32 v3, vcc_lo, v3
	v_cmp_gt_i32_e32 vcc_lo, 0, v7
	v_and_b32_e32 v2, v2, v6
	v_not_b32_e32 v6, v42
	v_ashrrev_i32_e32 v5, 31, v5
	v_xor_b32_e32 v4, s16, v4
	v_lshlrev_b32_e32 v0, 24, v0
	v_and_b32_e32 v2, v2, v3
	v_cmp_gt_i32_e64 s16, 0, v42
	v_not_b32_e32 v3, v43
	v_ashrrev_i32_e32 v6, 31, v6
	v_xor_b32_e32 v5, vcc_lo, v5
	v_and_b32_e32 v2, v2, v4
	v_cmp_gt_i32_e32 vcc_lo, 0, v43
	v_not_b32_e32 v4, v0
	v_ashrrev_i32_e32 v3, 31, v3
	v_xor_b32_e32 v6, s16, v6
	v_and_b32_e32 v2, v2, v5
	v_mul_u32_u24_e32 v1, 6, v1
	v_cmp_gt_i32_e64 s16, 0, v0
	v_ashrrev_i32_e32 v0, 31, v4
	v_xor_b32_e32 v3, vcc_lo, v3
	v_and_b32_e32 v2, v2, v6
	v_add_lshl_u32 v1, v1, v29, 2
	s_delay_alu instid0(VALU_DEP_4) | instskip(NEXT) | instid1(VALU_DEP_3)
	v_xor_b32_e32 v0, s16, v0
	v_and_b32_e32 v2, v2, v3
	ds_load_b32 v42, v1 offset:24
	v_add_nc_u32_e32 v44, 24, v1
	; wave barrier
	v_and_b32_e32 v0, v2, v0
	s_delay_alu instid0(VALU_DEP_1) | instskip(SKIP_1) | instid1(VALU_DEP_2)
	v_mbcnt_lo_u32_b32 v43, v0, 0
	v_cmp_ne_u32_e64 s16, 0, v0
	v_cmp_eq_u32_e32 vcc_lo, 0, v43
	s_delay_alu instid0(VALU_DEP_2) | instskip(NEXT) | instid1(SALU_CYCLE_1)
	s_and_b32 s17, s16, vcc_lo
	s_and_saveexec_b32 s16, s17
	s_cbranch_execz .LBB308_12
; %bb.11:                               ;   in Loop: Header=BB308_4 Depth=2
	s_waitcnt lgkmcnt(0)
	v_bcnt_u32_b32 v0, v0, v42
	ds_store_b32 v44, v0
.LBB308_12:                             ;   in Loop: Header=BB308_4 Depth=2
	s_or_b32 exec_lo, exec_lo, s16
	; wave barrier
	s_waitcnt lgkmcnt(0)
	s_barrier
	buffer_gl0_inv
	ds_load_2addr_b64 v[4:7], v22 offset0:3 offset1:4
	ds_load_2addr_b64 v[0:3], v28 offset0:2 offset1:3
	s_waitcnt lgkmcnt(1)
	v_add_nc_u32_e32 v45, v5, v4
	s_delay_alu instid0(VALU_DEP_1) | instskip(SKIP_1) | instid1(VALU_DEP_1)
	v_add3_u32 v45, v45, v6, v7
	s_waitcnt lgkmcnt(0)
	v_add3_u32 v45, v45, v0, v1
	s_delay_alu instid0(VALU_DEP_1) | instskip(NEXT) | instid1(VALU_DEP_1)
	v_add3_u32 v3, v45, v2, v3
	v_mov_b32_dpp v45, v3 row_shr:1 row_mask:0xf bank_mask:0xf
	s_delay_alu instid0(VALU_DEP_1) | instskip(NEXT) | instid1(VALU_DEP_1)
	v_cndmask_b32_e64 v45, v45, 0, s3
	v_add_nc_u32_e32 v3, v45, v3
	s_delay_alu instid0(VALU_DEP_1) | instskip(NEXT) | instid1(VALU_DEP_1)
	v_mov_b32_dpp v45, v3 row_shr:2 row_mask:0xf bank_mask:0xf
	v_cndmask_b32_e64 v45, 0, v45, s4
	s_delay_alu instid0(VALU_DEP_1) | instskip(NEXT) | instid1(VALU_DEP_1)
	v_add_nc_u32_e32 v3, v3, v45
	v_mov_b32_dpp v45, v3 row_shr:4 row_mask:0xf bank_mask:0xf
	s_delay_alu instid0(VALU_DEP_1) | instskip(NEXT) | instid1(VALU_DEP_1)
	v_cndmask_b32_e64 v45, 0, v45, s5
	v_add_nc_u32_e32 v3, v3, v45
	s_delay_alu instid0(VALU_DEP_1) | instskip(NEXT) | instid1(VALU_DEP_1)
	v_mov_b32_dpp v45, v3 row_shr:8 row_mask:0xf bank_mask:0xf
	v_cndmask_b32_e64 v45, 0, v45, s6
	s_delay_alu instid0(VALU_DEP_1) | instskip(SKIP_3) | instid1(VALU_DEP_1)
	v_add_nc_u32_e32 v3, v3, v45
	ds_swizzle_b32 v45, v3 offset:swizzle(BROADCAST,32,15)
	s_waitcnt lgkmcnt(0)
	v_cndmask_b32_e64 v45, v45, 0, s7
	v_add_nc_u32_e32 v3, v3, v45
	s_and_saveexec_b32 s16, s8
	s_cbranch_execz .LBB308_14
; %bb.13:                               ;   in Loop: Header=BB308_4 Depth=2
	ds_store_b32 v31, v3
.LBB308_14:                             ;   in Loop: Header=BB308_4 Depth=2
	s_or_b32 exec_lo, exec_lo, s16
	s_waitcnt lgkmcnt(0)
	s_barrier
	buffer_gl0_inv
	s_and_saveexec_b32 s16, s9
	s_cbranch_execz .LBB308_16
; %bb.15:                               ;   in Loop: Header=BB308_4 Depth=2
	ds_load_b32 v45, v32
	s_waitcnt lgkmcnt(0)
	v_mov_b32_dpp v46, v45 row_shr:1 row_mask:0xf bank_mask:0xf
	s_delay_alu instid0(VALU_DEP_1) | instskip(NEXT) | instid1(VALU_DEP_1)
	v_cndmask_b32_e64 v46, v46, 0, s13
	v_add_nc_u32_e32 v45, v46, v45
	s_delay_alu instid0(VALU_DEP_1) | instskip(NEXT) | instid1(VALU_DEP_1)
	v_mov_b32_dpp v46, v45 row_shr:2 row_mask:0xf bank_mask:0xf
	v_cndmask_b32_e64 v46, 0, v46, s14
	s_delay_alu instid0(VALU_DEP_1) | instskip(NEXT) | instid1(VALU_DEP_1)
	v_add_nc_u32_e32 v45, v45, v46
	v_mov_b32_dpp v46, v45 row_shr:4 row_mask:0xf bank_mask:0xf
	s_delay_alu instid0(VALU_DEP_1) | instskip(NEXT) | instid1(VALU_DEP_1)
	v_cndmask_b32_e64 v46, 0, v46, s15
	v_add_nc_u32_e32 v45, v45, v46
	ds_store_b32 v32, v45
.LBB308_16:                             ;   in Loop: Header=BB308_4 Depth=2
	s_or_b32 exec_lo, exec_lo, s16
	v_mov_b32_e32 v45, 0
	s_waitcnt lgkmcnt(0)
	s_barrier
	buffer_gl0_inv
	s_and_saveexec_b32 s16, s10
	s_cbranch_execz .LBB308_18
; %bb.17:                               ;   in Loop: Header=BB308_4 Depth=2
	ds_load_b32 v45, v33
.LBB308_18:                             ;   in Loop: Header=BB308_4 Depth=2
	s_or_b32 exec_lo, exec_lo, s16
	s_waitcnt lgkmcnt(0)
	v_add_nc_u32_e32 v3, v45, v3
	s_cmp_gt_u32 s24, 55
	ds_bpermute_b32 v3, v30, v3
	s_waitcnt lgkmcnt(0)
	v_cndmask_b32_e64 v3, v3, v45, s11
	s_delay_alu instid0(VALU_DEP_1) | instskip(NEXT) | instid1(VALU_DEP_1)
	v_cndmask_b32_e64 v3, v3, 0, s12
	v_add_nc_u32_e32 v4, v3, v4
	s_delay_alu instid0(VALU_DEP_1) | instskip(NEXT) | instid1(VALU_DEP_1)
	v_add_nc_u32_e32 v5, v4, v5
	v_add_nc_u32_e32 v6, v5, v6
	s_delay_alu instid0(VALU_DEP_1) | instskip(NEXT) | instid1(VALU_DEP_1)
	v_add_nc_u32_e32 v45, v6, v7
	;; [unrolled: 3-line block ×3, first 2 shown]
	v_add_nc_u32_e32 v1, v0, v2
	ds_store_2addr_b64 v22, v[3:4], v[5:6] offset0:3 offset1:4
	ds_store_2addr_b64 v28, v[45:46], v[0:1] offset0:2 offset1:3
	s_waitcnt lgkmcnt(0)
	s_barrier
	buffer_gl0_inv
	ds_load_b32 v0, v35
	ds_load_b32 v1, v38
	;; [unrolled: 1-line block ×4, first 2 shown]
	s_waitcnt lgkmcnt(3)
	v_add_nc_u32_e32 v38, v0, v8
	s_waitcnt lgkmcnt(2)
	v_add3_u32 v36, v37, v36, v1
	s_waitcnt lgkmcnt(1)
	v_add3_u32 v35, v40, v39, v2
	s_waitcnt lgkmcnt(0)
	v_add3_u32 v8, v43, v42, v3
	s_cbranch_scc0 .LBB308_3
; %bb.19:                               ;   in Loop: Header=BB308_2 Depth=1
                                        ; implicit-def: $vgpr6_vgpr7
                                        ; implicit-def: $vgpr2_vgpr3
                                        ; implicit-def: $sgpr24_sgpr25
	s_branch .LBB308_1
.LBB308_20:
	v_lshlrev_b32_e32 v0, 3, v9
	s_add_u32 s0, s18, s20
	s_addc_u32 s1, s19, s21
	s_delay_alu instid0(VALU_DEP_1) | instskip(NEXT) | instid1(VALU_DEP_1)
	v_add_co_u32 v9, s2, s0, v0
	v_add_co_ci_u32_e64 v10, null, s1, 0, s2
	s_delay_alu instid0(VALU_DEP_2) | instskip(NEXT) | instid1(VALU_DEP_2)
	v_add_co_u32 v9, vcc_lo, 0x1000, v9
	v_add_co_ci_u32_e32 v10, vcc_lo, 0, v10, vcc_lo
	s_clause 0x3
	global_store_b64 v0, v[5:6], s[0:1]
	global_store_b64 v0, v[7:8], s[0:1] offset:1536
	global_store_b64 v0, v[1:2], s[0:1] offset:3072
	global_store_b64 v[9:10], v[3:4], off offset:512
	s_nop 0
	s_sendmsg sendmsg(MSG_DEALLOC_VGPRS)
	s_endpgm
	.section	.rodata,"a",@progbits
	.p2align	6, 0x0
	.amdhsa_kernel _Z16sort_keys_kernelI22helper_blocked_stripedxLj192ELj4ELj10EEvPKT0_PS1_
		.amdhsa_group_segment_fixed_size 6176
		.amdhsa_private_segment_fixed_size 0
		.amdhsa_kernarg_size 272
		.amdhsa_user_sgpr_count 15
		.amdhsa_user_sgpr_dispatch_ptr 0
		.amdhsa_user_sgpr_queue_ptr 0
		.amdhsa_user_sgpr_kernarg_segment_ptr 1
		.amdhsa_user_sgpr_dispatch_id 0
		.amdhsa_user_sgpr_private_segment_size 0
		.amdhsa_wavefront_size32 1
		.amdhsa_uses_dynamic_stack 0
		.amdhsa_enable_private_segment 0
		.amdhsa_system_sgpr_workgroup_id_x 1
		.amdhsa_system_sgpr_workgroup_id_y 0
		.amdhsa_system_sgpr_workgroup_id_z 0
		.amdhsa_system_sgpr_workgroup_info 0
		.amdhsa_system_vgpr_workitem_id 2
		.amdhsa_next_free_vgpr 49
		.amdhsa_next_free_sgpr 26
		.amdhsa_reserve_vcc 1
		.amdhsa_float_round_mode_32 0
		.amdhsa_float_round_mode_16_64 0
		.amdhsa_float_denorm_mode_32 3
		.amdhsa_float_denorm_mode_16_64 3
		.amdhsa_dx10_clamp 1
		.amdhsa_ieee_mode 1
		.amdhsa_fp16_overflow 0
		.amdhsa_workgroup_processor_mode 1
		.amdhsa_memory_ordered 1
		.amdhsa_forward_progress 0
		.amdhsa_shared_vgpr_count 0
		.amdhsa_exception_fp_ieee_invalid_op 0
		.amdhsa_exception_fp_denorm_src 0
		.amdhsa_exception_fp_ieee_div_zero 0
		.amdhsa_exception_fp_ieee_overflow 0
		.amdhsa_exception_fp_ieee_underflow 0
		.amdhsa_exception_fp_ieee_inexact 0
		.amdhsa_exception_int_div_zero 0
	.end_amdhsa_kernel
	.section	.text._Z16sort_keys_kernelI22helper_blocked_stripedxLj192ELj4ELj10EEvPKT0_PS1_,"axG",@progbits,_Z16sort_keys_kernelI22helper_blocked_stripedxLj192ELj4ELj10EEvPKT0_PS1_,comdat
.Lfunc_end308:
	.size	_Z16sort_keys_kernelI22helper_blocked_stripedxLj192ELj4ELj10EEvPKT0_PS1_, .Lfunc_end308-_Z16sort_keys_kernelI22helper_blocked_stripedxLj192ELj4ELj10EEvPKT0_PS1_
                                        ; -- End function
	.section	.AMDGPU.csdata,"",@progbits
; Kernel info:
; codeLenInByte = 3308
; NumSgprs: 28
; NumVgprs: 49
; ScratchSize: 0
; MemoryBound: 0
; FloatMode: 240
; IeeeMode: 1
; LDSByteSize: 6176 bytes/workgroup (compile time only)
; SGPRBlocks: 3
; VGPRBlocks: 6
; NumSGPRsForWavesPerEU: 28
; NumVGPRsForWavesPerEU: 49
; Occupancy: 15
; WaveLimiterHint : 1
; COMPUTE_PGM_RSRC2:SCRATCH_EN: 0
; COMPUTE_PGM_RSRC2:USER_SGPR: 15
; COMPUTE_PGM_RSRC2:TRAP_HANDLER: 0
; COMPUTE_PGM_RSRC2:TGID_X_EN: 1
; COMPUTE_PGM_RSRC2:TGID_Y_EN: 0
; COMPUTE_PGM_RSRC2:TGID_Z_EN: 0
; COMPUTE_PGM_RSRC2:TIDIG_COMP_CNT: 2
	.section	.text._Z17sort_pairs_kernelI22helper_blocked_stripedxLj192ELj4ELj10EEvPKT0_PS1_,"axG",@progbits,_Z17sort_pairs_kernelI22helper_blocked_stripedxLj192ELj4ELj10EEvPKT0_PS1_,comdat
	.protected	_Z17sort_pairs_kernelI22helper_blocked_stripedxLj192ELj4ELj10EEvPKT0_PS1_ ; -- Begin function _Z17sort_pairs_kernelI22helper_blocked_stripedxLj192ELj4ELj10EEvPKT0_PS1_
	.globl	_Z17sort_pairs_kernelI22helper_blocked_stripedxLj192ELj4ELj10EEvPKT0_PS1_
	.p2align	8
	.type	_Z17sort_pairs_kernelI22helper_blocked_stripedxLj192ELj4ELj10EEvPKT0_PS1_,@function
_Z17sort_pairs_kernelI22helper_blocked_stripedxLj192ELj4ELj10EEvPKT0_PS1_: ; @_Z17sort_pairs_kernelI22helper_blocked_stripedxLj192ELj4ELj10EEvPKT0_PS1_
; %bb.0:
	s_load_b128 s[16:19], s[0:1], 0x0
	v_and_b32_e32 v18, 0x3ff, v0
	s_mov_b32 s23, 0
	s_mul_i32 s22, s15, 0x300
	s_load_b32 s15, s[0:1], 0x1c
	s_lshl_b64 s[20:21], s[22:23], 3
	v_lshlrev_b32_e32 v33, 5, v18
	v_mbcnt_lo_u32_b32 v10, -1, 0
	v_bfe_u32 v11, v0, 10, 10
	v_bfe_u32 v0, v0, 20, 10
	v_lshlrev_b32_e32 v35, 2, v18
	v_cmp_gt_u32_e64 s9, 6, v18
	v_and_b32_e32 v1, 3, v10
	v_and_b32_e32 v13, 16, v10
	v_add_nc_u32_e32 v14, -1, v10
	v_and_b32_e32 v12, 15, v10
	v_and_b32_e32 v15, 7, v10
	v_cmp_eq_u32_e64 s2, 2, v1
	v_cmp_eq_u32_e64 s3, 1, v1
	;; [unrolled: 1-line block ×3, first 2 shown]
	s_waitcnt lgkmcnt(0)
	s_add_u32 s0, s16, s20
	s_addc_u32 s1, s17, s21
	v_cmp_gt_i32_e32 vcc_lo, 0, v14
	s_clause 0x1
	global_load_b128 v[6:9], v33, s[0:1]
	global_load_b128 v[2:5], v33, s[0:1] offset:16
	v_cmp_eq_u32_e64 s1, 3, v1
	v_and_b32_e32 v1, 0xe0, v18
	v_lshrrev_b32_e32 v13, 3, v18
	s_lshr_b32 s16, s15, 16
	v_cmp_eq_u32_e64 s4, 0, v12
	v_mad_u32_u24 v11, v0, s16, v11
	v_cmp_lt_u32_e64 s5, 1, v12
	v_cmp_lt_u32_e64 s6, 3, v12
	;; [unrolled: 1-line block ×3, first 2 shown]
	v_and_b32_e32 v40, 28, v13
	v_cndmask_b32_e32 v12, v14, v10, vcc_lo
	v_min_u32_e32 v14, 0xa0, v1
	s_and_b32 s15, s15, 0xffff
	v_and_b32_e32 v34, 28, v10
	v_add_nc_u32_e32 v43, -4, v40
	v_mad_u64_u32 v[0:1], null, v11, s15, v[18:19]
	v_cmp_eq_u32_e64 s0, 0, v10
	v_and_or_b32 v1, 0x380, v35, v10
	v_or_b32_e32 v10, 31, v14
	v_cmp_eq_u32_e64 s12, 0, v15
	v_cmp_lt_u32_e64 s13, 1, v15
	v_cmp_lt_u32_e64 s14, 3, v15
	v_lshlrev_b32_e32 v41, 2, v12
	v_cmp_eq_u32_e64 s15, v10, v18
	v_or_b32_e32 v36, 32, v34
	v_or_b32_e32 v37, 64, v34
	;; [unrolled: 1-line block ×3, first 2 shown]
	v_cmp_lt_u32_e64 s10, 31, v18
	v_cmp_eq_u32_e64 s11, 0, v18
	v_or_b32_e32 v39, 24, v33
	v_mad_i32_i24 v42, 0xffffffe4, v18, v33
	v_lshlrev_b32_e32 v44, 3, v1
	v_lshrrev_b32_e32 v45, 5, v0
	s_mov_b32 s22, s23
	s_mov_b32 s24, s23
	s_mov_b32 s25, s23
	s_mov_b32 s17, s23
	s_waitcnt vmcnt(1)
	v_add_co_u32 v14, vcc_lo, v6, 1
	v_add_co_ci_u32_e32 v15, vcc_lo, 0, v7, vcc_lo
	v_add_co_u32 v16, vcc_lo, v8, 1
	v_add_co_ci_u32_e32 v17, vcc_lo, 0, v9, vcc_lo
	s_waitcnt vmcnt(0)
	v_add_co_u32 v10, vcc_lo, v2, 1
	v_add_co_ci_u32_e32 v11, vcc_lo, 0, v3, vcc_lo
	v_add_co_u32 v12, vcc_lo, v4, 1
	v_add_co_ci_u32_e32 v13, vcc_lo, 0, v5, vcc_lo
	s_branch .LBB309_2
.LBB309_1:                              ;   in Loop: Header=BB309_2 Depth=1
	v_lshlrev_b32_e32 v0, 3, v50
	s_delay_alu instid0(VALU_DEP_2)
	v_lshlrev_b32_e32 v11, 3, v46
	v_add_nc_u32_e32 v12, v42, v35
	v_lshlrev_b32_e32 v1, 3, v49
	v_lshlrev_b32_e32 v10, 3, v48
	s_barrier
	buffer_gl0_inv
	ds_store_b64 v0, v[16:17]
	ds_store_b64 v1, v[31:32]
	;; [unrolled: 1-line block ×4, first 2 shown]
	s_waitcnt lgkmcnt(0)
	s_barrier
	buffer_gl0_inv
	ds_load_2addr_stride64_b64 v[6:9], v12 offset1:3
	ds_load_2addr_stride64_b64 v[2:5], v12 offset0:6 offset1:9
	s_waitcnt lgkmcnt(0)
	s_barrier
	buffer_gl0_inv
	ds_store_b64 v0, v[23:24]
	ds_store_b64 v1, v[21:22]
	;; [unrolled: 1-line block ×4, first 2 shown]
	s_waitcnt lgkmcnt(0)
	s_barrier
	buffer_gl0_inv
	ds_load_2addr_stride64_b64 v[14:17], v12 offset1:3
	ds_load_2addr_stride64_b64 v[10:13], v12 offset0:6 offset1:9
	s_add_i32 s17, s17, 1
	s_delay_alu instid0(SALU_CYCLE_1)
	s_cmp_lg_u32 s17, 10
	v_xor_b32_e32 v7, 0x80000000, v7
	v_xor_b32_e32 v9, 0x80000000, v9
	;; [unrolled: 1-line block ×4, first 2 shown]
	s_cbranch_scc0 .LBB309_20
.LBB309_2:                              ; =>This Loop Header: Depth=1
                                        ;     Child Loop BB309_4 Depth 2
	v_xor_b32_e32 v7, 0x80000000, v7
	v_xor_b32_e32 v9, 0x80000000, v9
	ds_bpermute_b32 v0, v34, v6
	ds_bpermute_b32 v1, v34, v8
	v_xor_b32_e32 v3, 0x80000000, v3
	ds_bpermute_b32 v19, v34, v7
	ds_bpermute_b32 v20, v34, v9
	;; [unrolled: 1-line block ×6, first 2 shown]
	v_xor_b32_e32 v25, 0x80000000, v5
	ds_bpermute_b32 v5, v36, v6
	ds_bpermute_b32 v26, v36, v8
	ds_bpermute_b32 v27, v34, v4
	ds_bpermute_b32 v28, v36, v3
	ds_bpermute_b32 v29, v34, v25
	ds_bpermute_b32 v32, v37, v6
	ds_bpermute_b32 v46, v37, v8
	ds_bpermute_b32 v30, v36, v2
	ds_bpermute_b32 v6, v38, v6
	ds_bpermute_b32 v8, v38, v8
	ds_bpermute_b32 v31, v36, v4
	s_waitcnt lgkmcnt(17)
	v_cndmask_b32_e64 v0, v0, v1, s3
	ds_bpermute_b32 v47, v37, v2
	ds_bpermute_b32 v48, v37, v4
	s_waitcnt lgkmcnt(17)
	v_cndmask_b32_e64 v1, v19, v20, s3
	ds_bpermute_b32 v19, v37, v7
	ds_bpermute_b32 v20, v37, v9
	s_waitcnt lgkmcnt(18)
	v_cndmask_b32_e64 v0, v0, v21, s2
	s_waitcnt lgkmcnt(15)
	v_cndmask_b32_e64 v21, v23, v24, s3
	v_cndmask_b32_e64 v1, v1, v22, s2
	ds_bpermute_b32 v49, v36, v25
	s_waitcnt lgkmcnt(14)
	v_cndmask_b32_e64 v5, v5, v26, s3
	s_waitcnt lgkmcnt(13)
	v_cndmask_b32_e64 v0, v0, v27, s1
	;; [unrolled: 2-line block ×4, first 2 shown]
	ds_bpermute_b32 v7, v38, v7
	ds_bpermute_b32 v9, v38, v9
	;; [unrolled: 1-line block ×7, first 2 shown]
	s_waitcnt lgkmcnt(16)
	v_cndmask_b32_e64 v2, v32, v46, s3
	ds_bpermute_b32 v32, v38, v4
	ds_bpermute_b32 v22, v37, v3
	;; [unrolled: 1-line block ×3, first 2 shown]
	s_waitcnt lgkmcnt(11)
	v_cndmask_b32_e64 v4, v19, v20, s3
	ds_bpermute_b32 v19, v36, v14
	ds_bpermute_b32 v20, v36, v16
	;; [unrolled: 1-line block ×5, first 2 shown]
	v_cndmask_b32_e64 v3, v5, v30, s2
	v_cndmask_b32_e64 v6, v6, v8, s3
	;; [unrolled: 1-line block ×3, first 2 shown]
	ds_bpermute_b32 v30, v37, v17
	s_waitcnt lgkmcnt(14)
	v_cndmask_b32_e64 v7, v7, v9, s3
	v_cndmask_b32_e64 v2, v3, v31, s1
	;; [unrolled: 1-line block ×3, first 2 shown]
	s_waitcnt lgkmcnt(13)
	v_cndmask_b32_e64 v6, v6, v24, s2
	s_waitcnt lgkmcnt(10)
	v_cndmask_b32_e64 v8, v26, v28, s3
	;; [unrolled: 2-line block ×3, first 2 shown]
	ds_bpermute_b32 v21, v38, v25
	ds_bpermute_b32 v24, v36, v15
	;; [unrolled: 1-line block ×6, first 2 shown]
	s_waitcnt lgkmcnt(10)
	v_cndmask_b32_e64 v19, v19, v20, s3
	ds_bpermute_b32 v20, v36, v10
	ds_bpermute_b32 v14, v38, v14
	;; [unrolled: 1-line block ×5, first 2 shown]
	v_cndmask_b32_e64 v22, v4, v22, s2
	v_cndmask_b32_e64 v6, v6, v32, s1
	;; [unrolled: 1-line block ×3, first 2 shown]
	ds_bpermute_b32 v26, v36, v11
	ds_bpermute_b32 v32, v37, v11
	;; [unrolled: 1-line block ×5, first 2 shown]
	v_cndmask_b32_e64 v4, v5, v48, s1
	s_waitcnt lgkmcnt(19)
	v_cndmask_b32_e64 v5, v22, v23, s1
	s_waitcnt lgkmcnt(18)
	;; [unrolled: 2-line block ×3, first 2 shown]
	v_cndmask_b32_e64 v9, v9, v51, s2
	ds_bpermute_b32 v22, v34, v12
	ds_bpermute_b32 v23, v34, v13
	;; [unrolled: 1-line block ×8, first 2 shown]
	s_waitcnt lgkmcnt(21)
	v_cndmask_b32_e64 v11, v24, v25, s3
	s_waitcnt lgkmcnt(17)
	v_cndmask_b32_e64 v12, v19, v20, s2
	v_cndmask_b32_e64 v13, v28, v30, s3
	;; [unrolled: 1-line block ×3, first 2 shown]
	s_waitcnt lgkmcnt(14)
	v_cndmask_b32_e64 v15, v15, v17, s3
	s_waitcnt lgkmcnt(13)
	v_cndmask_b32_e64 v14, v14, v16, s3
	;; [unrolled: 2-line block ×7, first 2 shown]
	v_cndmask_b32_e64 v7, v7, v21, s1
	s_waitcnt lgkmcnt(7)
	v_cndmask_b32_e64 v8, v8, v22, s1
	s_waitcnt lgkmcnt(6)
	;; [unrolled: 2-line block ×8, first 2 shown]
	v_cndmask_b32_e64 v14, v14, v52, s1
	s_mov_b64 s[26:27], 0
	s_barrier
	s_branch .LBB309_4
.LBB309_3:                              ;   in Loop: Header=BB309_4 Depth=2
	v_lshlrev_b32_e32 v8, 3, v50
	v_lshlrev_b32_e32 v9, 3, v49
	;; [unrolled: 1-line block ×4, first 2 shown]
	s_barrier
	buffer_gl0_inv
	ds_store_b64 v8, v[16:17]
	ds_store_b64 v9, v[31:32]
	;; [unrolled: 1-line block ×4, first 2 shown]
	s_waitcnt lgkmcnt(0)
	s_barrier
	buffer_gl0_inv
	ds_load_2addr_b64 v[0:3], v44 offset1:32
	ds_load_2addr_b64 v[4:7], v44 offset0:64 offset1:96
	s_waitcnt lgkmcnt(0)
	s_barrier
	buffer_gl0_inv
	ds_store_b64 v8, v[23:24]
	ds_store_b64 v9, v[21:22]
	;; [unrolled: 1-line block ×4, first 2 shown]
	s_waitcnt lgkmcnt(0)
	s_barrier
	buffer_gl0_inv
	ds_load_2addr_b64 v[8:11], v44 offset1:32
	ds_load_2addr_b64 v[12:15], v44 offset0:64 offset1:96
	s_add_u32 s26, s26, 8
	s_addc_u32 s27, s27, 0
	s_waitcnt lgkmcnt(0)
	s_barrier
	s_cbranch_execz .LBB309_1
.LBB309_4:                              ;   Parent Loop BB309_2 Depth=1
                                        ; =>  This Inner Loop Header: Depth=2
	v_dual_mov_b32 v17, v1 :: v_dual_mov_b32 v16, v0
	buffer_gl0_inv
	v_mov_b32_e32 v28, v7
	v_mov_b32_e32 v30, v5
	;; [unrolled: 1-line block ×3, first 2 shown]
	v_lshrrev_b64 v[46:47], s26, v[16:17]
	v_mov_b32_e32 v27, v6
	v_mov_b32_e32 v29, v4
	s_delay_alu instid0(VALU_DEP_3)
	v_dual_mov_b32 v31, v2 :: v_dual_and_b32 v0, 1, v46
	v_lshlrev_b32_e32 v1, 30, v46
	v_lshlrev_b32_e32 v19, 29, v46
	;; [unrolled: 1-line block ×4, first 2 shown]
	v_add_co_u32 v0, s16, v0, -1
	s_delay_alu instid0(VALU_DEP_1)
	v_cndmask_b32_e64 v21, 0, 1, s16
	v_not_b32_e32 v25, v1
	v_cmp_gt_i32_e64 s16, 0, v1
	v_not_b32_e32 v1, v19
	v_lshlrev_b32_e32 v23, 26, v46
	v_cmp_ne_u32_e32 vcc_lo, 0, v21
	v_ashrrev_i32_e32 v25, 31, v25
	v_lshlrev_b32_e32 v24, 25, v46
	v_ashrrev_i32_e32 v1, 31, v1
	v_lshlrev_b32_e32 v21, 24, v46
	v_xor_b32_e32 v0, vcc_lo, v0
	v_cmp_gt_i32_e32 vcc_lo, 0, v19
	v_not_b32_e32 v19, v20
	v_xor_b32_e32 v25, s16, v25
	v_cmp_gt_i32_e64 s16, 0, v20
	v_and_b32_e32 v0, exec_lo, v0
	v_not_b32_e32 v20, v22
	v_ashrrev_i32_e32 v19, 31, v19
	v_xor_b32_e32 v1, vcc_lo, v1
	v_cmp_gt_i32_e32 vcc_lo, 0, v22
	v_and_b32_e32 v0, v0, v25
	v_not_b32_e32 v22, v23
	v_ashrrev_i32_e32 v20, 31, v20
	v_xor_b32_e32 v19, s16, v19
	v_cmp_gt_i32_e64 s16, 0, v23
	v_and_b32_e32 v0, v0, v1
	v_not_b32_e32 v1, v24
	v_ashrrev_i32_e32 v22, 31, v22
	v_xor_b32_e32 v20, vcc_lo, v20
	v_mov_b32_e32 v26, v15
	v_dual_mov_b32 v25, v14 :: v_dual_and_b32 v0, v0, v19
	v_cmp_gt_i32_e32 vcc_lo, 0, v24
	v_ashrrev_i32_e32 v1, 31, v1
	v_xor_b32_e32 v22, s16, v22
	s_delay_alu instid0(VALU_DEP_4)
	v_and_b32_e32 v0, v0, v20
	v_mov_b32_e32 v24, v9
	v_not_b32_e32 v19, v21
	v_cmp_gt_i32_e64 s16, 0, v21
	v_xor_b32_e32 v1, vcc_lo, v1
	v_and_b32_e32 v0, v0, v22
	v_and_b32_e32 v5, 0xff, v46
	v_ashrrev_i32_e32 v19, 31, v19
	v_dual_mov_b32 v23, v8 :: v_dual_mov_b32 v22, v11
	s_delay_alu instid0(VALU_DEP_4) | instskip(NEXT) | instid1(VALU_DEP_3)
	v_dual_mov_b32 v1, s22 :: v_dual_and_b32 v0, v0, v1
	v_xor_b32_e32 v3, s16, v19
	v_mov_b32_e32 v20, v13
	v_dual_mov_b32 v2, s23 :: v_dual_mov_b32 v21, v10
	v_mov_b32_e32 v19, v12
	s_delay_alu instid0(VALU_DEP_4)
	v_dual_mov_b32 v3, s24 :: v_dual_and_b32 v0, v0, v3
	v_mov_b32_e32 v4, s25
	ds_store_2addr_b64 v33, v[1:2], v[3:4] offset0:3 offset1:4
	ds_store_2addr_b64 v39, v[1:2], v[3:4] offset0:2 offset1:3
	v_mbcnt_lo_u32_b32 v8, v0, 0
	v_mad_u32_u24 v1, v5, 6, v45
	v_cmp_ne_u32_e64 s16, 0, v0
	s_waitcnt lgkmcnt(0)
	s_barrier
	v_cmp_eq_u32_e32 vcc_lo, 0, v8
	v_lshl_add_u32 v9, v1, 2, 24
	buffer_gl0_inv
	; wave barrier
	s_and_b32 s28, s16, vcc_lo
	s_delay_alu instid0(SALU_CYCLE_1)
	s_and_saveexec_b32 s16, s28
	s_cbranch_execz .LBB309_6
; %bb.5:                                ;   in Loop: Header=BB309_4 Depth=2
	v_bcnt_u32_b32 v0, v0, 0
	ds_store_b32 v9, v0
.LBB309_6:                              ;   in Loop: Header=BB309_4 Depth=2
	s_or_b32 exec_lo, exec_lo, s16
	v_lshrrev_b64 v[0:1], s26, v[31:32]
	; wave barrier
	s_delay_alu instid0(VALU_DEP_1)
	v_and_b32_e32 v2, 1, v0
	v_lshlrev_b32_e32 v3, 30, v0
	v_lshlrev_b32_e32 v4, 29, v0
	v_lshlrev_b32_e32 v5, 28, v0
	v_lshlrev_b32_e32 v7, 27, v0
	v_add_co_u32 v2, s16, v2, -1
	s_delay_alu instid0(VALU_DEP_1)
	v_cndmask_b32_e64 v6, 0, 1, s16
	v_not_b32_e32 v12, v3
	v_cmp_gt_i32_e64 s16, 0, v3
	v_not_b32_e32 v3, v4
	v_lshlrev_b32_e32 v10, 26, v0
	v_cmp_ne_u32_e32 vcc_lo, 0, v6
	v_ashrrev_i32_e32 v6, 31, v12
	v_lshlrev_b32_e32 v11, 25, v0
	v_ashrrev_i32_e32 v3, 31, v3
	v_and_b32_e32 v1, 0xff, v0
	v_xor_b32_e32 v2, vcc_lo, v2
	v_cmp_gt_i32_e32 vcc_lo, 0, v4
	v_not_b32_e32 v4, v5
	v_xor_b32_e32 v6, s16, v6
	v_cmp_gt_i32_e64 s16, 0, v5
	v_and_b32_e32 v2, exec_lo, v2
	v_not_b32_e32 v5, v7
	v_ashrrev_i32_e32 v4, 31, v4
	v_xor_b32_e32 v3, vcc_lo, v3
	v_cmp_gt_i32_e32 vcc_lo, 0, v7
	v_and_b32_e32 v2, v2, v6
	v_not_b32_e32 v6, v10
	v_ashrrev_i32_e32 v5, 31, v5
	v_xor_b32_e32 v4, s16, v4
	v_lshlrev_b32_e32 v0, 24, v0
	v_and_b32_e32 v2, v2, v3
	v_cmp_gt_i32_e64 s16, 0, v10
	v_not_b32_e32 v3, v11
	v_ashrrev_i32_e32 v6, 31, v6
	v_xor_b32_e32 v5, vcc_lo, v5
	v_and_b32_e32 v2, v2, v4
	v_cmp_gt_i32_e32 vcc_lo, 0, v11
	v_not_b32_e32 v4, v0
	v_ashrrev_i32_e32 v3, 31, v3
	v_xor_b32_e32 v6, s16, v6
	v_and_b32_e32 v2, v2, v5
	v_mul_u32_u24_e32 v1, 6, v1
	v_cmp_gt_i32_e64 s16, 0, v0
	v_ashrrev_i32_e32 v0, 31, v4
	v_xor_b32_e32 v3, vcc_lo, v3
	v_and_b32_e32 v2, v2, v6
	v_add_lshl_u32 v1, v1, v45, 2
	s_delay_alu instid0(VALU_DEP_4) | instskip(NEXT) | instid1(VALU_DEP_3)
	v_xor_b32_e32 v0, s16, v0
	v_and_b32_e32 v2, v2, v3
	ds_load_b32 v10, v1 offset:24
	v_add_nc_u32_e32 v12, 24, v1
	; wave barrier
	v_and_b32_e32 v0, v2, v0
	s_delay_alu instid0(VALU_DEP_1) | instskip(SKIP_1) | instid1(VALU_DEP_2)
	v_mbcnt_lo_u32_b32 v11, v0, 0
	v_cmp_ne_u32_e64 s16, 0, v0
	v_cmp_eq_u32_e32 vcc_lo, 0, v11
	s_delay_alu instid0(VALU_DEP_2) | instskip(NEXT) | instid1(SALU_CYCLE_1)
	s_and_b32 s28, s16, vcc_lo
	s_and_saveexec_b32 s16, s28
	s_cbranch_execz .LBB309_8
; %bb.7:                                ;   in Loop: Header=BB309_4 Depth=2
	s_waitcnt lgkmcnt(0)
	v_bcnt_u32_b32 v0, v0, v10
	ds_store_b32 v12, v0
.LBB309_8:                              ;   in Loop: Header=BB309_4 Depth=2
	s_or_b32 exec_lo, exec_lo, s16
	v_lshrrev_b64 v[0:1], s26, v[29:30]
	; wave barrier
	s_delay_alu instid0(VALU_DEP_1)
	v_and_b32_e32 v2, 1, v0
	v_lshlrev_b32_e32 v3, 30, v0
	v_lshlrev_b32_e32 v4, 29, v0
	v_lshlrev_b32_e32 v5, 28, v0
	v_lshlrev_b32_e32 v7, 27, v0
	v_add_co_u32 v2, s16, v2, -1
	s_delay_alu instid0(VALU_DEP_1)
	v_cndmask_b32_e64 v6, 0, 1, s16
	v_not_b32_e32 v15, v3
	v_cmp_gt_i32_e64 s16, 0, v3
	v_not_b32_e32 v3, v4
	v_lshlrev_b32_e32 v13, 26, v0
	v_cmp_ne_u32_e32 vcc_lo, 0, v6
	v_ashrrev_i32_e32 v6, 31, v15
	v_lshlrev_b32_e32 v14, 25, v0
	v_ashrrev_i32_e32 v3, 31, v3
	v_and_b32_e32 v1, 0xff, v0
	v_xor_b32_e32 v2, vcc_lo, v2
	v_cmp_gt_i32_e32 vcc_lo, 0, v4
	v_not_b32_e32 v4, v5
	v_xor_b32_e32 v6, s16, v6
	v_cmp_gt_i32_e64 s16, 0, v5
	v_and_b32_e32 v2, exec_lo, v2
	v_not_b32_e32 v5, v7
	v_ashrrev_i32_e32 v4, 31, v4
	v_xor_b32_e32 v3, vcc_lo, v3
	v_cmp_gt_i32_e32 vcc_lo, 0, v7
	v_and_b32_e32 v2, v2, v6
	v_not_b32_e32 v6, v13
	v_ashrrev_i32_e32 v5, 31, v5
	v_xor_b32_e32 v4, s16, v4
	v_lshlrev_b32_e32 v0, 24, v0
	v_and_b32_e32 v2, v2, v3
	v_cmp_gt_i32_e64 s16, 0, v13
	v_not_b32_e32 v3, v14
	v_ashrrev_i32_e32 v6, 31, v6
	v_xor_b32_e32 v5, vcc_lo, v5
	v_and_b32_e32 v2, v2, v4
	v_cmp_gt_i32_e32 vcc_lo, 0, v14
	v_not_b32_e32 v4, v0
	v_ashrrev_i32_e32 v3, 31, v3
	v_xor_b32_e32 v6, s16, v6
	v_and_b32_e32 v2, v2, v5
	v_mul_u32_u24_e32 v1, 6, v1
	v_cmp_gt_i32_e64 s16, 0, v0
	v_ashrrev_i32_e32 v0, 31, v4
	v_xor_b32_e32 v3, vcc_lo, v3
	v_and_b32_e32 v2, v2, v6
	v_add_lshl_u32 v1, v1, v45, 2
	s_delay_alu instid0(VALU_DEP_4) | instskip(NEXT) | instid1(VALU_DEP_3)
	v_xor_b32_e32 v0, s16, v0
	v_and_b32_e32 v2, v2, v3
	ds_load_b32 v13, v1 offset:24
	v_add_nc_u32_e32 v15, 24, v1
	; wave barrier
	v_and_b32_e32 v0, v2, v0
	s_delay_alu instid0(VALU_DEP_1) | instskip(SKIP_1) | instid1(VALU_DEP_2)
	v_mbcnt_lo_u32_b32 v14, v0, 0
	v_cmp_ne_u32_e64 s16, 0, v0
	v_cmp_eq_u32_e32 vcc_lo, 0, v14
	s_delay_alu instid0(VALU_DEP_2) | instskip(NEXT) | instid1(SALU_CYCLE_1)
	s_and_b32 s28, s16, vcc_lo
	s_and_saveexec_b32 s16, s28
	s_cbranch_execz .LBB309_10
; %bb.9:                                ;   in Loop: Header=BB309_4 Depth=2
	s_waitcnt lgkmcnt(0)
	v_bcnt_u32_b32 v0, v0, v13
	ds_store_b32 v15, v0
.LBB309_10:                             ;   in Loop: Header=BB309_4 Depth=2
	s_or_b32 exec_lo, exec_lo, s16
	v_lshrrev_b64 v[0:1], s26, v[27:28]
	; wave barrier
	s_delay_alu instid0(VALU_DEP_1)
	v_and_b32_e32 v2, 1, v0
	v_lshlrev_b32_e32 v3, 30, v0
	v_lshlrev_b32_e32 v4, 29, v0
	v_lshlrev_b32_e32 v5, 28, v0
	v_lshlrev_b32_e32 v7, 27, v0
	v_add_co_u32 v2, s16, v2, -1
	s_delay_alu instid0(VALU_DEP_1)
	v_cndmask_b32_e64 v6, 0, 1, s16
	v_not_b32_e32 v48, v3
	v_cmp_gt_i32_e64 s16, 0, v3
	v_not_b32_e32 v3, v4
	v_lshlrev_b32_e32 v46, 26, v0
	v_cmp_ne_u32_e32 vcc_lo, 0, v6
	v_ashrrev_i32_e32 v6, 31, v48
	v_lshlrev_b32_e32 v47, 25, v0
	v_ashrrev_i32_e32 v3, 31, v3
	v_and_b32_e32 v1, 0xff, v0
	v_xor_b32_e32 v2, vcc_lo, v2
	v_cmp_gt_i32_e32 vcc_lo, 0, v4
	v_not_b32_e32 v4, v5
	v_xor_b32_e32 v6, s16, v6
	v_cmp_gt_i32_e64 s16, 0, v5
	v_and_b32_e32 v2, exec_lo, v2
	v_not_b32_e32 v5, v7
	v_ashrrev_i32_e32 v4, 31, v4
	v_xor_b32_e32 v3, vcc_lo, v3
	v_cmp_gt_i32_e32 vcc_lo, 0, v7
	v_and_b32_e32 v2, v2, v6
	v_not_b32_e32 v6, v46
	v_ashrrev_i32_e32 v5, 31, v5
	v_xor_b32_e32 v4, s16, v4
	v_lshlrev_b32_e32 v0, 24, v0
	v_and_b32_e32 v2, v2, v3
	v_cmp_gt_i32_e64 s16, 0, v46
	v_not_b32_e32 v3, v47
	v_ashrrev_i32_e32 v6, 31, v6
	v_xor_b32_e32 v5, vcc_lo, v5
	v_and_b32_e32 v2, v2, v4
	v_cmp_gt_i32_e32 vcc_lo, 0, v47
	v_not_b32_e32 v4, v0
	v_ashrrev_i32_e32 v3, 31, v3
	v_xor_b32_e32 v6, s16, v6
	v_and_b32_e32 v2, v2, v5
	v_mul_u32_u24_e32 v1, 6, v1
	v_cmp_gt_i32_e64 s16, 0, v0
	v_ashrrev_i32_e32 v0, 31, v4
	v_xor_b32_e32 v3, vcc_lo, v3
	v_and_b32_e32 v2, v2, v6
	v_add_lshl_u32 v1, v1, v45, 2
	s_delay_alu instid0(VALU_DEP_4) | instskip(NEXT) | instid1(VALU_DEP_3)
	v_xor_b32_e32 v0, s16, v0
	v_and_b32_e32 v2, v2, v3
	ds_load_b32 v46, v1 offset:24
	v_add_nc_u32_e32 v48, 24, v1
	; wave barrier
	v_and_b32_e32 v0, v2, v0
	s_delay_alu instid0(VALU_DEP_1) | instskip(SKIP_1) | instid1(VALU_DEP_2)
	v_mbcnt_lo_u32_b32 v47, v0, 0
	v_cmp_ne_u32_e64 s16, 0, v0
	v_cmp_eq_u32_e32 vcc_lo, 0, v47
	s_delay_alu instid0(VALU_DEP_2) | instskip(NEXT) | instid1(SALU_CYCLE_1)
	s_and_b32 s28, s16, vcc_lo
	s_and_saveexec_b32 s16, s28
	s_cbranch_execz .LBB309_12
; %bb.11:                               ;   in Loop: Header=BB309_4 Depth=2
	s_waitcnt lgkmcnt(0)
	v_bcnt_u32_b32 v0, v0, v46
	ds_store_b32 v48, v0
.LBB309_12:                             ;   in Loop: Header=BB309_4 Depth=2
	s_or_b32 exec_lo, exec_lo, s16
	; wave barrier
	s_waitcnt lgkmcnt(0)
	s_barrier
	buffer_gl0_inv
	ds_load_2addr_b64 v[4:7], v33 offset0:3 offset1:4
	ds_load_2addr_b64 v[0:3], v39 offset0:2 offset1:3
	s_waitcnt lgkmcnt(1)
	v_add_nc_u32_e32 v49, v5, v4
	s_delay_alu instid0(VALU_DEP_1) | instskip(SKIP_1) | instid1(VALU_DEP_1)
	v_add3_u32 v49, v49, v6, v7
	s_waitcnt lgkmcnt(0)
	v_add3_u32 v49, v49, v0, v1
	s_delay_alu instid0(VALU_DEP_1) | instskip(NEXT) | instid1(VALU_DEP_1)
	v_add3_u32 v3, v49, v2, v3
	v_mov_b32_dpp v49, v3 row_shr:1 row_mask:0xf bank_mask:0xf
	s_delay_alu instid0(VALU_DEP_1) | instskip(NEXT) | instid1(VALU_DEP_1)
	v_cndmask_b32_e64 v49, v49, 0, s4
	v_add_nc_u32_e32 v3, v49, v3
	s_delay_alu instid0(VALU_DEP_1) | instskip(NEXT) | instid1(VALU_DEP_1)
	v_mov_b32_dpp v49, v3 row_shr:2 row_mask:0xf bank_mask:0xf
	v_cndmask_b32_e64 v49, 0, v49, s5
	s_delay_alu instid0(VALU_DEP_1) | instskip(NEXT) | instid1(VALU_DEP_1)
	v_add_nc_u32_e32 v3, v3, v49
	v_mov_b32_dpp v49, v3 row_shr:4 row_mask:0xf bank_mask:0xf
	s_delay_alu instid0(VALU_DEP_1) | instskip(NEXT) | instid1(VALU_DEP_1)
	v_cndmask_b32_e64 v49, 0, v49, s6
	v_add_nc_u32_e32 v3, v3, v49
	s_delay_alu instid0(VALU_DEP_1) | instskip(NEXT) | instid1(VALU_DEP_1)
	v_mov_b32_dpp v49, v3 row_shr:8 row_mask:0xf bank_mask:0xf
	v_cndmask_b32_e64 v49, 0, v49, s7
	s_delay_alu instid0(VALU_DEP_1) | instskip(SKIP_3) | instid1(VALU_DEP_1)
	v_add_nc_u32_e32 v3, v3, v49
	ds_swizzle_b32 v49, v3 offset:swizzle(BROADCAST,32,15)
	s_waitcnt lgkmcnt(0)
	v_cndmask_b32_e64 v49, v49, 0, s8
	v_add_nc_u32_e32 v3, v3, v49
	s_and_saveexec_b32 s16, s15
	s_cbranch_execz .LBB309_14
; %bb.13:                               ;   in Loop: Header=BB309_4 Depth=2
	ds_store_b32 v40, v3
.LBB309_14:                             ;   in Loop: Header=BB309_4 Depth=2
	s_or_b32 exec_lo, exec_lo, s16
	s_waitcnt lgkmcnt(0)
	s_barrier
	buffer_gl0_inv
	s_and_saveexec_b32 s16, s9
	s_cbranch_execz .LBB309_16
; %bb.15:                               ;   in Loop: Header=BB309_4 Depth=2
	ds_load_b32 v49, v42
	s_waitcnt lgkmcnt(0)
	v_mov_b32_dpp v50, v49 row_shr:1 row_mask:0xf bank_mask:0xf
	s_delay_alu instid0(VALU_DEP_1) | instskip(NEXT) | instid1(VALU_DEP_1)
	v_cndmask_b32_e64 v50, v50, 0, s12
	v_add_nc_u32_e32 v49, v50, v49
	s_delay_alu instid0(VALU_DEP_1) | instskip(NEXT) | instid1(VALU_DEP_1)
	v_mov_b32_dpp v50, v49 row_shr:2 row_mask:0xf bank_mask:0xf
	v_cndmask_b32_e64 v50, 0, v50, s13
	s_delay_alu instid0(VALU_DEP_1) | instskip(NEXT) | instid1(VALU_DEP_1)
	v_add_nc_u32_e32 v49, v49, v50
	v_mov_b32_dpp v50, v49 row_shr:4 row_mask:0xf bank_mask:0xf
	s_delay_alu instid0(VALU_DEP_1) | instskip(NEXT) | instid1(VALU_DEP_1)
	v_cndmask_b32_e64 v50, 0, v50, s14
	v_add_nc_u32_e32 v49, v49, v50
	ds_store_b32 v42, v49
.LBB309_16:                             ;   in Loop: Header=BB309_4 Depth=2
	s_or_b32 exec_lo, exec_lo, s16
	v_mov_b32_e32 v49, 0
	s_waitcnt lgkmcnt(0)
	s_barrier
	buffer_gl0_inv
	s_and_saveexec_b32 s16, s10
	s_cbranch_execz .LBB309_18
; %bb.17:                               ;   in Loop: Header=BB309_4 Depth=2
	ds_load_b32 v49, v43
.LBB309_18:                             ;   in Loop: Header=BB309_4 Depth=2
	s_or_b32 exec_lo, exec_lo, s16
	s_waitcnt lgkmcnt(0)
	v_add_nc_u32_e32 v3, v49, v3
	s_cmp_gt_u32 s26, 55
	ds_bpermute_b32 v3, v41, v3
	s_waitcnt lgkmcnt(0)
	v_cndmask_b32_e64 v3, v3, v49, s0
	s_delay_alu instid0(VALU_DEP_1) | instskip(NEXT) | instid1(VALU_DEP_1)
	v_cndmask_b32_e64 v3, v3, 0, s11
	v_add_nc_u32_e32 v4, v3, v4
	s_delay_alu instid0(VALU_DEP_1) | instskip(NEXT) | instid1(VALU_DEP_1)
	v_add_nc_u32_e32 v5, v4, v5
	v_add_nc_u32_e32 v6, v5, v6
	s_delay_alu instid0(VALU_DEP_1) | instskip(NEXT) | instid1(VALU_DEP_1)
	v_add_nc_u32_e32 v49, v6, v7
	;; [unrolled: 3-line block ×3, first 2 shown]
	v_add_nc_u32_e32 v1, v0, v2
	ds_store_2addr_b64 v33, v[3:4], v[5:6] offset0:3 offset1:4
	ds_store_2addr_b64 v39, v[49:50], v[0:1] offset0:2 offset1:3
	s_waitcnt lgkmcnt(0)
	s_barrier
	buffer_gl0_inv
	ds_load_b32 v0, v9
	ds_load_b32 v1, v12
	;; [unrolled: 1-line block ×4, first 2 shown]
	s_waitcnt lgkmcnt(3)
	v_add_nc_u32_e32 v50, v0, v8
	s_waitcnt lgkmcnt(2)
	v_add3_u32 v49, v11, v10, v1
	s_waitcnt lgkmcnt(1)
	v_add3_u32 v48, v14, v13, v2
	;; [unrolled: 2-line block ×3, first 2 shown]
	s_cbranch_scc0 .LBB309_3
; %bb.19:                               ;   in Loop: Header=BB309_2 Depth=1
                                        ; implicit-def: $vgpr6_vgpr7
                                        ; implicit-def: $vgpr2_vgpr3
                                        ; implicit-def: $vgpr8_vgpr9
                                        ; implicit-def: $vgpr12_vgpr13
                                        ; implicit-def: $sgpr26_sgpr27
	s_branch .LBB309_1
.LBB309_20:
	s_waitcnt lgkmcnt(1)
	v_add_co_u32 v0, vcc_lo, v14, v6
	v_add_co_ci_u32_e32 v1, vcc_lo, v15, v7, vcc_lo
	v_lshlrev_b32_e32 v14, 3, v18
	v_add_co_u32 v6, vcc_lo, v16, v8
	v_add_co_ci_u32_e32 v7, vcc_lo, v17, v9, vcc_lo
	s_add_u32 s0, s18, s20
	s_waitcnt lgkmcnt(0)
	v_add_co_u32 v2, vcc_lo, v10, v2
	s_addc_u32 s1, s19, s21
	v_add_co_u32 v8, s2, s0, v14
	v_add_co_ci_u32_e32 v3, vcc_lo, v11, v3, vcc_lo
	v_add_co_ci_u32_e64 v9, null, s1, 0, s2
	v_add_co_u32 v4, vcc_lo, v12, v4
	v_add_co_ci_u32_e32 v5, vcc_lo, v13, v5, vcc_lo
	v_add_co_u32 v8, vcc_lo, 0x1000, v8
	s_delay_alu instid0(VALU_DEP_4)
	v_add_co_ci_u32_e32 v9, vcc_lo, 0, v9, vcc_lo
	s_clause 0x3
	global_store_b64 v14, v[0:1], s[0:1]
	global_store_b64 v14, v[6:7], s[0:1] offset:1536
	global_store_b64 v14, v[2:3], s[0:1] offset:3072
	global_store_b64 v[8:9], v[4:5], off offset:512
	s_nop 0
	s_sendmsg sendmsg(MSG_DEALLOC_VGPRS)
	s_endpgm
	.section	.rodata,"a",@progbits
	.p2align	6, 0x0
	.amdhsa_kernel _Z17sort_pairs_kernelI22helper_blocked_stripedxLj192ELj4ELj10EEvPKT0_PS1_
		.amdhsa_group_segment_fixed_size 6176
		.amdhsa_private_segment_fixed_size 0
		.amdhsa_kernarg_size 272
		.amdhsa_user_sgpr_count 15
		.amdhsa_user_sgpr_dispatch_ptr 0
		.amdhsa_user_sgpr_queue_ptr 0
		.amdhsa_user_sgpr_kernarg_segment_ptr 1
		.amdhsa_user_sgpr_dispatch_id 0
		.amdhsa_user_sgpr_private_segment_size 0
		.amdhsa_wavefront_size32 1
		.amdhsa_uses_dynamic_stack 0
		.amdhsa_enable_private_segment 0
		.amdhsa_system_sgpr_workgroup_id_x 1
		.amdhsa_system_sgpr_workgroup_id_y 0
		.amdhsa_system_sgpr_workgroup_id_z 0
		.amdhsa_system_sgpr_workgroup_info 0
		.amdhsa_system_vgpr_workitem_id 2
		.amdhsa_next_free_vgpr 53
		.amdhsa_next_free_sgpr 29
		.amdhsa_reserve_vcc 1
		.amdhsa_float_round_mode_32 0
		.amdhsa_float_round_mode_16_64 0
		.amdhsa_float_denorm_mode_32 3
		.amdhsa_float_denorm_mode_16_64 3
		.amdhsa_dx10_clamp 1
		.amdhsa_ieee_mode 1
		.amdhsa_fp16_overflow 0
		.amdhsa_workgroup_processor_mode 1
		.amdhsa_memory_ordered 1
		.amdhsa_forward_progress 0
		.amdhsa_shared_vgpr_count 0
		.amdhsa_exception_fp_ieee_invalid_op 0
		.amdhsa_exception_fp_denorm_src 0
		.amdhsa_exception_fp_ieee_div_zero 0
		.amdhsa_exception_fp_ieee_overflow 0
		.amdhsa_exception_fp_ieee_underflow 0
		.amdhsa_exception_fp_ieee_inexact 0
		.amdhsa_exception_int_div_zero 0
	.end_amdhsa_kernel
	.section	.text._Z17sort_pairs_kernelI22helper_blocked_stripedxLj192ELj4ELj10EEvPKT0_PS1_,"axG",@progbits,_Z17sort_pairs_kernelI22helper_blocked_stripedxLj192ELj4ELj10EEvPKT0_PS1_,comdat
.Lfunc_end309:
	.size	_Z17sort_pairs_kernelI22helper_blocked_stripedxLj192ELj4ELj10EEvPKT0_PS1_, .Lfunc_end309-_Z17sort_pairs_kernelI22helper_blocked_stripedxLj192ELj4ELj10EEvPKT0_PS1_
                                        ; -- End function
	.section	.AMDGPU.csdata,"",@progbits
; Kernel info:
; codeLenInByte = 4136
; NumSgprs: 31
; NumVgprs: 53
; ScratchSize: 0
; MemoryBound: 0
; FloatMode: 240
; IeeeMode: 1
; LDSByteSize: 6176 bytes/workgroup (compile time only)
; SGPRBlocks: 3
; VGPRBlocks: 6
; NumSGPRsForWavesPerEU: 31
; NumVGPRsForWavesPerEU: 53
; Occupancy: 15
; WaveLimiterHint : 1
; COMPUTE_PGM_RSRC2:SCRATCH_EN: 0
; COMPUTE_PGM_RSRC2:USER_SGPR: 15
; COMPUTE_PGM_RSRC2:TRAP_HANDLER: 0
; COMPUTE_PGM_RSRC2:TGID_X_EN: 1
; COMPUTE_PGM_RSRC2:TGID_Y_EN: 0
; COMPUTE_PGM_RSRC2:TGID_Z_EN: 0
; COMPUTE_PGM_RSRC2:TIDIG_COMP_CNT: 2
	.section	.text._Z16sort_keys_kernelI22helper_blocked_stripedxLj192ELj8ELj10EEvPKT0_PS1_,"axG",@progbits,_Z16sort_keys_kernelI22helper_blocked_stripedxLj192ELj8ELj10EEvPKT0_PS1_,comdat
	.protected	_Z16sort_keys_kernelI22helper_blocked_stripedxLj192ELj8ELj10EEvPKT0_PS1_ ; -- Begin function _Z16sort_keys_kernelI22helper_blocked_stripedxLj192ELj8ELj10EEvPKT0_PS1_
	.globl	_Z16sort_keys_kernelI22helper_blocked_stripedxLj192ELj8ELj10EEvPKT0_PS1_
	.p2align	8
	.type	_Z16sort_keys_kernelI22helper_blocked_stripedxLj192ELj8ELj10EEvPKT0_PS1_,@function
_Z16sort_keys_kernelI22helper_blocked_stripedxLj192ELj8ELj10EEvPKT0_PS1_: ; @_Z16sort_keys_kernelI22helper_blocked_stripedxLj192ELj8ELj10EEvPKT0_PS1_
; %bb.0:
	s_clause 0x1
	s_load_b128 s[16:19], s[0:1], 0x0
	s_load_b32 s2, s[0:1], 0x1c
	v_and_b32_e32 v17, 0x3ff, v0
	s_mov_b32 s21, 0
	s_mul_i32 s20, s15, 0x600
	v_mbcnt_lo_u32_b32 v20, -1, 0
	s_lshl_b64 s[14:15], s[20:21], 3
	v_lshlrev_b32_e32 v13, 6, v17
	v_and_b32_e32 v21, 0xe0, v17
	v_lshlrev_b32_e32 v32, 3, v17
	v_lshlrev_b32_e32 v39, 5, v17
	v_cmp_gt_u32_e64 s6, 6, v17
	v_cmp_lt_u32_e64 s7, 31, v17
	v_or_b32_e32 v18, v20, v21
	v_and_b32_e32 v22, 0x700, v32
	v_mad_i32_i24 v47, 0xffffffe4, v17, v39
	v_or_b32_e32 v43, 24, v39
	v_cmp_eq_u32_e64 s8, 0, v20
	v_lshlrev_b32_e32 v19, 1, v18
	v_or_b32_e32 v24, 0x60, v22
	s_waitcnt lgkmcnt(0)
	s_add_u32 s0, s16, s14
	s_addc_u32 s1, s17, s15
	v_or_b32_e32 v23, v20, v22
	s_clause 0x3
	global_load_b128 v[1:4], v13, s[0:1] offset:48
	global_load_b128 v[5:8], v13, s[0:1] offset:32
	;; [unrolled: 1-line block ×3, first 2 shown]
	global_load_b128 v[13:16], v13, s[0:1]
	v_and_b32_e32 v19, 0x1f8, v19
	v_or_b32_e32 v26, 0x80, v22
	v_lshrrev_b32_e32 v24, 5, v24
	s_lshr_b32 s0, s2, 16
	v_lshrrev_b32_e32 v25, 5, v22
	v_lshl_add_u32 v33, v18, 6, v19
	v_or_b32_e32 v18, 32, v22
	v_or_b32_e32 v19, 64, v22
	v_add_lshl_u32 v37, v24, v23, 3
	v_bfe_u32 v24, v0, 10, 10
	v_bfe_u32 v0, v0, 20, 10
	v_lshrrev_b32_e32 v18, 5, v18
	v_lshrrev_b32_e32 v19, 5, v19
	v_add_lshl_u32 v34, v25, v23, 3
	v_cmp_eq_u32_e64 s9, 0, v17
	v_mad_u32_u24 v0, v0, s0, v24
	v_add_lshl_u32 v35, v18, v23, 3
	v_lshrrev_b32_e32 v18, 5, v26
	v_add_lshl_u32 v36, v19, v23, 3
	v_or_b32_e32 v19, 0xa0, v22
	s_and_b32 s0, s2, 0xffff
	s_mov_b32 s20, s21
	v_add_lshl_u32 v38, v18, v23, 3
	v_or_b32_e32 v18, 0xc0, v22
	v_or_b32_e32 v22, 0xe0, v22
	v_lshrrev_b32_e32 v25, 5, v19
	s_mov_b32 s16, s21
	s_mov_b32 s17, s21
	v_lshrrev_b32_e32 v24, 5, v18
	v_mad_u64_u32 v[18:19], null, v0, s0, v[17:18]
	v_lshrrev_b32_e32 v0, 5, v22
	v_and_b32_e32 v19, 15, v20
	v_add_lshl_u32 v40, v25, v23, 3
	v_add_lshl_u32 v41, v24, v23, 3
	s_mov_b32 s24, s21
	v_add_lshl_u32 v42, v0, v23, 3
	v_min_u32_e32 v0, 0xa0, v21
	v_add_nc_u32_e32 v21, -1, v20
	v_lshrrev_b32_e32 v44, 5, v18
	v_and_b32_e32 v18, 16, v20
	v_cmp_eq_u32_e64 s0, 0, v19
	v_or_b32_e32 v0, 31, v0
	v_cmp_gt_i32_e32 vcc_lo, 0, v21
	v_cmp_lt_u32_e64 s1, 1, v19
	v_cmp_eq_u32_e64 s4, 0, v18
	v_cmp_lt_u32_e64 s2, 3, v19
	v_cmp_eq_u32_e64 s5, v0, v17
	v_cndmask_b32_e32 v18, v21, v20, vcc_lo
	v_lshrrev_b32_e32 v0, 3, v17
	v_cmp_lt_u32_e64 s3, 7, v19
	s_delay_alu instid0(VALU_DEP_3) | instskip(SKIP_1) | instid1(VALU_DEP_4)
	v_lshlrev_b32_e32 v45, 2, v18
	v_and_b32_e32 v18, 7, v20
	v_and_b32_e32 v46, 28, v0
	v_lshlrev_b32_e32 v0, 2, v17
	s_delay_alu instid0(VALU_DEP_3)
	v_cmp_eq_u32_e64 s10, 0, v18
	v_cmp_lt_u32_e64 s11, 1, v18
	v_cmp_lt_u32_e64 s12, 3, v18
	v_add_nc_u32_e32 v48, -4, v46
	v_add_nc_u32_e32 v49, v47, v0
	s_branch .LBB310_2
.LBB310_1:                              ;   in Loop: Header=BB310_2 Depth=1
	v_lshlrev_b32_e32 v0, 3, v64
	v_lshlrev_b32_e32 v1, 3, v61
	;; [unrolled: 1-line block ×3, first 2 shown]
	s_barrier
	buffer_gl0_inv
	ds_store_b64 v0, v[8:9]
	ds_store_b64 v1, v[22:23]
	ds_store_b64 v2, v[20:21]
	v_lshlrev_b32_e32 v0, 3, v55
	v_lshlrev_b32_e32 v1, 3, v53
	;; [unrolled: 1-line block ×5, first 2 shown]
	ds_store_b64 v0, v[18:19]
	ds_store_b64 v1, v[16:17]
	;; [unrolled: 1-line block ×5, first 2 shown]
	s_waitcnt lgkmcnt(0)
	s_barrier
	buffer_gl0_inv
	ds_load_2addr_stride64_b64 v[13:16], v49 offset1:3
	ds_load_2addr_stride64_b64 v[9:12], v49 offset0:6 offset1:9
	ds_load_2addr_stride64_b64 v[5:8], v49 offset0:12 offset1:15
	;; [unrolled: 1-line block ×3, first 2 shown]
	s_add_i32 s24, s24, 1
	s_delay_alu instid0(SALU_CYCLE_1)
	s_cmp_eq_u32 s24, 10
	s_waitcnt lgkmcnt(3)
	v_xor_b32_e32 v14, 0x80000000, v14
	v_xor_b32_e32 v16, 0x80000000, v16
	s_waitcnt lgkmcnt(2)
	v_xor_b32_e32 v10, 0x80000000, v10
	v_xor_b32_e32 v12, 0x80000000, v12
	;; [unrolled: 3-line block ×4, first 2 shown]
	s_cbranch_scc1 .LBB310_28
.LBB310_2:                              ; =>This Loop Header: Depth=1
                                        ;     Child Loop BB310_4 Depth 2
	s_waitcnt vmcnt(0)
	v_xor_b32_e32 v14, 0x80000000, v14
	v_xor_b32_e32 v16, 0x80000000, v16
	;; [unrolled: 1-line block ×8, first 2 shown]
	ds_store_2addr_b64 v33, v[13:14], v[15:16] offset1:1
	ds_store_2addr_b64 v33, v[9:10], v[11:12] offset0:2 offset1:3
	ds_store_2addr_b64 v33, v[5:6], v[7:8] offset0:4 offset1:5
	;; [unrolled: 1-line block ×3, first 2 shown]
	; wave barrier
	ds_load_b64 v[30:31], v34
	ds_load_b64 v[0:1], v35 offset:256
	ds_load_b64 v[2:3], v36 offset:512
	;; [unrolled: 1-line block ×7, first 2 shown]
	s_mov_b64 s[22:23], 0
	s_waitcnt lgkmcnt(0)
	s_barrier
	buffer_gl0_inv
	; wave barrier
	s_barrier
	s_branch .LBB310_4
.LBB310_3:                              ;   in Loop: Header=BB310_4 Depth=2
	v_lshrrev_b32_e32 v0, 2, v64
	v_lshrrev_b32_e32 v1, 2, v61
	v_lshrrev_b32_e32 v2, 2, v58
	v_lshrrev_b32_e32 v3, 2, v55
	s_delay_alu instid0(VALU_DEP_4) | instskip(NEXT) | instid1(VALU_DEP_4)
	v_and_b32_e32 v0, 0x3ffffff8, v0
	v_and_b32_e32 v1, 0x3ffffff8, v1
	s_delay_alu instid0(VALU_DEP_4)
	v_and_b32_e32 v2, 0x3ffffff8, v2
	s_barrier
	buffer_gl0_inv
	v_lshl_add_u32 v0, v64, 3, v0
	v_lshl_add_u32 v1, v61, 3, v1
	;; [unrolled: 1-line block ×3, first 2 shown]
	v_lshrrev_b32_e32 v4, 2, v50
	v_and_b32_e32 v3, 0x3ffffff8, v3
	ds_store_b64 v0, v[8:9]
	ds_store_b64 v1, v[22:23]
	;; [unrolled: 1-line block ×3, first 2 shown]
	v_lshrrev_b32_e32 v0, 2, v53
	v_lshrrev_b32_e32 v1, 2, v52
	;; [unrolled: 1-line block ×3, first 2 shown]
	v_and_b32_e32 v4, 0x3ffffff8, v4
	v_lshl_add_u32 v3, v55, 3, v3
	v_and_b32_e32 v0, 0x3ffffff8, v0
	v_and_b32_e32 v1, 0x3ffffff8, v1
	;; [unrolled: 1-line block ×3, first 2 shown]
	v_lshl_add_u32 v4, v50, 3, v4
	s_add_u32 s22, s22, 8
	v_lshl_add_u32 v0, v53, 3, v0
	v_lshl_add_u32 v1, v52, 3, v1
	;; [unrolled: 1-line block ×3, first 2 shown]
	ds_store_b64 v3, v[18:19]
	ds_store_b64 v0, v[16:17]
	ds_store_b64 v1, v[14:15]
	ds_store_b64 v2, v[12:13]
	ds_store_b64 v4, v[10:11]
	s_waitcnt lgkmcnt(0)
	s_barrier
	buffer_gl0_inv
	ds_load_b64 v[30:31], v34
	ds_load_b64 v[0:1], v35 offset:256
	ds_load_b64 v[2:3], v36 offset:512
	;; [unrolled: 1-line block ×7, first 2 shown]
	s_addc_u32 s23, s23, 0
	s_waitcnt lgkmcnt(0)
	s_barrier
	s_cbranch_execz .LBB310_1
.LBB310_4:                              ;   Parent Loop BB310_2 Depth=1
                                        ; =>  This Inner Loop Header: Depth=2
	v_dual_mov_b32 v8, v30 :: v_dual_mov_b32 v9, v31
	buffer_gl0_inv
	v_dual_mov_b32 v21, v3 :: v_dual_mov_b32 v20, v2
	v_lshrrev_b64 v[30:31], s22, v[8:9]
	s_delay_alu instid0(VALU_DEP_1)
	v_and_b32_e32 v10, 1, v30
	v_lshlrev_b32_e32 v11, 30, v30
	v_lshlrev_b32_e32 v12, 29, v30
	;; [unrolled: 1-line block ×4, first 2 shown]
	v_add_co_u32 v10, s13, v10, -1
	s_delay_alu instid0(VALU_DEP_1)
	v_cndmask_b32_e64 v14, 0, 1, s13
	v_not_b32_e32 v18, v11
	v_cmp_gt_i32_e64 s13, 0, v11
	v_not_b32_e32 v11, v12
	v_lshlrev_b32_e32 v16, 26, v30
	v_cmp_ne_u32_e32 vcc_lo, 0, v14
	v_ashrrev_i32_e32 v18, 31, v18
	v_lshlrev_b32_e32 v17, 25, v30
	v_ashrrev_i32_e32 v11, 31, v11
	v_lshlrev_b32_e32 v14, 24, v30
	v_xor_b32_e32 v10, vcc_lo, v10
	v_cmp_gt_i32_e32 vcc_lo, 0, v12
	v_not_b32_e32 v12, v13
	v_xor_b32_e32 v18, s13, v18
	v_cmp_gt_i32_e64 s13, 0, v13
	v_and_b32_e32 v10, exec_lo, v10
	v_not_b32_e32 v13, v15
	v_ashrrev_i32_e32 v12, 31, v12
	v_xor_b32_e32 v11, vcc_lo, v11
	v_cmp_gt_i32_e32 vcc_lo, 0, v15
	v_and_b32_e32 v10, v10, v18
	v_not_b32_e32 v15, v16
	v_ashrrev_i32_e32 v13, 31, v13
	v_xor_b32_e32 v12, s13, v12
	v_cmp_gt_i32_e64 s13, 0, v16
	v_and_b32_e32 v10, v10, v11
	v_ashrrev_i32_e32 v15, 31, v15
	v_xor_b32_e32 v13, vcc_lo, v13
	s_delay_alu instid0(VALU_DEP_3) | instskip(NEXT) | instid1(VALU_DEP_3)
	v_and_b32_e32 v10, v10, v12
	v_xor_b32_e32 v15, s13, v15
	v_not_b32_e32 v12, v14
	v_cmp_gt_i32_e64 s13, 0, v14
	s_delay_alu instid0(VALU_DEP_4) | instskip(NEXT) | instid1(VALU_DEP_3)
	v_and_b32_e32 v10, v10, v13
	v_ashrrev_i32_e32 v16, 31, v12
	v_dual_mov_b32 v12, v26 :: v_dual_mov_b32 v13, v27
	s_delay_alu instid0(VALU_DEP_3)
	v_and_b32_e32 v18, v10, v15
	v_mov_b32_e32 v14, v24
	v_not_b32_e32 v11, v17
	v_cmp_gt_i32_e32 vcc_lo, 0, v17
	v_xor_b32_e32 v22, s13, v16
	v_mov_b32_e32 v15, v25
	s_delay_alu instid0(VALU_DEP_4) | instskip(NEXT) | instid1(VALU_DEP_1)
	v_ashrrev_i32_e32 v11, 31, v11
	v_xor_b32_e32 v17, vcc_lo, v11
	v_dual_mov_b32 v10, v28 :: v_dual_mov_b32 v11, v29
	s_delay_alu instid0(VALU_DEP_2) | instskip(SKIP_2) | instid1(VALU_DEP_3)
	v_and_b32_e32 v23, v18, v17
	v_dual_mov_b32 v19, v5 :: v_dual_mov_b32 v18, v4
	v_dual_mov_b32 v17, v7 :: v_dual_mov_b32 v16, v6
	v_dual_mov_b32 v23, v1 :: v_dual_and_b32 v2, v23, v22
	v_mov_b32_e32 v22, v0
	v_dual_mov_b32 v3, s20 :: v_dual_and_b32 v0, 0xff, v30
	s_delay_alu instid0(VALU_DEP_3) | instskip(SKIP_2) | instid1(VALU_DEP_4)
	v_mbcnt_lo_u32_b32 v24, v2, 0
	v_cmp_ne_u32_e64 s13, 0, v2
	v_mov_b32_e32 v5, s16
	v_mad_u32_u24 v0, v0, 6, v44
	v_mov_b32_e32 v4, s21
	v_cmp_eq_u32_e32 vcc_lo, 0, v24
	v_mov_b32_e32 v6, s17
	ds_store_2addr_b64 v39, v[3:4], v[5:6] offset0:3 offset1:4
	ds_store_2addr_b64 v43, v[3:4], v[5:6] offset0:2 offset1:3
	v_lshl_add_u32 v25, v0, 2, 24
	s_and_b32 s25, s13, vcc_lo
	s_waitcnt lgkmcnt(0)
	s_barrier
	buffer_gl0_inv
	; wave barrier
	s_and_saveexec_b32 s13, s25
	s_cbranch_execz .LBB310_6
; %bb.5:                                ;   in Loop: Header=BB310_4 Depth=2
	v_bcnt_u32_b32 v0, v2, 0
	ds_store_b32 v25, v0
.LBB310_6:                              ;   in Loop: Header=BB310_4 Depth=2
	s_or_b32 exec_lo, exec_lo, s13
	v_lshrrev_b64 v[0:1], s22, v[22:23]
	; wave barrier
	s_delay_alu instid0(VALU_DEP_1)
	v_and_b32_e32 v2, 1, v0
	v_lshlrev_b32_e32 v3, 30, v0
	v_lshlrev_b32_e32 v4, 29, v0
	;; [unrolled: 1-line block ×4, first 2 shown]
	v_add_co_u32 v2, s13, v2, -1
	s_delay_alu instid0(VALU_DEP_1)
	v_cndmask_b32_e64 v6, 0, 1, s13
	v_not_b32_e32 v28, v3
	v_cmp_gt_i32_e64 s13, 0, v3
	v_not_b32_e32 v3, v4
	v_lshlrev_b32_e32 v26, 26, v0
	v_cmp_ne_u32_e32 vcc_lo, 0, v6
	v_ashrrev_i32_e32 v6, 31, v28
	v_lshlrev_b32_e32 v27, 25, v0
	v_ashrrev_i32_e32 v3, 31, v3
	v_and_b32_e32 v1, 0xff, v0
	v_xor_b32_e32 v2, vcc_lo, v2
	v_cmp_gt_i32_e32 vcc_lo, 0, v4
	v_not_b32_e32 v4, v5
	v_xor_b32_e32 v6, s13, v6
	v_cmp_gt_i32_e64 s13, 0, v5
	v_and_b32_e32 v2, exec_lo, v2
	v_not_b32_e32 v5, v7
	v_ashrrev_i32_e32 v4, 31, v4
	v_xor_b32_e32 v3, vcc_lo, v3
	v_cmp_gt_i32_e32 vcc_lo, 0, v7
	v_and_b32_e32 v2, v2, v6
	v_not_b32_e32 v6, v26
	v_ashrrev_i32_e32 v5, 31, v5
	v_xor_b32_e32 v4, s13, v4
	v_lshlrev_b32_e32 v0, 24, v0
	v_and_b32_e32 v2, v2, v3
	v_cmp_gt_i32_e64 s13, 0, v26
	v_not_b32_e32 v3, v27
	v_ashrrev_i32_e32 v6, 31, v6
	v_xor_b32_e32 v5, vcc_lo, v5
	v_and_b32_e32 v2, v2, v4
	v_cmp_gt_i32_e32 vcc_lo, 0, v27
	v_not_b32_e32 v4, v0
	v_ashrrev_i32_e32 v3, 31, v3
	v_xor_b32_e32 v6, s13, v6
	v_and_b32_e32 v2, v2, v5
	v_mul_u32_u24_e32 v1, 6, v1
	v_cmp_gt_i32_e64 s13, 0, v0
	v_ashrrev_i32_e32 v0, 31, v4
	v_xor_b32_e32 v3, vcc_lo, v3
	v_and_b32_e32 v2, v2, v6
	v_add_lshl_u32 v1, v1, v44, 2
	s_delay_alu instid0(VALU_DEP_4) | instskip(NEXT) | instid1(VALU_DEP_3)
	v_xor_b32_e32 v0, s13, v0
	v_and_b32_e32 v2, v2, v3
	ds_load_b32 v26, v1 offset:24
	v_add_nc_u32_e32 v28, 24, v1
	; wave barrier
	v_and_b32_e32 v0, v2, v0
	s_delay_alu instid0(VALU_DEP_1) | instskip(SKIP_1) | instid1(VALU_DEP_2)
	v_mbcnt_lo_u32_b32 v27, v0, 0
	v_cmp_ne_u32_e64 s13, 0, v0
	v_cmp_eq_u32_e32 vcc_lo, 0, v27
	s_delay_alu instid0(VALU_DEP_2) | instskip(NEXT) | instid1(SALU_CYCLE_1)
	s_and_b32 s25, s13, vcc_lo
	s_and_saveexec_b32 s13, s25
	s_cbranch_execz .LBB310_8
; %bb.7:                                ;   in Loop: Header=BB310_4 Depth=2
	s_waitcnt lgkmcnt(0)
	v_bcnt_u32_b32 v0, v0, v26
	ds_store_b32 v28, v0
.LBB310_8:                              ;   in Loop: Header=BB310_4 Depth=2
	s_or_b32 exec_lo, exec_lo, s13
	v_lshrrev_b64 v[0:1], s22, v[20:21]
	; wave barrier
	s_delay_alu instid0(VALU_DEP_1)
	v_and_b32_e32 v2, 1, v0
	v_lshlrev_b32_e32 v3, 30, v0
	v_lshlrev_b32_e32 v4, 29, v0
	;; [unrolled: 1-line block ×4, first 2 shown]
	v_add_co_u32 v2, s13, v2, -1
	s_delay_alu instid0(VALU_DEP_1)
	v_cndmask_b32_e64 v6, 0, 1, s13
	v_not_b32_e32 v31, v3
	v_cmp_gt_i32_e64 s13, 0, v3
	v_not_b32_e32 v3, v4
	v_lshlrev_b32_e32 v29, 26, v0
	v_cmp_ne_u32_e32 vcc_lo, 0, v6
	v_ashrrev_i32_e32 v6, 31, v31
	v_lshlrev_b32_e32 v30, 25, v0
	v_ashrrev_i32_e32 v3, 31, v3
	v_and_b32_e32 v1, 0xff, v0
	v_xor_b32_e32 v2, vcc_lo, v2
	v_cmp_gt_i32_e32 vcc_lo, 0, v4
	v_not_b32_e32 v4, v5
	v_xor_b32_e32 v6, s13, v6
	v_cmp_gt_i32_e64 s13, 0, v5
	v_and_b32_e32 v2, exec_lo, v2
	v_not_b32_e32 v5, v7
	v_ashrrev_i32_e32 v4, 31, v4
	v_xor_b32_e32 v3, vcc_lo, v3
	v_cmp_gt_i32_e32 vcc_lo, 0, v7
	v_and_b32_e32 v2, v2, v6
	v_not_b32_e32 v6, v29
	v_ashrrev_i32_e32 v5, 31, v5
	v_xor_b32_e32 v4, s13, v4
	v_lshlrev_b32_e32 v0, 24, v0
	v_and_b32_e32 v2, v2, v3
	v_cmp_gt_i32_e64 s13, 0, v29
	v_not_b32_e32 v3, v30
	v_ashrrev_i32_e32 v6, 31, v6
	v_xor_b32_e32 v5, vcc_lo, v5
	v_and_b32_e32 v2, v2, v4
	v_cmp_gt_i32_e32 vcc_lo, 0, v30
	v_not_b32_e32 v4, v0
	v_ashrrev_i32_e32 v3, 31, v3
	v_xor_b32_e32 v6, s13, v6
	v_and_b32_e32 v2, v2, v5
	v_mul_u32_u24_e32 v1, 6, v1
	v_cmp_gt_i32_e64 s13, 0, v0
	v_ashrrev_i32_e32 v0, 31, v4
	v_xor_b32_e32 v3, vcc_lo, v3
	v_and_b32_e32 v2, v2, v6
	v_add_lshl_u32 v1, v1, v44, 2
	s_delay_alu instid0(VALU_DEP_4) | instskip(NEXT) | instid1(VALU_DEP_3)
	v_xor_b32_e32 v0, s13, v0
	v_and_b32_e32 v2, v2, v3
	ds_load_b32 v29, v1 offset:24
	v_add_nc_u32_e32 v31, 24, v1
	; wave barrier
	v_and_b32_e32 v0, v2, v0
	s_delay_alu instid0(VALU_DEP_1) | instskip(SKIP_1) | instid1(VALU_DEP_2)
	v_mbcnt_lo_u32_b32 v30, v0, 0
	v_cmp_ne_u32_e64 s13, 0, v0
	v_cmp_eq_u32_e32 vcc_lo, 0, v30
	s_delay_alu instid0(VALU_DEP_2) | instskip(NEXT) | instid1(SALU_CYCLE_1)
	s_and_b32 s25, s13, vcc_lo
	s_and_saveexec_b32 s13, s25
	s_cbranch_execz .LBB310_10
; %bb.9:                                ;   in Loop: Header=BB310_4 Depth=2
	s_waitcnt lgkmcnt(0)
	v_bcnt_u32_b32 v0, v0, v29
	ds_store_b32 v31, v0
.LBB310_10:                             ;   in Loop: Header=BB310_4 Depth=2
	s_or_b32 exec_lo, exec_lo, s13
	v_lshrrev_b64 v[0:1], s22, v[18:19]
	; wave barrier
	s_delay_alu instid0(VALU_DEP_1)
	v_and_b32_e32 v2, 1, v0
	v_lshlrev_b32_e32 v3, 30, v0
	v_lshlrev_b32_e32 v4, 29, v0
	;; [unrolled: 1-line block ×4, first 2 shown]
	v_add_co_u32 v2, s13, v2, -1
	s_delay_alu instid0(VALU_DEP_1)
	v_cndmask_b32_e64 v6, 0, 1, s13
	v_not_b32_e32 v52, v3
	v_cmp_gt_i32_e64 s13, 0, v3
	v_not_b32_e32 v3, v4
	v_lshlrev_b32_e32 v50, 26, v0
	v_cmp_ne_u32_e32 vcc_lo, 0, v6
	v_ashrrev_i32_e32 v6, 31, v52
	v_lshlrev_b32_e32 v51, 25, v0
	v_ashrrev_i32_e32 v3, 31, v3
	v_and_b32_e32 v1, 0xff, v0
	v_xor_b32_e32 v2, vcc_lo, v2
	v_cmp_gt_i32_e32 vcc_lo, 0, v4
	v_not_b32_e32 v4, v5
	v_xor_b32_e32 v6, s13, v6
	v_cmp_gt_i32_e64 s13, 0, v5
	v_and_b32_e32 v2, exec_lo, v2
	v_not_b32_e32 v5, v7
	v_ashrrev_i32_e32 v4, 31, v4
	v_xor_b32_e32 v3, vcc_lo, v3
	v_cmp_gt_i32_e32 vcc_lo, 0, v7
	v_and_b32_e32 v2, v2, v6
	v_not_b32_e32 v6, v50
	v_ashrrev_i32_e32 v5, 31, v5
	v_xor_b32_e32 v4, s13, v4
	v_lshlrev_b32_e32 v0, 24, v0
	v_and_b32_e32 v2, v2, v3
	v_cmp_gt_i32_e64 s13, 0, v50
	v_not_b32_e32 v3, v51
	v_ashrrev_i32_e32 v6, 31, v6
	v_xor_b32_e32 v5, vcc_lo, v5
	v_and_b32_e32 v2, v2, v4
	v_cmp_gt_i32_e32 vcc_lo, 0, v51
	v_not_b32_e32 v4, v0
	v_ashrrev_i32_e32 v3, 31, v3
	v_xor_b32_e32 v6, s13, v6
	v_and_b32_e32 v2, v2, v5
	v_mul_u32_u24_e32 v1, 6, v1
	v_cmp_gt_i32_e64 s13, 0, v0
	v_ashrrev_i32_e32 v0, 31, v4
	v_xor_b32_e32 v3, vcc_lo, v3
	v_and_b32_e32 v2, v2, v6
	v_add_lshl_u32 v1, v1, v44, 2
	s_delay_alu instid0(VALU_DEP_4) | instskip(NEXT) | instid1(VALU_DEP_3)
	v_xor_b32_e32 v0, s13, v0
	v_and_b32_e32 v2, v2, v3
	ds_load_b32 v50, v1 offset:24
	v_add_nc_u32_e32 v52, 24, v1
	; wave barrier
	v_and_b32_e32 v0, v2, v0
	s_delay_alu instid0(VALU_DEP_1) | instskip(SKIP_1) | instid1(VALU_DEP_2)
	v_mbcnt_lo_u32_b32 v51, v0, 0
	v_cmp_ne_u32_e64 s13, 0, v0
	v_cmp_eq_u32_e32 vcc_lo, 0, v51
	s_delay_alu instid0(VALU_DEP_2) | instskip(NEXT) | instid1(SALU_CYCLE_1)
	s_and_b32 s25, s13, vcc_lo
	s_and_saveexec_b32 s13, s25
	s_cbranch_execz .LBB310_12
; %bb.11:                               ;   in Loop: Header=BB310_4 Depth=2
	s_waitcnt lgkmcnt(0)
	v_bcnt_u32_b32 v0, v0, v50
	ds_store_b32 v52, v0
.LBB310_12:                             ;   in Loop: Header=BB310_4 Depth=2
	s_or_b32 exec_lo, exec_lo, s13
	v_lshrrev_b64 v[0:1], s22, v[16:17]
	; wave barrier
	s_delay_alu instid0(VALU_DEP_1)
	v_and_b32_e32 v2, 1, v0
	v_lshlrev_b32_e32 v3, 30, v0
	v_lshlrev_b32_e32 v4, 29, v0
	;; [unrolled: 1-line block ×4, first 2 shown]
	v_add_co_u32 v2, s13, v2, -1
	s_delay_alu instid0(VALU_DEP_1)
	v_cndmask_b32_e64 v6, 0, 1, s13
	v_not_b32_e32 v55, v3
	v_cmp_gt_i32_e64 s13, 0, v3
	v_not_b32_e32 v3, v4
	v_lshlrev_b32_e32 v53, 26, v0
	v_cmp_ne_u32_e32 vcc_lo, 0, v6
	v_ashrrev_i32_e32 v6, 31, v55
	v_lshlrev_b32_e32 v54, 25, v0
	v_ashrrev_i32_e32 v3, 31, v3
	v_and_b32_e32 v1, 0xff, v0
	v_xor_b32_e32 v2, vcc_lo, v2
	v_cmp_gt_i32_e32 vcc_lo, 0, v4
	v_not_b32_e32 v4, v5
	v_xor_b32_e32 v6, s13, v6
	v_cmp_gt_i32_e64 s13, 0, v5
	v_and_b32_e32 v2, exec_lo, v2
	v_not_b32_e32 v5, v7
	v_ashrrev_i32_e32 v4, 31, v4
	v_xor_b32_e32 v3, vcc_lo, v3
	v_cmp_gt_i32_e32 vcc_lo, 0, v7
	v_and_b32_e32 v2, v2, v6
	v_not_b32_e32 v6, v53
	v_ashrrev_i32_e32 v5, 31, v5
	v_xor_b32_e32 v4, s13, v4
	v_lshlrev_b32_e32 v0, 24, v0
	v_and_b32_e32 v2, v2, v3
	v_cmp_gt_i32_e64 s13, 0, v53
	v_not_b32_e32 v3, v54
	v_ashrrev_i32_e32 v6, 31, v6
	v_xor_b32_e32 v5, vcc_lo, v5
	v_and_b32_e32 v2, v2, v4
	v_cmp_gt_i32_e32 vcc_lo, 0, v54
	v_not_b32_e32 v4, v0
	v_ashrrev_i32_e32 v3, 31, v3
	v_xor_b32_e32 v6, s13, v6
	v_and_b32_e32 v2, v2, v5
	v_mul_u32_u24_e32 v1, 6, v1
	v_cmp_gt_i32_e64 s13, 0, v0
	v_ashrrev_i32_e32 v0, 31, v4
	v_xor_b32_e32 v3, vcc_lo, v3
	v_and_b32_e32 v2, v2, v6
	v_add_lshl_u32 v1, v1, v44, 2
	s_delay_alu instid0(VALU_DEP_4) | instskip(NEXT) | instid1(VALU_DEP_3)
	v_xor_b32_e32 v0, s13, v0
	v_and_b32_e32 v2, v2, v3
	ds_load_b32 v53, v1 offset:24
	v_add_nc_u32_e32 v55, 24, v1
	; wave barrier
	v_and_b32_e32 v0, v2, v0
	s_delay_alu instid0(VALU_DEP_1) | instskip(SKIP_1) | instid1(VALU_DEP_2)
	v_mbcnt_lo_u32_b32 v54, v0, 0
	v_cmp_ne_u32_e64 s13, 0, v0
	v_cmp_eq_u32_e32 vcc_lo, 0, v54
	s_delay_alu instid0(VALU_DEP_2) | instskip(NEXT) | instid1(SALU_CYCLE_1)
	s_and_b32 s25, s13, vcc_lo
	s_and_saveexec_b32 s13, s25
	s_cbranch_execz .LBB310_14
; %bb.13:                               ;   in Loop: Header=BB310_4 Depth=2
	s_waitcnt lgkmcnt(0)
	v_bcnt_u32_b32 v0, v0, v53
	ds_store_b32 v55, v0
.LBB310_14:                             ;   in Loop: Header=BB310_4 Depth=2
	s_or_b32 exec_lo, exec_lo, s13
	v_lshrrev_b64 v[0:1], s22, v[14:15]
	; wave barrier
	s_delay_alu instid0(VALU_DEP_1)
	v_and_b32_e32 v2, 1, v0
	v_lshlrev_b32_e32 v3, 30, v0
	v_lshlrev_b32_e32 v4, 29, v0
	;; [unrolled: 1-line block ×4, first 2 shown]
	v_add_co_u32 v2, s13, v2, -1
	s_delay_alu instid0(VALU_DEP_1)
	v_cndmask_b32_e64 v6, 0, 1, s13
	v_not_b32_e32 v58, v3
	v_cmp_gt_i32_e64 s13, 0, v3
	v_not_b32_e32 v3, v4
	v_lshlrev_b32_e32 v56, 26, v0
	v_cmp_ne_u32_e32 vcc_lo, 0, v6
	v_ashrrev_i32_e32 v6, 31, v58
	v_lshlrev_b32_e32 v57, 25, v0
	v_ashrrev_i32_e32 v3, 31, v3
	v_and_b32_e32 v1, 0xff, v0
	v_xor_b32_e32 v2, vcc_lo, v2
	v_cmp_gt_i32_e32 vcc_lo, 0, v4
	v_not_b32_e32 v4, v5
	v_xor_b32_e32 v6, s13, v6
	v_cmp_gt_i32_e64 s13, 0, v5
	v_and_b32_e32 v2, exec_lo, v2
	v_not_b32_e32 v5, v7
	v_ashrrev_i32_e32 v4, 31, v4
	v_xor_b32_e32 v3, vcc_lo, v3
	v_cmp_gt_i32_e32 vcc_lo, 0, v7
	v_and_b32_e32 v2, v2, v6
	v_not_b32_e32 v6, v56
	v_ashrrev_i32_e32 v5, 31, v5
	v_xor_b32_e32 v4, s13, v4
	v_lshlrev_b32_e32 v0, 24, v0
	v_and_b32_e32 v2, v2, v3
	v_cmp_gt_i32_e64 s13, 0, v56
	v_not_b32_e32 v3, v57
	v_ashrrev_i32_e32 v6, 31, v6
	v_xor_b32_e32 v5, vcc_lo, v5
	v_and_b32_e32 v2, v2, v4
	v_cmp_gt_i32_e32 vcc_lo, 0, v57
	v_not_b32_e32 v4, v0
	v_ashrrev_i32_e32 v3, 31, v3
	v_xor_b32_e32 v6, s13, v6
	v_and_b32_e32 v2, v2, v5
	v_mul_u32_u24_e32 v1, 6, v1
	v_cmp_gt_i32_e64 s13, 0, v0
	v_ashrrev_i32_e32 v0, 31, v4
	v_xor_b32_e32 v3, vcc_lo, v3
	v_and_b32_e32 v2, v2, v6
	v_add_lshl_u32 v1, v1, v44, 2
	s_delay_alu instid0(VALU_DEP_4) | instskip(NEXT) | instid1(VALU_DEP_3)
	v_xor_b32_e32 v0, s13, v0
	v_and_b32_e32 v2, v2, v3
	ds_load_b32 v56, v1 offset:24
	v_add_nc_u32_e32 v58, 24, v1
	; wave barrier
	v_and_b32_e32 v0, v2, v0
	s_delay_alu instid0(VALU_DEP_1) | instskip(SKIP_1) | instid1(VALU_DEP_2)
	v_mbcnt_lo_u32_b32 v57, v0, 0
	v_cmp_ne_u32_e64 s13, 0, v0
	v_cmp_eq_u32_e32 vcc_lo, 0, v57
	s_delay_alu instid0(VALU_DEP_2) | instskip(NEXT) | instid1(SALU_CYCLE_1)
	s_and_b32 s25, s13, vcc_lo
	s_and_saveexec_b32 s13, s25
	s_cbranch_execz .LBB310_16
; %bb.15:                               ;   in Loop: Header=BB310_4 Depth=2
	s_waitcnt lgkmcnt(0)
	v_bcnt_u32_b32 v0, v0, v56
	ds_store_b32 v58, v0
.LBB310_16:                             ;   in Loop: Header=BB310_4 Depth=2
	s_or_b32 exec_lo, exec_lo, s13
	v_lshrrev_b64 v[0:1], s22, v[12:13]
	; wave barrier
	s_delay_alu instid0(VALU_DEP_1)
	v_and_b32_e32 v2, 1, v0
	v_lshlrev_b32_e32 v3, 30, v0
	v_lshlrev_b32_e32 v4, 29, v0
	;; [unrolled: 1-line block ×4, first 2 shown]
	v_add_co_u32 v2, s13, v2, -1
	s_delay_alu instid0(VALU_DEP_1)
	v_cndmask_b32_e64 v6, 0, 1, s13
	v_not_b32_e32 v61, v3
	v_cmp_gt_i32_e64 s13, 0, v3
	v_not_b32_e32 v3, v4
	v_lshlrev_b32_e32 v59, 26, v0
	v_cmp_ne_u32_e32 vcc_lo, 0, v6
	v_ashrrev_i32_e32 v6, 31, v61
	v_lshlrev_b32_e32 v60, 25, v0
	v_ashrrev_i32_e32 v3, 31, v3
	v_and_b32_e32 v1, 0xff, v0
	v_xor_b32_e32 v2, vcc_lo, v2
	v_cmp_gt_i32_e32 vcc_lo, 0, v4
	v_not_b32_e32 v4, v5
	v_xor_b32_e32 v6, s13, v6
	v_cmp_gt_i32_e64 s13, 0, v5
	v_and_b32_e32 v2, exec_lo, v2
	v_not_b32_e32 v5, v7
	v_ashrrev_i32_e32 v4, 31, v4
	v_xor_b32_e32 v3, vcc_lo, v3
	v_cmp_gt_i32_e32 vcc_lo, 0, v7
	v_and_b32_e32 v2, v2, v6
	v_not_b32_e32 v6, v59
	v_ashrrev_i32_e32 v5, 31, v5
	v_xor_b32_e32 v4, s13, v4
	v_lshlrev_b32_e32 v0, 24, v0
	v_and_b32_e32 v2, v2, v3
	v_cmp_gt_i32_e64 s13, 0, v59
	v_not_b32_e32 v3, v60
	v_ashrrev_i32_e32 v6, 31, v6
	v_xor_b32_e32 v5, vcc_lo, v5
	v_and_b32_e32 v2, v2, v4
	v_cmp_gt_i32_e32 vcc_lo, 0, v60
	v_not_b32_e32 v4, v0
	v_ashrrev_i32_e32 v3, 31, v3
	v_xor_b32_e32 v6, s13, v6
	v_and_b32_e32 v2, v2, v5
	v_mul_u32_u24_e32 v1, 6, v1
	v_cmp_gt_i32_e64 s13, 0, v0
	v_ashrrev_i32_e32 v0, 31, v4
	v_xor_b32_e32 v3, vcc_lo, v3
	v_and_b32_e32 v2, v2, v6
	v_add_lshl_u32 v1, v1, v44, 2
	s_delay_alu instid0(VALU_DEP_4) | instskip(NEXT) | instid1(VALU_DEP_3)
	v_xor_b32_e32 v0, s13, v0
	v_and_b32_e32 v2, v2, v3
	ds_load_b32 v59, v1 offset:24
	v_add_nc_u32_e32 v61, 24, v1
	; wave barrier
	v_and_b32_e32 v0, v2, v0
	s_delay_alu instid0(VALU_DEP_1) | instskip(SKIP_1) | instid1(VALU_DEP_2)
	v_mbcnt_lo_u32_b32 v60, v0, 0
	v_cmp_ne_u32_e64 s13, 0, v0
	v_cmp_eq_u32_e32 vcc_lo, 0, v60
	s_delay_alu instid0(VALU_DEP_2) | instskip(NEXT) | instid1(SALU_CYCLE_1)
	s_and_b32 s25, s13, vcc_lo
	s_and_saveexec_b32 s13, s25
	s_cbranch_execz .LBB310_18
; %bb.17:                               ;   in Loop: Header=BB310_4 Depth=2
	s_waitcnt lgkmcnt(0)
	v_bcnt_u32_b32 v0, v0, v59
	ds_store_b32 v61, v0
.LBB310_18:                             ;   in Loop: Header=BB310_4 Depth=2
	s_or_b32 exec_lo, exec_lo, s13
	v_lshrrev_b64 v[0:1], s22, v[10:11]
	; wave barrier
	s_delay_alu instid0(VALU_DEP_1)
	v_and_b32_e32 v2, 1, v0
	v_lshlrev_b32_e32 v3, 30, v0
	v_lshlrev_b32_e32 v4, 29, v0
	;; [unrolled: 1-line block ×4, first 2 shown]
	v_add_co_u32 v2, s13, v2, -1
	s_delay_alu instid0(VALU_DEP_1)
	v_cndmask_b32_e64 v6, 0, 1, s13
	v_not_b32_e32 v64, v3
	v_cmp_gt_i32_e64 s13, 0, v3
	v_not_b32_e32 v3, v4
	v_lshlrev_b32_e32 v62, 26, v0
	v_cmp_ne_u32_e32 vcc_lo, 0, v6
	v_ashrrev_i32_e32 v6, 31, v64
	v_lshlrev_b32_e32 v63, 25, v0
	v_ashrrev_i32_e32 v3, 31, v3
	v_and_b32_e32 v1, 0xff, v0
	v_xor_b32_e32 v2, vcc_lo, v2
	v_cmp_gt_i32_e32 vcc_lo, 0, v4
	v_not_b32_e32 v4, v5
	v_xor_b32_e32 v6, s13, v6
	v_cmp_gt_i32_e64 s13, 0, v5
	v_and_b32_e32 v2, exec_lo, v2
	v_not_b32_e32 v5, v7
	v_ashrrev_i32_e32 v4, 31, v4
	v_xor_b32_e32 v3, vcc_lo, v3
	v_cmp_gt_i32_e32 vcc_lo, 0, v7
	v_and_b32_e32 v2, v2, v6
	v_not_b32_e32 v6, v62
	v_ashrrev_i32_e32 v5, 31, v5
	v_xor_b32_e32 v4, s13, v4
	v_lshlrev_b32_e32 v0, 24, v0
	v_and_b32_e32 v2, v2, v3
	v_cmp_gt_i32_e64 s13, 0, v62
	v_not_b32_e32 v3, v63
	v_ashrrev_i32_e32 v6, 31, v6
	v_xor_b32_e32 v5, vcc_lo, v5
	v_and_b32_e32 v2, v2, v4
	v_cmp_gt_i32_e32 vcc_lo, 0, v63
	v_not_b32_e32 v4, v0
	v_ashrrev_i32_e32 v3, 31, v3
	v_xor_b32_e32 v6, s13, v6
	v_and_b32_e32 v2, v2, v5
	v_mul_u32_u24_e32 v1, 6, v1
	v_cmp_gt_i32_e64 s13, 0, v0
	v_ashrrev_i32_e32 v0, 31, v4
	v_xor_b32_e32 v3, vcc_lo, v3
	v_and_b32_e32 v2, v2, v6
	v_add_lshl_u32 v1, v1, v44, 2
	s_delay_alu instid0(VALU_DEP_4) | instskip(NEXT) | instid1(VALU_DEP_3)
	v_xor_b32_e32 v0, s13, v0
	v_and_b32_e32 v2, v2, v3
	ds_load_b32 v62, v1 offset:24
	v_add_nc_u32_e32 v64, 24, v1
	; wave barrier
	v_and_b32_e32 v0, v2, v0
	s_delay_alu instid0(VALU_DEP_1) | instskip(SKIP_1) | instid1(VALU_DEP_2)
	v_mbcnt_lo_u32_b32 v63, v0, 0
	v_cmp_ne_u32_e64 s13, 0, v0
	v_cmp_eq_u32_e32 vcc_lo, 0, v63
	s_delay_alu instid0(VALU_DEP_2) | instskip(NEXT) | instid1(SALU_CYCLE_1)
	s_and_b32 s25, s13, vcc_lo
	s_and_saveexec_b32 s13, s25
	s_cbranch_execz .LBB310_20
; %bb.19:                               ;   in Loop: Header=BB310_4 Depth=2
	s_waitcnt lgkmcnt(0)
	v_bcnt_u32_b32 v0, v0, v62
	ds_store_b32 v64, v0
.LBB310_20:                             ;   in Loop: Header=BB310_4 Depth=2
	s_or_b32 exec_lo, exec_lo, s13
	; wave barrier
	s_waitcnt lgkmcnt(0)
	s_barrier
	buffer_gl0_inv
	ds_load_2addr_b64 v[4:7], v39 offset0:3 offset1:4
	ds_load_2addr_b64 v[0:3], v43 offset0:2 offset1:3
	s_waitcnt lgkmcnt(1)
	v_add_nc_u32_e32 v65, v5, v4
	s_delay_alu instid0(VALU_DEP_1) | instskip(SKIP_1) | instid1(VALU_DEP_1)
	v_add3_u32 v65, v65, v6, v7
	s_waitcnt lgkmcnt(0)
	v_add3_u32 v65, v65, v0, v1
	s_delay_alu instid0(VALU_DEP_1) | instskip(NEXT) | instid1(VALU_DEP_1)
	v_add3_u32 v3, v65, v2, v3
	v_mov_b32_dpp v65, v3 row_shr:1 row_mask:0xf bank_mask:0xf
	s_delay_alu instid0(VALU_DEP_1) | instskip(NEXT) | instid1(VALU_DEP_1)
	v_cndmask_b32_e64 v65, v65, 0, s0
	v_add_nc_u32_e32 v3, v65, v3
	s_delay_alu instid0(VALU_DEP_1) | instskip(NEXT) | instid1(VALU_DEP_1)
	v_mov_b32_dpp v65, v3 row_shr:2 row_mask:0xf bank_mask:0xf
	v_cndmask_b32_e64 v65, 0, v65, s1
	s_delay_alu instid0(VALU_DEP_1) | instskip(NEXT) | instid1(VALU_DEP_1)
	v_add_nc_u32_e32 v3, v3, v65
	v_mov_b32_dpp v65, v3 row_shr:4 row_mask:0xf bank_mask:0xf
	s_delay_alu instid0(VALU_DEP_1) | instskip(NEXT) | instid1(VALU_DEP_1)
	v_cndmask_b32_e64 v65, 0, v65, s2
	v_add_nc_u32_e32 v3, v3, v65
	s_delay_alu instid0(VALU_DEP_1) | instskip(NEXT) | instid1(VALU_DEP_1)
	v_mov_b32_dpp v65, v3 row_shr:8 row_mask:0xf bank_mask:0xf
	v_cndmask_b32_e64 v65, 0, v65, s3
	s_delay_alu instid0(VALU_DEP_1) | instskip(SKIP_3) | instid1(VALU_DEP_1)
	v_add_nc_u32_e32 v3, v3, v65
	ds_swizzle_b32 v65, v3 offset:swizzle(BROADCAST,32,15)
	s_waitcnt lgkmcnt(0)
	v_cndmask_b32_e64 v65, v65, 0, s4
	v_add_nc_u32_e32 v3, v3, v65
	s_and_saveexec_b32 s13, s5
	s_cbranch_execz .LBB310_22
; %bb.21:                               ;   in Loop: Header=BB310_4 Depth=2
	ds_store_b32 v46, v3
.LBB310_22:                             ;   in Loop: Header=BB310_4 Depth=2
	s_or_b32 exec_lo, exec_lo, s13
	s_waitcnt lgkmcnt(0)
	s_barrier
	buffer_gl0_inv
	s_and_saveexec_b32 s13, s6
	s_cbranch_execz .LBB310_24
; %bb.23:                               ;   in Loop: Header=BB310_4 Depth=2
	ds_load_b32 v65, v47
	s_waitcnt lgkmcnt(0)
	v_mov_b32_dpp v66, v65 row_shr:1 row_mask:0xf bank_mask:0xf
	s_delay_alu instid0(VALU_DEP_1) | instskip(NEXT) | instid1(VALU_DEP_1)
	v_cndmask_b32_e64 v66, v66, 0, s10
	v_add_nc_u32_e32 v65, v66, v65
	s_delay_alu instid0(VALU_DEP_1) | instskip(NEXT) | instid1(VALU_DEP_1)
	v_mov_b32_dpp v66, v65 row_shr:2 row_mask:0xf bank_mask:0xf
	v_cndmask_b32_e64 v66, 0, v66, s11
	s_delay_alu instid0(VALU_DEP_1) | instskip(NEXT) | instid1(VALU_DEP_1)
	v_add_nc_u32_e32 v65, v65, v66
	v_mov_b32_dpp v66, v65 row_shr:4 row_mask:0xf bank_mask:0xf
	s_delay_alu instid0(VALU_DEP_1) | instskip(NEXT) | instid1(VALU_DEP_1)
	v_cndmask_b32_e64 v66, 0, v66, s12
	v_add_nc_u32_e32 v65, v65, v66
	ds_store_b32 v47, v65
.LBB310_24:                             ;   in Loop: Header=BB310_4 Depth=2
	s_or_b32 exec_lo, exec_lo, s13
	v_mov_b32_e32 v65, 0
	s_waitcnt lgkmcnt(0)
	s_barrier
	buffer_gl0_inv
	s_and_saveexec_b32 s13, s7
	s_cbranch_execz .LBB310_26
; %bb.25:                               ;   in Loop: Header=BB310_4 Depth=2
	ds_load_b32 v65, v48
.LBB310_26:                             ;   in Loop: Header=BB310_4 Depth=2
	s_or_b32 exec_lo, exec_lo, s13
	s_waitcnt lgkmcnt(0)
	v_add_nc_u32_e32 v3, v65, v3
	s_cmp_gt_u32 s22, 55
	ds_bpermute_b32 v3, v45, v3
	s_waitcnt lgkmcnt(0)
	v_cndmask_b32_e64 v3, v3, v65, s8
	s_delay_alu instid0(VALU_DEP_1) | instskip(NEXT) | instid1(VALU_DEP_1)
	v_cndmask_b32_e64 v3, v3, 0, s9
	v_add_nc_u32_e32 v4, v3, v4
	s_delay_alu instid0(VALU_DEP_1) | instskip(NEXT) | instid1(VALU_DEP_1)
	v_add_nc_u32_e32 v5, v4, v5
	v_add_nc_u32_e32 v6, v5, v6
	s_delay_alu instid0(VALU_DEP_1) | instskip(NEXT) | instid1(VALU_DEP_1)
	v_add_nc_u32_e32 v65, v6, v7
	;; [unrolled: 3-line block ×3, first 2 shown]
	v_add_nc_u32_e32 v1, v0, v2
	ds_store_2addr_b64 v39, v[3:4], v[5:6] offset0:3 offset1:4
	ds_store_2addr_b64 v43, v[65:66], v[0:1] offset0:2 offset1:3
	s_waitcnt lgkmcnt(0)
	s_barrier
	buffer_gl0_inv
	ds_load_b32 v0, v25
	ds_load_b32 v1, v28
	;; [unrolled: 1-line block ×8, first 2 shown]
	s_waitcnt lgkmcnt(7)
	v_add_nc_u32_e32 v64, v0, v24
	s_waitcnt lgkmcnt(6)
	v_add3_u32 v61, v27, v26, v1
	s_waitcnt lgkmcnt(5)
	v_add3_u32 v58, v30, v29, v2
	s_waitcnt lgkmcnt(4)
	v_add3_u32 v55, v51, v50, v3
	s_waitcnt lgkmcnt(3)
	v_add3_u32 v53, v54, v53, v4
	s_waitcnt lgkmcnt(2)
	v_add3_u32 v52, v57, v56, v5
	s_waitcnt lgkmcnt(1)
	v_add3_u32 v51, v60, v59, v6
	s_waitcnt lgkmcnt(0)
	v_add3_u32 v50, v63, v62, v7
	s_cbranch_scc0 .LBB310_3
; %bb.27:                               ;   in Loop: Header=BB310_2 Depth=1
                                        ; implicit-def: $vgpr28_vgpr29
                                        ; implicit-def: $vgpr26_vgpr27
                                        ; implicit-def: $vgpr24_vgpr25
                                        ; implicit-def: $vgpr6_vgpr7
                                        ; implicit-def: $vgpr4_vgpr5
                                        ; implicit-def: $vgpr2_vgpr3
                                        ; implicit-def: $vgpr0_vgpr1
                                        ; implicit-def: $vgpr30_vgpr31
                                        ; implicit-def: $sgpr22_sgpr23
	s_branch .LBB310_1
.LBB310_28:
	s_add_u32 s0, s18, s14
	s_addc_u32 s1, s19, s15
	v_add_co_u32 v0, s2, s0, v32
	s_delay_alu instid0(VALU_DEP_1) | instskip(NEXT) | instid1(VALU_DEP_2)
	v_add_co_ci_u32_e64 v20, null, s1, 0, s2
	v_add_co_u32 v17, vcc_lo, 0x1000, v0
	s_delay_alu instid0(VALU_DEP_2)
	v_add_co_ci_u32_e32 v18, vcc_lo, 0, v20, vcc_lo
	v_add_co_u32 v19, vcc_lo, 0x2000, v0
	v_add_co_ci_u32_e32 v20, vcc_lo, 0, v20, vcc_lo
	s_clause 0x7
	global_store_b64 v32, v[13:14], s[0:1]
	global_store_b64 v32, v[15:16], s[0:1] offset:1536
	global_store_b64 v32, v[9:10], s[0:1] offset:3072
	global_store_b64 v[17:18], v[11:12], off offset:512
	global_store_b64 v[17:18], v[5:6], off offset:2048
	;; [unrolled: 1-line block ×5, first 2 shown]
	s_nop 0
	s_sendmsg sendmsg(MSG_DEALLOC_VGPRS)
	s_endpgm
	.section	.rodata,"a",@progbits
	.p2align	6, 0x0
	.amdhsa_kernel _Z16sort_keys_kernelI22helper_blocked_stripedxLj192ELj8ELj10EEvPKT0_PS1_
		.amdhsa_group_segment_fixed_size 12672
		.amdhsa_private_segment_fixed_size 0
		.amdhsa_kernarg_size 272
		.amdhsa_user_sgpr_count 15
		.amdhsa_user_sgpr_dispatch_ptr 0
		.amdhsa_user_sgpr_queue_ptr 0
		.amdhsa_user_sgpr_kernarg_segment_ptr 1
		.amdhsa_user_sgpr_dispatch_id 0
		.amdhsa_user_sgpr_private_segment_size 0
		.amdhsa_wavefront_size32 1
		.amdhsa_uses_dynamic_stack 0
		.amdhsa_enable_private_segment 0
		.amdhsa_system_sgpr_workgroup_id_x 1
		.amdhsa_system_sgpr_workgroup_id_y 0
		.amdhsa_system_sgpr_workgroup_id_z 0
		.amdhsa_system_sgpr_workgroup_info 0
		.amdhsa_system_vgpr_workitem_id 2
		.amdhsa_next_free_vgpr 67
		.amdhsa_next_free_sgpr 26
		.amdhsa_reserve_vcc 1
		.amdhsa_float_round_mode_32 0
		.amdhsa_float_round_mode_16_64 0
		.amdhsa_float_denorm_mode_32 3
		.amdhsa_float_denorm_mode_16_64 3
		.amdhsa_dx10_clamp 1
		.amdhsa_ieee_mode 1
		.amdhsa_fp16_overflow 0
		.amdhsa_workgroup_processor_mode 1
		.amdhsa_memory_ordered 1
		.amdhsa_forward_progress 0
		.amdhsa_shared_vgpr_count 0
		.amdhsa_exception_fp_ieee_invalid_op 0
		.amdhsa_exception_fp_denorm_src 0
		.amdhsa_exception_fp_ieee_div_zero 0
		.amdhsa_exception_fp_ieee_overflow 0
		.amdhsa_exception_fp_ieee_underflow 0
		.amdhsa_exception_fp_ieee_inexact 0
		.amdhsa_exception_int_div_zero 0
	.end_amdhsa_kernel
	.section	.text._Z16sort_keys_kernelI22helper_blocked_stripedxLj192ELj8ELj10EEvPKT0_PS1_,"axG",@progbits,_Z16sort_keys_kernelI22helper_blocked_stripedxLj192ELj8ELj10EEvPKT0_PS1_,comdat
.Lfunc_end310:
	.size	_Z16sort_keys_kernelI22helper_blocked_stripedxLj192ELj8ELj10EEvPKT0_PS1_, .Lfunc_end310-_Z16sort_keys_kernelI22helper_blocked_stripedxLj192ELj8ELj10EEvPKT0_PS1_
                                        ; -- End function
	.section	.AMDGPU.csdata,"",@progbits
; Kernel info:
; codeLenInByte = 4932
; NumSgprs: 28
; NumVgprs: 67
; ScratchSize: 0
; MemoryBound: 0
; FloatMode: 240
; IeeeMode: 1
; LDSByteSize: 12672 bytes/workgroup (compile time only)
; SGPRBlocks: 3
; VGPRBlocks: 8
; NumSGPRsForWavesPerEU: 28
; NumVGPRsForWavesPerEU: 67
; Occupancy: 15
; WaveLimiterHint : 1
; COMPUTE_PGM_RSRC2:SCRATCH_EN: 0
; COMPUTE_PGM_RSRC2:USER_SGPR: 15
; COMPUTE_PGM_RSRC2:TRAP_HANDLER: 0
; COMPUTE_PGM_RSRC2:TGID_X_EN: 1
; COMPUTE_PGM_RSRC2:TGID_Y_EN: 0
; COMPUTE_PGM_RSRC2:TGID_Z_EN: 0
; COMPUTE_PGM_RSRC2:TIDIG_COMP_CNT: 2
	.section	.text._Z17sort_pairs_kernelI22helper_blocked_stripedxLj192ELj8ELj10EEvPKT0_PS1_,"axG",@progbits,_Z17sort_pairs_kernelI22helper_blocked_stripedxLj192ELj8ELj10EEvPKT0_PS1_,comdat
	.protected	_Z17sort_pairs_kernelI22helper_blocked_stripedxLj192ELj8ELj10EEvPKT0_PS1_ ; -- Begin function _Z17sort_pairs_kernelI22helper_blocked_stripedxLj192ELj8ELj10EEvPKT0_PS1_
	.globl	_Z17sort_pairs_kernelI22helper_blocked_stripedxLj192ELj8ELj10EEvPKT0_PS1_
	.p2align	8
	.type	_Z17sort_pairs_kernelI22helper_blocked_stripedxLj192ELj8ELj10EEvPKT0_PS1_,@function
_Z17sort_pairs_kernelI22helper_blocked_stripedxLj192ELj8ELj10EEvPKT0_PS1_: ; @_Z17sort_pairs_kernelI22helper_blocked_stripedxLj192ELj8ELj10EEvPKT0_PS1_
; %bb.0:
	s_clause 0x1
	s_load_b128 s[16:19], s[0:1], 0x0
	s_load_b32 s12, s[0:1], 0x1c
	v_mbcnt_lo_u32_b32 v18, -1, 0
	s_mov_b32 s21, 0
	s_mul_i32 s20, s15, 0x600
	v_bfe_u32 v19, v0, 10, 10
	s_lshl_b64 s[14:15], s[20:21], 3
	v_add_nc_u32_e32 v22, -1, v18
	v_and_b32_e32 v20, 15, v18
	v_and_b32_e32 v23, 7, v18
	;; [unrolled: 1-line block ×3, first 2 shown]
	s_mov_b32 s20, s21
	v_cmp_gt_i32_e32 vcc_lo, 0, v22
	v_and_b32_e32 v17, 0x3ff, v0
	v_cmp_lt_u32_e64 s2, 1, v20
	v_cmp_lt_u32_e64 s3, 3, v20
	;; [unrolled: 1-line block ×3, first 2 shown]
	v_cmp_eq_u32_e64 s9, 0, v23
	v_lshlrev_b32_e32 v1, 6, v17
	v_cmp_lt_u32_e64 s10, 1, v23
	s_waitcnt lgkmcnt(0)
	s_add_u32 s0, s16, s14
	s_addc_u32 s1, s17, s15
	v_cmp_lt_u32_e64 s11, 3, v23
	s_clause 0x3
	global_load_b128 v[13:16], v1, s[0:1]
	global_load_b128 v[9:12], v1, s[0:1] offset:16
	global_load_b128 v[5:8], v1, s[0:1] offset:32
	;; [unrolled: 1-line block ×3, first 2 shown]
	v_cmp_eq_u32_e64 s1, 0, v20
	v_cndmask_b32_e32 v20, v22, v18, vcc_lo
	v_lshlrev_b32_e32 v64, 3, v17
	v_cmp_eq_u32_e64 s5, 0, v21
	v_lshrrev_b32_e32 v21, 3, v17
	v_and_b32_e32 v24, 0xe0, v17
	v_bfe_u32 v0, v0, 20, 10
	v_and_b32_e32 v23, 0x700, v64
	v_cmp_eq_u32_e64 s0, 0, v18
	v_and_b32_e32 v68, 28, v21
	v_or_b32_e32 v22, v18, v24
	v_lshlrev_b32_e32 v67, 2, v20
	v_or_b32_e32 v29, 0xa0, v23
	v_or_b32_e32 v30, 0xc0, v23
	;; [unrolled: 1-line block ×5, first 2 shown]
	v_lshrrev_b32_e32 v29, 5, v29
	v_lshrrev_b32_e32 v30, 5, v30
	v_or_b32_e32 v27, 0x60, v23
	v_or_b32_e32 v28, 0x80, v23
	v_lshrrev_b32_e32 v25, 5, v25
	v_add_lshl_u32 v77, v29, v21, 3
	v_lshrrev_b32_e32 v18, 5, v23
	v_or_b32_e32 v23, 0xe0, v23
	v_add_lshl_u32 v78, v30, v21, 3
	v_lshrrev_b32_e32 v26, 5, v26
	v_lshlrev_b32_e32 v20, 1, v22
	v_lshrrev_b32_e32 v27, 5, v27
	s_lshr_b32 s13, s12, 16
	v_lshrrev_b32_e32 v28, 5, v28
	v_add_lshl_u32 v73, v25, v21, 3
	v_min_u32_e32 v24, 0xa0, v24
	v_mad_u32_u24 v0, v0, s13, v19
	v_lshrrev_b32_e32 v23, 5, v23
	v_add_lshl_u32 v74, v26, v21, 3
	v_and_b32_e32 v20, 0x1f8, v20
	v_add_lshl_u32 v75, v27, v21, 3
	s_and_b32 s16, s12, 0xffff
	v_add_lshl_u32 v76, v28, v21, 3
	v_or_b32_e32 v24, 31, v24
	v_add_lshl_u32 v71, v18, v21, 3
	v_mad_u64_u32 v[18:19], null, v0, s16, v[17:18]
	v_add_lshl_u32 v79, v23, v21, 3
	v_lshlrev_b32_e32 v65, 5, v17
	v_lshl_add_u32 v72, v22, 6, v20
	v_cmp_eq_u32_e64 s12, v24, v17
	v_cmp_gt_u32_e64 s6, 6, v17
	v_cmp_lt_u32_e64 s7, 31, v17
	v_cmp_eq_u32_e64 s8, 0, v17
	v_lshlrev_b32_e32 v33, 2, v17
	v_mad_i32_i24 v69, 0xffffffe4, v17, v65
	v_lshrrev_b32_e32 v80, 5, v18
	v_or_b32_e32 v66, 24, v65
	v_add_nc_u32_e32 v70, -4, v68
	s_mov_b32 s16, s21
	v_add_nc_u32_e32 v81, v69, v33
	s_mov_b32 s17, s21
	s_mov_b32 s24, s21
	s_waitcnt vmcnt(3)
	v_add_co_u32 v29, vcc_lo, v13, 1
	v_add_co_ci_u32_e32 v30, vcc_lo, 0, v14, vcc_lo
	v_add_co_u32 v31, vcc_lo, v15, 1
	v_add_co_ci_u32_e32 v32, vcc_lo, 0, v16, vcc_lo
	s_waitcnt vmcnt(2)
	v_add_co_u32 v25, vcc_lo, v9, 1
	v_add_co_ci_u32_e32 v26, vcc_lo, 0, v10, vcc_lo
	v_add_co_u32 v27, vcc_lo, v11, 1
	v_add_co_ci_u32_e32 v28, vcc_lo, 0, v12, vcc_lo
	;; [unrolled: 5-line block ×4, first 2 shown]
	s_branch .LBB311_2
.LBB311_1:                              ;   in Loop: Header=BB311_2 Depth=1
	v_lshlrev_b32_e32 v0, 3, v89
	v_lshlrev_b32_e32 v40, 3, v88
	;; [unrolled: 1-line block ×3, first 2 shown]
	s_barrier
	buffer_gl0_inv
	ds_store_b64 v0, v[12:13]
	ds_store_b64 v40, v[22:23]
	;; [unrolled: 1-line block ×3, first 2 shown]
	v_lshlrev_b32_e32 v20, 3, v86
	v_lshlrev_b32_e32 v21, 3, v85
	;; [unrolled: 1-line block ×5, first 2 shown]
	ds_store_b64 v20, v[18:19]
	ds_store_b64 v21, v[16:17]
	;; [unrolled: 1-line block ×5, first 2 shown]
	s_waitcnt lgkmcnt(0)
	s_barrier
	buffer_gl0_inv
	ds_load_2addr_stride64_b64 v[13:16], v81 offset1:3
	ds_load_2addr_stride64_b64 v[9:12], v81 offset0:6 offset1:9
	ds_load_2addr_stride64_b64 v[5:8], v81 offset0:12 offset1:15
	;; [unrolled: 1-line block ×3, first 2 shown]
	s_waitcnt lgkmcnt(0)
	s_barrier
	buffer_gl0_inv
	ds_store_b64 v0, v[38:39]
	ds_store_b64 v40, v[36:37]
	;; [unrolled: 1-line block ×8, first 2 shown]
	s_waitcnt lgkmcnt(0)
	s_barrier
	buffer_gl0_inv
	ds_load_2addr_stride64_b64 v[29:32], v81 offset1:3
	ds_load_2addr_stride64_b64 v[25:28], v81 offset0:6 offset1:9
	ds_load_2addr_stride64_b64 v[21:24], v81 offset0:12 offset1:15
	;; [unrolled: 1-line block ×3, first 2 shown]
	s_add_i32 s24, s24, 1
	s_delay_alu instid0(SALU_CYCLE_1)
	s_cmp_eq_u32 s24, 10
	v_xor_b32_e32 v14, 0x80000000, v14
	v_xor_b32_e32 v16, 0x80000000, v16
	;; [unrolled: 1-line block ×8, first 2 shown]
	s_cbranch_scc1 .LBB311_28
.LBB311_2:                              ; =>This Loop Header: Depth=1
                                        ;     Child Loop BB311_4 Depth 2
	v_xor_b32_e32 v14, 0x80000000, v14
	v_xor_b32_e32 v16, 0x80000000, v16
	;; [unrolled: 1-line block ×8, first 2 shown]
	ds_store_2addr_b64 v72, v[13:14], v[15:16] offset1:1
	ds_store_2addr_b64 v72, v[9:10], v[11:12] offset0:2 offset1:3
	ds_store_2addr_b64 v72, v[5:6], v[7:8] offset0:4 offset1:5
	;; [unrolled: 1-line block ×3, first 2 shown]
	; wave barrier
	ds_load_b64 v[58:59], v71
	ds_load_b64 v[48:49], v73 offset:256
	ds_load_b64 v[50:51], v74 offset:512
	;; [unrolled: 1-line block ×7, first 2 shown]
	; wave barrier
	s_waitcnt lgkmcnt(15)
	ds_store_2addr_b64 v72, v[29:30], v[31:32] offset1:1
	s_waitcnt lgkmcnt(15)
	ds_store_2addr_b64 v72, v[25:26], v[27:28] offset0:2 offset1:3
	s_waitcnt lgkmcnt(15)
	ds_store_2addr_b64 v72, v[21:22], v[23:24] offset0:4 offset1:5
	;; [unrolled: 2-line block ×3, first 2 shown]
	; wave barrier
	ds_load_b64 v[0:1], v71
	ds_load_b64 v[2:3], v73 offset:256
	ds_load_b64 v[4:5], v74 offset:512
	;; [unrolled: 1-line block ×7, first 2 shown]
	s_mov_b64 s[22:23], 0
	s_waitcnt lgkmcnt(0)
	s_barrier
	s_branch .LBB311_4
.LBB311_3:                              ;   in Loop: Header=BB311_4 Depth=2
	v_lshrrev_b32_e32 v0, 2, v89
	v_lshrrev_b32_e32 v3, 2, v86
	;; [unrolled: 1-line block ×8, first 2 shown]
	v_and_b32_e32 v0, 0x3ffffff8, v0
	v_and_b32_e32 v3, 0x3ffffff8, v3
	;; [unrolled: 1-line block ×8, first 2 shown]
	v_lshl_add_u32 v0, v89, 3, v0
	v_lshl_add_u32 v3, v86, 3, v3
	;; [unrolled: 1-line block ×8, first 2 shown]
	s_barrier
	buffer_gl0_inv
	ds_store_b64 v0, v[12:13]
	ds_store_b64 v1, v[22:23]
	;; [unrolled: 1-line block ×8, first 2 shown]
	s_waitcnt lgkmcnt(0)
	s_barrier
	buffer_gl0_inv
	ds_load_b64 v[58:59], v71
	ds_load_b64 v[48:49], v73 offset:256
	ds_load_b64 v[50:51], v74 offset:512
	;; [unrolled: 1-line block ×7, first 2 shown]
	s_waitcnt lgkmcnt(0)
	s_barrier
	buffer_gl0_inv
	ds_store_b64 v0, v[38:39]
	ds_store_b64 v1, v[36:37]
	;; [unrolled: 1-line block ×8, first 2 shown]
	s_waitcnt lgkmcnt(0)
	s_barrier
	buffer_gl0_inv
	ds_load_b64 v[0:1], v71
	ds_load_b64 v[2:3], v73 offset:256
	ds_load_b64 v[4:5], v74 offset:512
	;; [unrolled: 1-line block ×7, first 2 shown]
	s_add_u32 s22, s22, 8
	s_addc_u32 s23, s23, 0
	s_waitcnt lgkmcnt(0)
	s_barrier
	s_cbranch_execz .LBB311_1
.LBB311_4:                              ;   Parent Loop BB311_2 Depth=1
                                        ; =>  This Inner Loop Header: Depth=2
	v_dual_mov_b32 v12, v58 :: v_dual_mov_b32 v13, v59
	v_dual_mov_b32 v8, v62 :: v_dual_mov_b32 v9, v63
	;; [unrolled: 1-line block ×3, first 2 shown]
	s_delay_alu instid0(VALU_DEP_3) | instskip(SKIP_3) | instid1(VALU_DEP_4)
	v_lshrrev_b64 v[58:59], s22, v[12:13]
	v_dual_mov_b32 v14, v56 :: v_dual_mov_b32 v15, v57
	v_dual_mov_b32 v16, v54 :: v_dual_mov_b32 v17, v55
	;; [unrolled: 1-line block ×3, first 2 shown]
	v_and_b32_e32 v24, 1, v58
	v_lshlrev_b32_e32 v25, 30, v58
	v_lshlrev_b32_e32 v26, 29, v58
	;; [unrolled: 1-line block ×4, first 2 shown]
	v_add_co_u32 v24, s13, v24, -1
	s_delay_alu instid0(VALU_DEP_1)
	v_cndmask_b32_e64 v28, 0, 1, s13
	v_not_b32_e32 v32, v25
	v_cmp_gt_i32_e64 s13, 0, v25
	v_not_b32_e32 v25, v26
	v_lshlrev_b32_e32 v30, 26, v58
	v_cmp_ne_u32_e32 vcc_lo, 0, v28
	v_ashrrev_i32_e32 v32, 31, v32
	v_lshlrev_b32_e32 v31, 25, v58
	v_ashrrev_i32_e32 v25, 31, v25
	v_lshlrev_b32_e32 v28, 24, v58
	v_xor_b32_e32 v24, vcc_lo, v24
	v_cmp_gt_i32_e32 vcc_lo, 0, v26
	v_not_b32_e32 v26, v27
	v_xor_b32_e32 v32, s13, v32
	v_cmp_gt_i32_e64 s13, 0, v27
	v_and_b32_e32 v24, exec_lo, v24
	v_not_b32_e32 v27, v29
	v_ashrrev_i32_e32 v26, 31, v26
	v_xor_b32_e32 v25, vcc_lo, v25
	v_cmp_gt_i32_e32 vcc_lo, 0, v29
	v_and_b32_e32 v24, v24, v32
	v_not_b32_e32 v29, v30
	v_ashrrev_i32_e32 v27, 31, v27
	v_xor_b32_e32 v26, s13, v26
	v_cmp_gt_i32_e64 s13, 0, v30
	v_dual_mov_b32 v37, v3 :: v_dual_and_b32 v24, v24, v25
	v_ashrrev_i32_e32 v29, 31, v29
	v_xor_b32_e32 v27, vcc_lo, v27
	v_mov_b32_e32 v36, v2
	s_delay_alu instid0(VALU_DEP_4)
	v_and_b32_e32 v24, v24, v26
	v_not_b32_e32 v26, v28
	v_xor_b32_e32 v29, s13, v29
	v_cmp_gt_i32_e64 s13, 0, v28
	v_dual_mov_b32 v20, v50 :: v_dual_mov_b32 v21, v51
	v_and_b32_e32 v27, v24, v27
	v_ashrrev_i32_e32 v32, 31, v26
	v_dual_mov_b32 v22, v48 :: v_dual_mov_b32 v23, v49
	buffer_gl0_inv
	v_and_b32_e32 v34, v27, v29
	v_mov_b32_e32 v28, v42
	v_not_b32_e32 v25, v31
	v_cmp_gt_i32_e32 vcc_lo, 0, v31
	v_xor_b32_e32 v38, s13, v32
	v_dual_mov_b32 v26, v44 :: v_dual_mov_b32 v27, v45
	s_delay_alu instid0(VALU_DEP_4) | instskip(SKIP_2) | instid1(VALU_DEP_3)
	v_ashrrev_i32_e32 v30, 31, v25
	v_dual_mov_b32 v24, v46 :: v_dual_mov_b32 v25, v47
	v_mov_b32_e32 v29, v43
	v_xor_b32_e32 v33, vcc_lo, v30
	v_dual_mov_b32 v30, v40 :: v_dual_mov_b32 v31, v41
	s_delay_alu instid0(VALU_DEP_2) | instskip(SKIP_2) | instid1(VALU_DEP_3)
	v_and_b32_e32 v39, v34, v33
	v_dual_mov_b32 v35, v5 :: v_dual_mov_b32 v34, v4
	v_dual_mov_b32 v33, v7 :: v_dual_mov_b32 v32, v6
	v_dual_mov_b32 v39, v1 :: v_dual_and_b32 v2, v39, v38
	v_mov_b32_e32 v38, v0
	v_dual_mov_b32 v3, s20 :: v_dual_and_b32 v0, 0xff, v58
	s_delay_alu instid0(VALU_DEP_3) | instskip(SKIP_2) | instid1(VALU_DEP_4)
	v_mbcnt_lo_u32_b32 v40, v2, 0
	v_cmp_ne_u32_e64 s13, 0, v2
	v_mov_b32_e32 v5, s16
	v_mad_u32_u24 v0, v0, 6, v80
	v_mov_b32_e32 v4, s21
	v_cmp_eq_u32_e32 vcc_lo, 0, v40
	v_mov_b32_e32 v6, s17
	ds_store_2addr_b64 v65, v[3:4], v[5:6] offset0:3 offset1:4
	ds_store_2addr_b64 v66, v[3:4], v[5:6] offset0:2 offset1:3
	v_lshl_add_u32 v41, v0, 2, 24
	s_and_b32 s25, s13, vcc_lo
	s_waitcnt lgkmcnt(0)
	s_barrier
	buffer_gl0_inv
	; wave barrier
	s_and_saveexec_b32 s13, s25
	s_cbranch_execz .LBB311_6
; %bb.5:                                ;   in Loop: Header=BB311_4 Depth=2
	v_bcnt_u32_b32 v0, v2, 0
	ds_store_b32 v41, v0
.LBB311_6:                              ;   in Loop: Header=BB311_4 Depth=2
	s_or_b32 exec_lo, exec_lo, s13
	v_lshrrev_b64 v[0:1], s22, v[22:23]
	; wave barrier
	s_delay_alu instid0(VALU_DEP_1)
	v_and_b32_e32 v2, 1, v0
	v_lshlrev_b32_e32 v3, 30, v0
	v_lshlrev_b32_e32 v4, 29, v0
	;; [unrolled: 1-line block ×4, first 2 shown]
	v_add_co_u32 v2, s13, v2, -1
	s_delay_alu instid0(VALU_DEP_1)
	v_cndmask_b32_e64 v6, 0, 1, s13
	v_not_b32_e32 v44, v3
	v_cmp_gt_i32_e64 s13, 0, v3
	v_not_b32_e32 v3, v4
	v_lshlrev_b32_e32 v42, 26, v0
	v_cmp_ne_u32_e32 vcc_lo, 0, v6
	v_ashrrev_i32_e32 v6, 31, v44
	v_lshlrev_b32_e32 v43, 25, v0
	v_ashrrev_i32_e32 v3, 31, v3
	v_and_b32_e32 v1, 0xff, v0
	v_xor_b32_e32 v2, vcc_lo, v2
	v_cmp_gt_i32_e32 vcc_lo, 0, v4
	v_not_b32_e32 v4, v5
	v_xor_b32_e32 v6, s13, v6
	v_cmp_gt_i32_e64 s13, 0, v5
	v_and_b32_e32 v2, exec_lo, v2
	v_not_b32_e32 v5, v7
	v_ashrrev_i32_e32 v4, 31, v4
	v_xor_b32_e32 v3, vcc_lo, v3
	v_cmp_gt_i32_e32 vcc_lo, 0, v7
	v_and_b32_e32 v2, v2, v6
	v_not_b32_e32 v6, v42
	v_ashrrev_i32_e32 v5, 31, v5
	v_xor_b32_e32 v4, s13, v4
	v_lshlrev_b32_e32 v0, 24, v0
	v_and_b32_e32 v2, v2, v3
	v_cmp_gt_i32_e64 s13, 0, v42
	v_not_b32_e32 v3, v43
	v_ashrrev_i32_e32 v6, 31, v6
	v_xor_b32_e32 v5, vcc_lo, v5
	v_and_b32_e32 v2, v2, v4
	v_cmp_gt_i32_e32 vcc_lo, 0, v43
	v_not_b32_e32 v4, v0
	v_ashrrev_i32_e32 v3, 31, v3
	v_xor_b32_e32 v6, s13, v6
	v_and_b32_e32 v2, v2, v5
	v_mul_u32_u24_e32 v1, 6, v1
	v_cmp_gt_i32_e64 s13, 0, v0
	v_ashrrev_i32_e32 v0, 31, v4
	v_xor_b32_e32 v3, vcc_lo, v3
	v_and_b32_e32 v2, v2, v6
	v_add_lshl_u32 v1, v1, v80, 2
	s_delay_alu instid0(VALU_DEP_4) | instskip(NEXT) | instid1(VALU_DEP_3)
	v_xor_b32_e32 v0, s13, v0
	v_and_b32_e32 v2, v2, v3
	ds_load_b32 v42, v1 offset:24
	v_add_nc_u32_e32 v44, 24, v1
	; wave barrier
	v_and_b32_e32 v0, v2, v0
	s_delay_alu instid0(VALU_DEP_1) | instskip(SKIP_1) | instid1(VALU_DEP_2)
	v_mbcnt_lo_u32_b32 v43, v0, 0
	v_cmp_ne_u32_e64 s13, 0, v0
	v_cmp_eq_u32_e32 vcc_lo, 0, v43
	s_delay_alu instid0(VALU_DEP_2) | instskip(NEXT) | instid1(SALU_CYCLE_1)
	s_and_b32 s25, s13, vcc_lo
	s_and_saveexec_b32 s13, s25
	s_cbranch_execz .LBB311_8
; %bb.7:                                ;   in Loop: Header=BB311_4 Depth=2
	s_waitcnt lgkmcnt(0)
	v_bcnt_u32_b32 v0, v0, v42
	ds_store_b32 v44, v0
.LBB311_8:                              ;   in Loop: Header=BB311_4 Depth=2
	s_or_b32 exec_lo, exec_lo, s13
	v_lshrrev_b64 v[0:1], s22, v[20:21]
	; wave barrier
	s_delay_alu instid0(VALU_DEP_1)
	v_and_b32_e32 v2, 1, v0
	v_lshlrev_b32_e32 v3, 30, v0
	v_lshlrev_b32_e32 v4, 29, v0
	;; [unrolled: 1-line block ×4, first 2 shown]
	v_add_co_u32 v2, s13, v2, -1
	s_delay_alu instid0(VALU_DEP_1)
	v_cndmask_b32_e64 v6, 0, 1, s13
	v_not_b32_e32 v47, v3
	v_cmp_gt_i32_e64 s13, 0, v3
	v_not_b32_e32 v3, v4
	v_lshlrev_b32_e32 v45, 26, v0
	v_cmp_ne_u32_e32 vcc_lo, 0, v6
	v_ashrrev_i32_e32 v6, 31, v47
	v_lshlrev_b32_e32 v46, 25, v0
	v_ashrrev_i32_e32 v3, 31, v3
	v_and_b32_e32 v1, 0xff, v0
	v_xor_b32_e32 v2, vcc_lo, v2
	v_cmp_gt_i32_e32 vcc_lo, 0, v4
	v_not_b32_e32 v4, v5
	v_xor_b32_e32 v6, s13, v6
	v_cmp_gt_i32_e64 s13, 0, v5
	v_and_b32_e32 v2, exec_lo, v2
	v_not_b32_e32 v5, v7
	v_ashrrev_i32_e32 v4, 31, v4
	v_xor_b32_e32 v3, vcc_lo, v3
	v_cmp_gt_i32_e32 vcc_lo, 0, v7
	v_and_b32_e32 v2, v2, v6
	v_not_b32_e32 v6, v45
	v_ashrrev_i32_e32 v5, 31, v5
	v_xor_b32_e32 v4, s13, v4
	v_lshlrev_b32_e32 v0, 24, v0
	v_and_b32_e32 v2, v2, v3
	v_cmp_gt_i32_e64 s13, 0, v45
	v_not_b32_e32 v3, v46
	v_ashrrev_i32_e32 v6, 31, v6
	v_xor_b32_e32 v5, vcc_lo, v5
	v_and_b32_e32 v2, v2, v4
	v_cmp_gt_i32_e32 vcc_lo, 0, v46
	v_not_b32_e32 v4, v0
	v_ashrrev_i32_e32 v3, 31, v3
	v_xor_b32_e32 v6, s13, v6
	v_and_b32_e32 v2, v2, v5
	v_mul_u32_u24_e32 v1, 6, v1
	v_cmp_gt_i32_e64 s13, 0, v0
	v_ashrrev_i32_e32 v0, 31, v4
	v_xor_b32_e32 v3, vcc_lo, v3
	v_and_b32_e32 v2, v2, v6
	v_add_lshl_u32 v1, v1, v80, 2
	s_delay_alu instid0(VALU_DEP_4) | instskip(NEXT) | instid1(VALU_DEP_3)
	v_xor_b32_e32 v0, s13, v0
	v_and_b32_e32 v2, v2, v3
	ds_load_b32 v45, v1 offset:24
	v_add_nc_u32_e32 v47, 24, v1
	; wave barrier
	v_and_b32_e32 v0, v2, v0
	s_delay_alu instid0(VALU_DEP_1) | instskip(SKIP_1) | instid1(VALU_DEP_2)
	v_mbcnt_lo_u32_b32 v46, v0, 0
	v_cmp_ne_u32_e64 s13, 0, v0
	v_cmp_eq_u32_e32 vcc_lo, 0, v46
	s_delay_alu instid0(VALU_DEP_2) | instskip(NEXT) | instid1(SALU_CYCLE_1)
	s_and_b32 s25, s13, vcc_lo
	s_and_saveexec_b32 s13, s25
	s_cbranch_execz .LBB311_10
; %bb.9:                                ;   in Loop: Header=BB311_4 Depth=2
	s_waitcnt lgkmcnt(0)
	v_bcnt_u32_b32 v0, v0, v45
	ds_store_b32 v47, v0
.LBB311_10:                             ;   in Loop: Header=BB311_4 Depth=2
	s_or_b32 exec_lo, exec_lo, s13
	v_lshrrev_b64 v[0:1], s22, v[18:19]
	; wave barrier
	s_delay_alu instid0(VALU_DEP_1)
	v_and_b32_e32 v2, 1, v0
	v_lshlrev_b32_e32 v3, 30, v0
	v_lshlrev_b32_e32 v4, 29, v0
	;; [unrolled: 1-line block ×4, first 2 shown]
	v_add_co_u32 v2, s13, v2, -1
	s_delay_alu instid0(VALU_DEP_1)
	v_cndmask_b32_e64 v6, 0, 1, s13
	v_not_b32_e32 v50, v3
	v_cmp_gt_i32_e64 s13, 0, v3
	v_not_b32_e32 v3, v4
	v_lshlrev_b32_e32 v48, 26, v0
	v_cmp_ne_u32_e32 vcc_lo, 0, v6
	v_ashrrev_i32_e32 v6, 31, v50
	v_lshlrev_b32_e32 v49, 25, v0
	v_ashrrev_i32_e32 v3, 31, v3
	v_and_b32_e32 v1, 0xff, v0
	v_xor_b32_e32 v2, vcc_lo, v2
	v_cmp_gt_i32_e32 vcc_lo, 0, v4
	v_not_b32_e32 v4, v5
	v_xor_b32_e32 v6, s13, v6
	v_cmp_gt_i32_e64 s13, 0, v5
	v_and_b32_e32 v2, exec_lo, v2
	v_not_b32_e32 v5, v7
	v_ashrrev_i32_e32 v4, 31, v4
	v_xor_b32_e32 v3, vcc_lo, v3
	v_cmp_gt_i32_e32 vcc_lo, 0, v7
	v_and_b32_e32 v2, v2, v6
	v_not_b32_e32 v6, v48
	v_ashrrev_i32_e32 v5, 31, v5
	v_xor_b32_e32 v4, s13, v4
	v_lshlrev_b32_e32 v0, 24, v0
	v_and_b32_e32 v2, v2, v3
	v_cmp_gt_i32_e64 s13, 0, v48
	v_not_b32_e32 v3, v49
	v_ashrrev_i32_e32 v6, 31, v6
	v_xor_b32_e32 v5, vcc_lo, v5
	v_and_b32_e32 v2, v2, v4
	v_cmp_gt_i32_e32 vcc_lo, 0, v49
	v_not_b32_e32 v4, v0
	v_ashrrev_i32_e32 v3, 31, v3
	v_xor_b32_e32 v6, s13, v6
	v_and_b32_e32 v2, v2, v5
	v_mul_u32_u24_e32 v1, 6, v1
	v_cmp_gt_i32_e64 s13, 0, v0
	v_ashrrev_i32_e32 v0, 31, v4
	v_xor_b32_e32 v3, vcc_lo, v3
	v_and_b32_e32 v2, v2, v6
	v_add_lshl_u32 v1, v1, v80, 2
	s_delay_alu instid0(VALU_DEP_4) | instskip(NEXT) | instid1(VALU_DEP_3)
	v_xor_b32_e32 v0, s13, v0
	v_and_b32_e32 v2, v2, v3
	ds_load_b32 v48, v1 offset:24
	v_add_nc_u32_e32 v50, 24, v1
	; wave barrier
	v_and_b32_e32 v0, v2, v0
	s_delay_alu instid0(VALU_DEP_1) | instskip(SKIP_1) | instid1(VALU_DEP_2)
	v_mbcnt_lo_u32_b32 v49, v0, 0
	v_cmp_ne_u32_e64 s13, 0, v0
	v_cmp_eq_u32_e32 vcc_lo, 0, v49
	s_delay_alu instid0(VALU_DEP_2) | instskip(NEXT) | instid1(SALU_CYCLE_1)
	s_and_b32 s25, s13, vcc_lo
	s_and_saveexec_b32 s13, s25
	s_cbranch_execz .LBB311_12
; %bb.11:                               ;   in Loop: Header=BB311_4 Depth=2
	s_waitcnt lgkmcnt(0)
	v_bcnt_u32_b32 v0, v0, v48
	ds_store_b32 v50, v0
.LBB311_12:                             ;   in Loop: Header=BB311_4 Depth=2
	s_or_b32 exec_lo, exec_lo, s13
	v_lshrrev_b64 v[0:1], s22, v[16:17]
	; wave barrier
	s_delay_alu instid0(VALU_DEP_1)
	v_and_b32_e32 v2, 1, v0
	v_lshlrev_b32_e32 v3, 30, v0
	v_lshlrev_b32_e32 v4, 29, v0
	v_lshlrev_b32_e32 v5, 28, v0
	v_lshlrev_b32_e32 v7, 27, v0
	v_add_co_u32 v2, s13, v2, -1
	s_delay_alu instid0(VALU_DEP_1)
	v_cndmask_b32_e64 v6, 0, 1, s13
	v_not_b32_e32 v53, v3
	v_cmp_gt_i32_e64 s13, 0, v3
	v_not_b32_e32 v3, v4
	v_lshlrev_b32_e32 v51, 26, v0
	v_cmp_ne_u32_e32 vcc_lo, 0, v6
	v_ashrrev_i32_e32 v6, 31, v53
	v_lshlrev_b32_e32 v52, 25, v0
	v_ashrrev_i32_e32 v3, 31, v3
	v_and_b32_e32 v1, 0xff, v0
	v_xor_b32_e32 v2, vcc_lo, v2
	v_cmp_gt_i32_e32 vcc_lo, 0, v4
	v_not_b32_e32 v4, v5
	v_xor_b32_e32 v6, s13, v6
	v_cmp_gt_i32_e64 s13, 0, v5
	v_and_b32_e32 v2, exec_lo, v2
	v_not_b32_e32 v5, v7
	v_ashrrev_i32_e32 v4, 31, v4
	v_xor_b32_e32 v3, vcc_lo, v3
	v_cmp_gt_i32_e32 vcc_lo, 0, v7
	v_and_b32_e32 v2, v2, v6
	v_not_b32_e32 v6, v51
	v_ashrrev_i32_e32 v5, 31, v5
	v_xor_b32_e32 v4, s13, v4
	v_lshlrev_b32_e32 v0, 24, v0
	v_and_b32_e32 v2, v2, v3
	v_cmp_gt_i32_e64 s13, 0, v51
	v_not_b32_e32 v3, v52
	v_ashrrev_i32_e32 v6, 31, v6
	v_xor_b32_e32 v5, vcc_lo, v5
	v_and_b32_e32 v2, v2, v4
	v_cmp_gt_i32_e32 vcc_lo, 0, v52
	v_not_b32_e32 v4, v0
	v_ashrrev_i32_e32 v3, 31, v3
	v_xor_b32_e32 v6, s13, v6
	v_and_b32_e32 v2, v2, v5
	v_mul_u32_u24_e32 v1, 6, v1
	v_cmp_gt_i32_e64 s13, 0, v0
	v_ashrrev_i32_e32 v0, 31, v4
	v_xor_b32_e32 v3, vcc_lo, v3
	v_and_b32_e32 v2, v2, v6
	v_add_lshl_u32 v1, v1, v80, 2
	s_delay_alu instid0(VALU_DEP_4) | instskip(NEXT) | instid1(VALU_DEP_3)
	v_xor_b32_e32 v0, s13, v0
	v_and_b32_e32 v2, v2, v3
	ds_load_b32 v51, v1 offset:24
	v_add_nc_u32_e32 v53, 24, v1
	; wave barrier
	v_and_b32_e32 v0, v2, v0
	s_delay_alu instid0(VALU_DEP_1) | instskip(SKIP_1) | instid1(VALU_DEP_2)
	v_mbcnt_lo_u32_b32 v52, v0, 0
	v_cmp_ne_u32_e64 s13, 0, v0
	v_cmp_eq_u32_e32 vcc_lo, 0, v52
	s_delay_alu instid0(VALU_DEP_2) | instskip(NEXT) | instid1(SALU_CYCLE_1)
	s_and_b32 s25, s13, vcc_lo
	s_and_saveexec_b32 s13, s25
	s_cbranch_execz .LBB311_14
; %bb.13:                               ;   in Loop: Header=BB311_4 Depth=2
	s_waitcnt lgkmcnt(0)
	v_bcnt_u32_b32 v0, v0, v51
	ds_store_b32 v53, v0
.LBB311_14:                             ;   in Loop: Header=BB311_4 Depth=2
	s_or_b32 exec_lo, exec_lo, s13
	v_lshrrev_b64 v[0:1], s22, v[14:15]
	; wave barrier
	s_delay_alu instid0(VALU_DEP_1)
	v_and_b32_e32 v2, 1, v0
	v_lshlrev_b32_e32 v3, 30, v0
	v_lshlrev_b32_e32 v4, 29, v0
	v_lshlrev_b32_e32 v5, 28, v0
	v_lshlrev_b32_e32 v7, 27, v0
	v_add_co_u32 v2, s13, v2, -1
	s_delay_alu instid0(VALU_DEP_1)
	v_cndmask_b32_e64 v6, 0, 1, s13
	v_not_b32_e32 v56, v3
	v_cmp_gt_i32_e64 s13, 0, v3
	v_not_b32_e32 v3, v4
	v_lshlrev_b32_e32 v54, 26, v0
	v_cmp_ne_u32_e32 vcc_lo, 0, v6
	v_ashrrev_i32_e32 v6, 31, v56
	v_lshlrev_b32_e32 v55, 25, v0
	v_ashrrev_i32_e32 v3, 31, v3
	v_and_b32_e32 v1, 0xff, v0
	v_xor_b32_e32 v2, vcc_lo, v2
	v_cmp_gt_i32_e32 vcc_lo, 0, v4
	v_not_b32_e32 v4, v5
	v_xor_b32_e32 v6, s13, v6
	v_cmp_gt_i32_e64 s13, 0, v5
	v_and_b32_e32 v2, exec_lo, v2
	v_not_b32_e32 v5, v7
	v_ashrrev_i32_e32 v4, 31, v4
	v_xor_b32_e32 v3, vcc_lo, v3
	v_cmp_gt_i32_e32 vcc_lo, 0, v7
	v_and_b32_e32 v2, v2, v6
	v_not_b32_e32 v6, v54
	v_ashrrev_i32_e32 v5, 31, v5
	v_xor_b32_e32 v4, s13, v4
	v_lshlrev_b32_e32 v0, 24, v0
	v_and_b32_e32 v2, v2, v3
	v_cmp_gt_i32_e64 s13, 0, v54
	v_not_b32_e32 v3, v55
	v_ashrrev_i32_e32 v6, 31, v6
	v_xor_b32_e32 v5, vcc_lo, v5
	v_and_b32_e32 v2, v2, v4
	v_cmp_gt_i32_e32 vcc_lo, 0, v55
	v_not_b32_e32 v4, v0
	v_ashrrev_i32_e32 v3, 31, v3
	v_xor_b32_e32 v6, s13, v6
	v_and_b32_e32 v2, v2, v5
	v_mul_u32_u24_e32 v1, 6, v1
	v_cmp_gt_i32_e64 s13, 0, v0
	v_ashrrev_i32_e32 v0, 31, v4
	v_xor_b32_e32 v3, vcc_lo, v3
	v_and_b32_e32 v2, v2, v6
	v_add_lshl_u32 v1, v1, v80, 2
	s_delay_alu instid0(VALU_DEP_4) | instskip(NEXT) | instid1(VALU_DEP_3)
	v_xor_b32_e32 v0, s13, v0
	v_and_b32_e32 v2, v2, v3
	ds_load_b32 v54, v1 offset:24
	v_add_nc_u32_e32 v56, 24, v1
	; wave barrier
	v_and_b32_e32 v0, v2, v0
	s_delay_alu instid0(VALU_DEP_1) | instskip(SKIP_1) | instid1(VALU_DEP_2)
	v_mbcnt_lo_u32_b32 v55, v0, 0
	v_cmp_ne_u32_e64 s13, 0, v0
	v_cmp_eq_u32_e32 vcc_lo, 0, v55
	s_delay_alu instid0(VALU_DEP_2) | instskip(NEXT) | instid1(SALU_CYCLE_1)
	s_and_b32 s25, s13, vcc_lo
	s_and_saveexec_b32 s13, s25
	s_cbranch_execz .LBB311_16
; %bb.15:                               ;   in Loop: Header=BB311_4 Depth=2
	s_waitcnt lgkmcnt(0)
	v_bcnt_u32_b32 v0, v0, v54
	ds_store_b32 v56, v0
.LBB311_16:                             ;   in Loop: Header=BB311_4 Depth=2
	s_or_b32 exec_lo, exec_lo, s13
	v_lshrrev_b64 v[0:1], s22, v[10:11]
	; wave barrier
	s_delay_alu instid0(VALU_DEP_1)
	v_and_b32_e32 v2, 1, v0
	v_lshlrev_b32_e32 v3, 30, v0
	v_lshlrev_b32_e32 v4, 29, v0
	;; [unrolled: 1-line block ×4, first 2 shown]
	v_add_co_u32 v2, s13, v2, -1
	s_delay_alu instid0(VALU_DEP_1)
	v_cndmask_b32_e64 v6, 0, 1, s13
	v_not_b32_e32 v59, v3
	v_cmp_gt_i32_e64 s13, 0, v3
	v_not_b32_e32 v3, v4
	v_lshlrev_b32_e32 v57, 26, v0
	v_cmp_ne_u32_e32 vcc_lo, 0, v6
	v_ashrrev_i32_e32 v6, 31, v59
	v_lshlrev_b32_e32 v58, 25, v0
	v_ashrrev_i32_e32 v3, 31, v3
	v_and_b32_e32 v1, 0xff, v0
	v_xor_b32_e32 v2, vcc_lo, v2
	v_cmp_gt_i32_e32 vcc_lo, 0, v4
	v_not_b32_e32 v4, v5
	v_xor_b32_e32 v6, s13, v6
	v_cmp_gt_i32_e64 s13, 0, v5
	v_and_b32_e32 v2, exec_lo, v2
	v_not_b32_e32 v5, v7
	v_ashrrev_i32_e32 v4, 31, v4
	v_xor_b32_e32 v3, vcc_lo, v3
	v_cmp_gt_i32_e32 vcc_lo, 0, v7
	v_and_b32_e32 v2, v2, v6
	v_not_b32_e32 v6, v57
	v_ashrrev_i32_e32 v5, 31, v5
	v_xor_b32_e32 v4, s13, v4
	v_lshlrev_b32_e32 v0, 24, v0
	v_and_b32_e32 v2, v2, v3
	v_cmp_gt_i32_e64 s13, 0, v57
	v_not_b32_e32 v3, v58
	v_ashrrev_i32_e32 v6, 31, v6
	v_xor_b32_e32 v5, vcc_lo, v5
	v_and_b32_e32 v2, v2, v4
	v_cmp_gt_i32_e32 vcc_lo, 0, v58
	v_not_b32_e32 v4, v0
	v_ashrrev_i32_e32 v3, 31, v3
	v_xor_b32_e32 v6, s13, v6
	v_and_b32_e32 v2, v2, v5
	v_mul_u32_u24_e32 v1, 6, v1
	v_cmp_gt_i32_e64 s13, 0, v0
	v_ashrrev_i32_e32 v0, 31, v4
	v_xor_b32_e32 v3, vcc_lo, v3
	v_and_b32_e32 v2, v2, v6
	v_add_lshl_u32 v1, v1, v80, 2
	s_delay_alu instid0(VALU_DEP_4) | instskip(NEXT) | instid1(VALU_DEP_3)
	v_xor_b32_e32 v0, s13, v0
	v_and_b32_e32 v2, v2, v3
	ds_load_b32 v57, v1 offset:24
	v_add_nc_u32_e32 v59, 24, v1
	; wave barrier
	v_and_b32_e32 v0, v2, v0
	s_delay_alu instid0(VALU_DEP_1) | instskip(SKIP_1) | instid1(VALU_DEP_2)
	v_mbcnt_lo_u32_b32 v58, v0, 0
	v_cmp_ne_u32_e64 s13, 0, v0
	v_cmp_eq_u32_e32 vcc_lo, 0, v58
	s_delay_alu instid0(VALU_DEP_2) | instskip(NEXT) | instid1(SALU_CYCLE_1)
	s_and_b32 s25, s13, vcc_lo
	s_and_saveexec_b32 s13, s25
	s_cbranch_execz .LBB311_18
; %bb.17:                               ;   in Loop: Header=BB311_4 Depth=2
	s_waitcnt lgkmcnt(0)
	v_bcnt_u32_b32 v0, v0, v57
	ds_store_b32 v59, v0
.LBB311_18:                             ;   in Loop: Header=BB311_4 Depth=2
	s_or_b32 exec_lo, exec_lo, s13
	v_lshrrev_b64 v[0:1], s22, v[8:9]
	; wave barrier
	s_delay_alu instid0(VALU_DEP_1)
	v_and_b32_e32 v2, 1, v0
	v_lshlrev_b32_e32 v3, 30, v0
	v_lshlrev_b32_e32 v4, 29, v0
	v_lshlrev_b32_e32 v5, 28, v0
	v_lshlrev_b32_e32 v7, 27, v0
	v_add_co_u32 v2, s13, v2, -1
	s_delay_alu instid0(VALU_DEP_1)
	v_cndmask_b32_e64 v6, 0, 1, s13
	v_not_b32_e32 v62, v3
	v_cmp_gt_i32_e64 s13, 0, v3
	v_not_b32_e32 v3, v4
	v_lshlrev_b32_e32 v60, 26, v0
	v_cmp_ne_u32_e32 vcc_lo, 0, v6
	v_ashrrev_i32_e32 v6, 31, v62
	v_lshlrev_b32_e32 v61, 25, v0
	v_ashrrev_i32_e32 v3, 31, v3
	v_and_b32_e32 v1, 0xff, v0
	v_xor_b32_e32 v2, vcc_lo, v2
	v_cmp_gt_i32_e32 vcc_lo, 0, v4
	v_not_b32_e32 v4, v5
	v_xor_b32_e32 v6, s13, v6
	v_cmp_gt_i32_e64 s13, 0, v5
	v_and_b32_e32 v2, exec_lo, v2
	v_not_b32_e32 v5, v7
	v_ashrrev_i32_e32 v4, 31, v4
	v_xor_b32_e32 v3, vcc_lo, v3
	v_cmp_gt_i32_e32 vcc_lo, 0, v7
	v_and_b32_e32 v2, v2, v6
	v_not_b32_e32 v6, v60
	v_ashrrev_i32_e32 v5, 31, v5
	v_xor_b32_e32 v4, s13, v4
	v_lshlrev_b32_e32 v0, 24, v0
	v_and_b32_e32 v2, v2, v3
	v_cmp_gt_i32_e64 s13, 0, v60
	v_not_b32_e32 v3, v61
	v_ashrrev_i32_e32 v6, 31, v6
	v_xor_b32_e32 v5, vcc_lo, v5
	v_and_b32_e32 v2, v2, v4
	v_cmp_gt_i32_e32 vcc_lo, 0, v61
	v_not_b32_e32 v4, v0
	v_ashrrev_i32_e32 v3, 31, v3
	v_xor_b32_e32 v6, s13, v6
	v_and_b32_e32 v2, v2, v5
	v_mul_u32_u24_e32 v1, 6, v1
	v_cmp_gt_i32_e64 s13, 0, v0
	v_ashrrev_i32_e32 v0, 31, v4
	v_xor_b32_e32 v3, vcc_lo, v3
	v_and_b32_e32 v2, v2, v6
	v_add_lshl_u32 v1, v1, v80, 2
	s_delay_alu instid0(VALU_DEP_4) | instskip(NEXT) | instid1(VALU_DEP_3)
	v_xor_b32_e32 v0, s13, v0
	v_and_b32_e32 v2, v2, v3
	ds_load_b32 v60, v1 offset:24
	v_add_nc_u32_e32 v62, 24, v1
	; wave barrier
	v_and_b32_e32 v0, v2, v0
	s_delay_alu instid0(VALU_DEP_1) | instskip(SKIP_1) | instid1(VALU_DEP_2)
	v_mbcnt_lo_u32_b32 v61, v0, 0
	v_cmp_ne_u32_e64 s13, 0, v0
	v_cmp_eq_u32_e32 vcc_lo, 0, v61
	s_delay_alu instid0(VALU_DEP_2) | instskip(NEXT) | instid1(SALU_CYCLE_1)
	s_and_b32 s25, s13, vcc_lo
	s_and_saveexec_b32 s13, s25
	s_cbranch_execz .LBB311_20
; %bb.19:                               ;   in Loop: Header=BB311_4 Depth=2
	s_waitcnt lgkmcnt(0)
	v_bcnt_u32_b32 v0, v0, v60
	ds_store_b32 v62, v0
.LBB311_20:                             ;   in Loop: Header=BB311_4 Depth=2
	s_or_b32 exec_lo, exec_lo, s13
	; wave barrier
	s_waitcnt lgkmcnt(0)
	s_barrier
	buffer_gl0_inv
	ds_load_2addr_b64 v[4:7], v65 offset0:3 offset1:4
	ds_load_2addr_b64 v[0:3], v66 offset0:2 offset1:3
	s_waitcnt lgkmcnt(1)
	v_add_nc_u32_e32 v63, v5, v4
	s_delay_alu instid0(VALU_DEP_1) | instskip(SKIP_1) | instid1(VALU_DEP_1)
	v_add3_u32 v63, v63, v6, v7
	s_waitcnt lgkmcnt(0)
	v_add3_u32 v63, v63, v0, v1
	s_delay_alu instid0(VALU_DEP_1) | instskip(NEXT) | instid1(VALU_DEP_1)
	v_add3_u32 v3, v63, v2, v3
	v_mov_b32_dpp v63, v3 row_shr:1 row_mask:0xf bank_mask:0xf
	s_delay_alu instid0(VALU_DEP_1) | instskip(NEXT) | instid1(VALU_DEP_1)
	v_cndmask_b32_e64 v63, v63, 0, s1
	v_add_nc_u32_e32 v3, v63, v3
	s_delay_alu instid0(VALU_DEP_1) | instskip(NEXT) | instid1(VALU_DEP_1)
	v_mov_b32_dpp v63, v3 row_shr:2 row_mask:0xf bank_mask:0xf
	v_cndmask_b32_e64 v63, 0, v63, s2
	s_delay_alu instid0(VALU_DEP_1) | instskip(NEXT) | instid1(VALU_DEP_1)
	v_add_nc_u32_e32 v3, v3, v63
	v_mov_b32_dpp v63, v3 row_shr:4 row_mask:0xf bank_mask:0xf
	s_delay_alu instid0(VALU_DEP_1) | instskip(NEXT) | instid1(VALU_DEP_1)
	v_cndmask_b32_e64 v63, 0, v63, s3
	v_add_nc_u32_e32 v3, v3, v63
	s_delay_alu instid0(VALU_DEP_1) | instskip(NEXT) | instid1(VALU_DEP_1)
	v_mov_b32_dpp v63, v3 row_shr:8 row_mask:0xf bank_mask:0xf
	v_cndmask_b32_e64 v63, 0, v63, s4
	s_delay_alu instid0(VALU_DEP_1) | instskip(SKIP_3) | instid1(VALU_DEP_1)
	v_add_nc_u32_e32 v3, v3, v63
	ds_swizzle_b32 v63, v3 offset:swizzle(BROADCAST,32,15)
	s_waitcnt lgkmcnt(0)
	v_cndmask_b32_e64 v63, v63, 0, s5
	v_add_nc_u32_e32 v3, v3, v63
	s_and_saveexec_b32 s13, s12
	s_cbranch_execz .LBB311_22
; %bb.21:                               ;   in Loop: Header=BB311_4 Depth=2
	ds_store_b32 v68, v3
.LBB311_22:                             ;   in Loop: Header=BB311_4 Depth=2
	s_or_b32 exec_lo, exec_lo, s13
	s_waitcnt lgkmcnt(0)
	s_barrier
	buffer_gl0_inv
	s_and_saveexec_b32 s13, s6
	s_cbranch_execz .LBB311_24
; %bb.23:                               ;   in Loop: Header=BB311_4 Depth=2
	ds_load_b32 v63, v69
	s_waitcnt lgkmcnt(0)
	v_mov_b32_dpp v82, v63 row_shr:1 row_mask:0xf bank_mask:0xf
	s_delay_alu instid0(VALU_DEP_1) | instskip(NEXT) | instid1(VALU_DEP_1)
	v_cndmask_b32_e64 v82, v82, 0, s9
	v_add_nc_u32_e32 v63, v82, v63
	s_delay_alu instid0(VALU_DEP_1) | instskip(NEXT) | instid1(VALU_DEP_1)
	v_mov_b32_dpp v82, v63 row_shr:2 row_mask:0xf bank_mask:0xf
	v_cndmask_b32_e64 v82, 0, v82, s10
	s_delay_alu instid0(VALU_DEP_1) | instskip(NEXT) | instid1(VALU_DEP_1)
	v_add_nc_u32_e32 v63, v63, v82
	v_mov_b32_dpp v82, v63 row_shr:4 row_mask:0xf bank_mask:0xf
	s_delay_alu instid0(VALU_DEP_1) | instskip(NEXT) | instid1(VALU_DEP_1)
	v_cndmask_b32_e64 v82, 0, v82, s11
	v_add_nc_u32_e32 v63, v63, v82
	ds_store_b32 v69, v63
.LBB311_24:                             ;   in Loop: Header=BB311_4 Depth=2
	s_or_b32 exec_lo, exec_lo, s13
	v_mov_b32_e32 v63, 0
	s_waitcnt lgkmcnt(0)
	s_barrier
	buffer_gl0_inv
	s_and_saveexec_b32 s13, s7
	s_cbranch_execz .LBB311_26
; %bb.25:                               ;   in Loop: Header=BB311_4 Depth=2
	ds_load_b32 v63, v70
.LBB311_26:                             ;   in Loop: Header=BB311_4 Depth=2
	s_or_b32 exec_lo, exec_lo, s13
	s_waitcnt lgkmcnt(0)
	v_add_nc_u32_e32 v3, v63, v3
	s_cmp_gt_u32 s22, 55
	ds_bpermute_b32 v3, v67, v3
	s_waitcnt lgkmcnt(0)
	v_cndmask_b32_e64 v3, v3, v63, s0
	s_delay_alu instid0(VALU_DEP_1) | instskip(NEXT) | instid1(VALU_DEP_1)
	v_cndmask_b32_e64 v3, v3, 0, s8
	v_add_nc_u32_e32 v4, v3, v4
	s_delay_alu instid0(VALU_DEP_1) | instskip(NEXT) | instid1(VALU_DEP_1)
	v_add_nc_u32_e32 v5, v4, v5
	v_add_nc_u32_e32 v6, v5, v6
	s_delay_alu instid0(VALU_DEP_1) | instskip(NEXT) | instid1(VALU_DEP_1)
	v_add_nc_u32_e32 v82, v6, v7
	;; [unrolled: 3-line block ×3, first 2 shown]
	v_add_nc_u32_e32 v1, v0, v2
	ds_store_2addr_b64 v65, v[3:4], v[5:6] offset0:3 offset1:4
	ds_store_2addr_b64 v66, v[82:83], v[0:1] offset0:2 offset1:3
	s_waitcnt lgkmcnt(0)
	s_barrier
	buffer_gl0_inv
	ds_load_b32 v0, v41
	ds_load_b32 v1, v44
	;; [unrolled: 1-line block ×8, first 2 shown]
	s_waitcnt lgkmcnt(7)
	v_add_nc_u32_e32 v89, v0, v40
	s_waitcnt lgkmcnt(6)
	v_add3_u32 v88, v43, v42, v1
	s_waitcnt lgkmcnt(5)
	v_add3_u32 v87, v46, v45, v2
	;; [unrolled: 2-line block ×7, first 2 shown]
	s_cbranch_scc0 .LBB311_3
; %bb.27:                               ;   in Loop: Header=BB311_2 Depth=1
                                        ; implicit-def: $vgpr62_vgpr63
                                        ; implicit-def: $vgpr60_vgpr61
                                        ; implicit-def: $vgpr56_vgpr57
                                        ; implicit-def: $vgpr54_vgpr55
                                        ; implicit-def: $vgpr52_vgpr53
                                        ; implicit-def: $vgpr50_vgpr51
                                        ; implicit-def: $vgpr48_vgpr49
                                        ; implicit-def: $vgpr58_vgpr59
                                        ; implicit-def: $vgpr46_vgpr47
                                        ; implicit-def: $vgpr44_vgpr45
                                        ; implicit-def: $vgpr42_vgpr43
                                        ; implicit-def: $vgpr40_vgpr41
                                        ; implicit-def: $vgpr6_vgpr7
                                        ; implicit-def: $vgpr4_vgpr5
                                        ; implicit-def: $vgpr2_vgpr3
                                        ; implicit-def: $vgpr0_vgpr1
                                        ; implicit-def: $sgpr22_sgpr23
	s_branch .LBB311_1
.LBB311_28:
	s_waitcnt lgkmcnt(3)
	v_add_co_u32 v13, vcc_lo, v13, v29
	v_add_co_ci_u32_e32 v14, vcc_lo, v14, v30, vcc_lo
	v_add_co_u32 v15, vcc_lo, v15, v31
	v_add_co_ci_u32_e32 v16, vcc_lo, v16, v32, vcc_lo
	s_waitcnt lgkmcnt(2)
	v_add_co_u32 v9, vcc_lo, v9, v25
	v_add_co_ci_u32_e32 v10, vcc_lo, v10, v26, vcc_lo
	v_add_co_u32 v11, vcc_lo, v11, v27
	v_add_co_ci_u32_e32 v12, vcc_lo, v12, v28, vcc_lo
	;; [unrolled: 5-line block ×3, first 2 shown]
	s_add_u32 s0, s18, s14
	s_waitcnt lgkmcnt(0)
	v_add_co_u32 v0, vcc_lo, v1, v17
	s_addc_u32 s1, s19, s15
	v_add_co_u32 v21, s2, s0, v64
	v_add_co_ci_u32_e32 v1, vcc_lo, v2, v18, vcc_lo
	v_add_co_ci_u32_e64 v22, null, s1, 0, s2
	v_add_co_u32 v2, vcc_lo, v3, v19
	v_add_co_ci_u32_e32 v3, vcc_lo, v4, v20, vcc_lo
	v_add_co_u32 v17, vcc_lo, 0x1000, v21
	s_delay_alu instid0(VALU_DEP_4)
	v_add_co_ci_u32_e32 v18, vcc_lo, 0, v22, vcc_lo
	v_add_co_u32 v19, vcc_lo, 0x2000, v21
	v_add_co_ci_u32_e32 v20, vcc_lo, 0, v22, vcc_lo
	s_clause 0x7
	global_store_b64 v64, v[13:14], s[0:1]
	global_store_b64 v64, v[15:16], s[0:1] offset:1536
	global_store_b64 v64, v[9:10], s[0:1] offset:3072
	global_store_b64 v[17:18], v[11:12], off offset:512
	global_store_b64 v[17:18], v[5:6], off offset:2048
	;; [unrolled: 1-line block ×5, first 2 shown]
	s_nop 0
	s_sendmsg sendmsg(MSG_DEALLOC_VGPRS)
	s_endpgm
	.section	.rodata,"a",@progbits
	.p2align	6, 0x0
	.amdhsa_kernel _Z17sort_pairs_kernelI22helper_blocked_stripedxLj192ELj8ELj10EEvPKT0_PS1_
		.amdhsa_group_segment_fixed_size 12672
		.amdhsa_private_segment_fixed_size 0
		.amdhsa_kernarg_size 272
		.amdhsa_user_sgpr_count 15
		.amdhsa_user_sgpr_dispatch_ptr 0
		.amdhsa_user_sgpr_queue_ptr 0
		.amdhsa_user_sgpr_kernarg_segment_ptr 1
		.amdhsa_user_sgpr_dispatch_id 0
		.amdhsa_user_sgpr_private_segment_size 0
		.amdhsa_wavefront_size32 1
		.amdhsa_uses_dynamic_stack 0
		.amdhsa_enable_private_segment 0
		.amdhsa_system_sgpr_workgroup_id_x 1
		.amdhsa_system_sgpr_workgroup_id_y 0
		.amdhsa_system_sgpr_workgroup_id_z 0
		.amdhsa_system_sgpr_workgroup_info 0
		.amdhsa_system_vgpr_workitem_id 2
		.amdhsa_next_free_vgpr 90
		.amdhsa_next_free_sgpr 26
		.amdhsa_reserve_vcc 1
		.amdhsa_float_round_mode_32 0
		.amdhsa_float_round_mode_16_64 0
		.amdhsa_float_denorm_mode_32 3
		.amdhsa_float_denorm_mode_16_64 3
		.amdhsa_dx10_clamp 1
		.amdhsa_ieee_mode 1
		.amdhsa_fp16_overflow 0
		.amdhsa_workgroup_processor_mode 1
		.amdhsa_memory_ordered 1
		.amdhsa_forward_progress 0
		.amdhsa_shared_vgpr_count 0
		.amdhsa_exception_fp_ieee_invalid_op 0
		.amdhsa_exception_fp_denorm_src 0
		.amdhsa_exception_fp_ieee_div_zero 0
		.amdhsa_exception_fp_ieee_overflow 0
		.amdhsa_exception_fp_ieee_underflow 0
		.amdhsa_exception_fp_ieee_inexact 0
		.amdhsa_exception_int_div_zero 0
	.end_amdhsa_kernel
	.section	.text._Z17sort_pairs_kernelI22helper_blocked_stripedxLj192ELj8ELj10EEvPKT0_PS1_,"axG",@progbits,_Z17sort_pairs_kernelI22helper_blocked_stripedxLj192ELj8ELj10EEvPKT0_PS1_,comdat
.Lfunc_end311:
	.size	_Z17sort_pairs_kernelI22helper_blocked_stripedxLj192ELj8ELj10EEvPKT0_PS1_, .Lfunc_end311-_Z17sort_pairs_kernelI22helper_blocked_stripedxLj192ELj8ELj10EEvPKT0_PS1_
                                        ; -- End function
	.section	.AMDGPU.csdata,"",@progbits
; Kernel info:
; codeLenInByte = 5560
; NumSgprs: 28
; NumVgprs: 90
; ScratchSize: 0
; MemoryBound: 0
; FloatMode: 240
; IeeeMode: 1
; LDSByteSize: 12672 bytes/workgroup (compile time only)
; SGPRBlocks: 3
; VGPRBlocks: 11
; NumSGPRsForWavesPerEU: 28
; NumVGPRsForWavesPerEU: 90
; Occupancy: 15
; WaveLimiterHint : 1
; COMPUTE_PGM_RSRC2:SCRATCH_EN: 0
; COMPUTE_PGM_RSRC2:USER_SGPR: 15
; COMPUTE_PGM_RSRC2:TRAP_HANDLER: 0
; COMPUTE_PGM_RSRC2:TGID_X_EN: 1
; COMPUTE_PGM_RSRC2:TGID_Y_EN: 0
; COMPUTE_PGM_RSRC2:TGID_Z_EN: 0
; COMPUTE_PGM_RSRC2:TIDIG_COMP_CNT: 2
	.section	.text._Z16sort_keys_kernelI22helper_blocked_stripedxLj256ELj1ELj10EEvPKT0_PS1_,"axG",@progbits,_Z16sort_keys_kernelI22helper_blocked_stripedxLj256ELj1ELj10EEvPKT0_PS1_,comdat
	.protected	_Z16sort_keys_kernelI22helper_blocked_stripedxLj256ELj1ELj10EEvPKT0_PS1_ ; -- Begin function _Z16sort_keys_kernelI22helper_blocked_stripedxLj256ELj1ELj10EEvPKT0_PS1_
	.globl	_Z16sort_keys_kernelI22helper_blocked_stripedxLj256ELj1ELj10EEvPKT0_PS1_
	.p2align	8
	.type	_Z16sort_keys_kernelI22helper_blocked_stripedxLj256ELj1ELj10EEvPKT0_PS1_,@function
_Z16sort_keys_kernelI22helper_blocked_stripedxLj256ELj1ELj10EEvPKT0_PS1_: ; @_Z16sort_keys_kernelI22helper_blocked_stripedxLj256ELj1ELj10EEvPKT0_PS1_
; %bb.0:
	s_clause 0x1
	s_load_b128 s[16:19], s[0:1], 0x0
	s_load_b32 s12, s[0:1], 0x1c
	v_and_b32_e32 v8, 0x3ff, v0
	s_mov_b32 s21, 0
	s_lshl_b32 s20, s15, 8
	v_mbcnt_lo_u32_b32 v5, -1, 0
	s_lshl_b64 s[14:15], s[20:21], 3
	v_lshlrev_b32_e32 v1, 3, v8
	v_bfe_u32 v3, v0, 10, 10
	v_bfe_u32 v0, v0, 20, 10
	s_mov_b32 s20, s21
	v_and_b32_e32 v6, 16, v5
	v_add_nc_u32_e32 v7, -1, v5
	v_dual_mov_b32 v11, s20 :: v_dual_and_b32 v4, 15, v5
	v_dual_mov_b32 v12, s21 :: v_dual_and_b32 v13, 7, v5
	s_delay_alu instid0(VALU_DEP_4) | instskip(NEXT) | instid1(VALU_DEP_4)
	v_cmp_eq_u32_e64 s5, 0, v6
	v_cmp_gt_i32_e32 vcc_lo, 0, v7
	s_delay_alu instid0(VALU_DEP_4)
	v_cmp_lt_u32_e64 s2, 1, v4
	s_waitcnt lgkmcnt(0)
	s_add_u32 s0, s16, s14
	s_addc_u32 s1, s17, s15
	s_lshr_b32 s13, s12, 16
	global_load_b64 v[1:2], v1, s[0:1]
	s_mov_b32 s1, s21
	s_mov_b32 s0, s21
	s_delay_alu instid0(SALU_CYCLE_1)
	v_dual_mov_b32 v10, s1 :: v_dual_mov_b32 v9, s0
	v_mad_u32_u24 v0, v0, s13, v3
	v_lshlrev_b32_e32 v15, 5, v8
	v_dual_cndmask_b32 v7, v7, v5 :: v_dual_and_b32 v6, 0xe0, v8
	v_lshrrev_b32_e32 v14, 3, v8
	s_and_b32 s12, s12, 0xffff
	v_cmp_eq_u32_e64 s1, 0, v4
	v_cmp_lt_u32_e64 s3, 3, v4
	v_cmp_lt_u32_e64 s4, 7, v4
	v_mad_u64_u32 v[3:4], null, v0, s12, v[8:9]
	v_cmp_eq_u32_e64 s9, 0, v13
	v_cmp_lt_u32_e64 s10, 1, v13
	v_cmp_lt_u32_e64 s11, 3, v13
	v_lshlrev_b32_e32 v13, 2, v8
	v_or_b32_e32 v20, 31, v6
	v_and_b32_e32 v17, 28, v14
	v_or_b32_e32 v0, v5, v6
	v_mad_i32_i24 v19, 0xffffffe4, v8, v15
	v_cmp_eq_u32_e64 s0, 0, v5
	v_cmp_gt_u32_e64 s6, 8, v8
	v_cmp_lt_u32_e64 s7, 31, v8
	v_cmp_eq_u32_e64 s8, 0, v8
	v_add_nc_u32_e32 v16, 32, v15
	v_lshlrev_b32_e32 v18, 2, v7
	v_cmp_eq_u32_e64 s12, v20, v8
	v_add_nc_u32_e32 v20, -4, v17
	v_lshlrev_b32_e32 v21, 3, v0
	v_lshrrev_b32_e32 v22, 5, v3
	v_add_nc_u32_e32 v23, v19, v13
	s_waitcnt vmcnt(0)
	v_xor_b32_e32 v2, 0x80000000, v2
	s_branch .LBB312_2
.LBB312_1:                              ;   in Loop: Header=BB312_2 Depth=1
	s_delay_alu instid0(VALU_DEP_1)
	v_lshlrev_b32_e32 v0, 3, v0
	s_barrier
	buffer_gl0_inv
	s_add_i32 s21, s21, 1
	ds_store_b64 v0, v[13:14]
	s_waitcnt lgkmcnt(0)
	s_barrier
	buffer_gl0_inv
	ds_load_b64 v[1:2], v23
	s_cmp_eq_u32 s21, 10
	s_cbranch_scc1 .LBB312_14
.LBB312_2:                              ; =>This Loop Header: Depth=1
                                        ;     Child Loop BB312_4 Depth 2
	s_mov_b64 s[16:17], 0
	s_branch .LBB312_4
.LBB312_3:                              ;   in Loop: Header=BB312_4 Depth=2
	s_delay_alu instid0(VALU_DEP_1)
	v_lshlrev_b32_e32 v1, 3, v0
	s_barrier
	buffer_gl0_inv
	s_add_u32 s16, s16, 8
	ds_store_b64 v1, v[13:14]
	s_waitcnt lgkmcnt(0)
	s_barrier
	buffer_gl0_inv
	ds_load_b64 v[1:2], v21
	s_addc_u32 s17, s17, 0
	s_waitcnt lgkmcnt(0)
	s_barrier
	buffer_gl0_inv
	s_cbranch_execz .LBB312_1
.LBB312_4:                              ;   Parent Loop BB312_2 Depth=1
                                        ; =>  This Inner Loop Header: Depth=2
	s_waitcnt lgkmcnt(0)
	v_dual_mov_b32 v14, v2 :: v_dual_mov_b32 v13, v1
	ds_store_2addr_b64 v15, v[11:12], v[9:10] offset0:4 offset1:5
	ds_store_2addr_b64 v16, v[11:12], v[9:10] offset0:2 offset1:3
	s_waitcnt lgkmcnt(0)
	s_barrier
	buffer_gl0_inv
	v_lshrrev_b64 v[1:2], s16, v[13:14]
	; wave barrier
	s_delay_alu instid0(VALU_DEP_1)
	v_and_b32_e32 v0, 1, v1
	v_lshlrev_b32_e32 v2, 30, v1
	v_lshlrev_b32_e32 v3, 29, v1
	v_lshlrev_b32_e32 v4, 28, v1
	v_lshlrev_b32_e32 v6, 27, v1
	v_add_co_u32 v0, s13, v0, -1
	s_delay_alu instid0(VALU_DEP_1)
	v_cndmask_b32_e64 v5, 0, 1, s13
	v_not_b32_e32 v25, v2
	v_cmp_gt_i32_e64 s13, 0, v2
	v_not_b32_e32 v2, v3
	v_lshlrev_b32_e32 v7, 26, v1
	v_cmp_ne_u32_e32 vcc_lo, 0, v5
	v_ashrrev_i32_e32 v25, 31, v25
	v_lshlrev_b32_e32 v24, 25, v1
	v_ashrrev_i32_e32 v2, 31, v2
	v_lshlrev_b32_e32 v5, 24, v1
	v_xor_b32_e32 v0, vcc_lo, v0
	v_cmp_gt_i32_e32 vcc_lo, 0, v3
	v_not_b32_e32 v3, v4
	v_xor_b32_e32 v25, s13, v25
	v_cmp_gt_i32_e64 s13, 0, v4
	v_and_b32_e32 v0, exec_lo, v0
	v_not_b32_e32 v4, v6
	v_ashrrev_i32_e32 v3, 31, v3
	v_xor_b32_e32 v2, vcc_lo, v2
	v_cmp_gt_i32_e32 vcc_lo, 0, v6
	v_and_b32_e32 v0, v0, v25
	v_not_b32_e32 v6, v7
	v_ashrrev_i32_e32 v4, 31, v4
	v_xor_b32_e32 v3, s13, v3
	v_cmp_gt_i32_e64 s13, 0, v7
	v_and_b32_e32 v0, v0, v2
	v_not_b32_e32 v2, v24
	v_ashrrev_i32_e32 v6, 31, v6
	v_xor_b32_e32 v4, vcc_lo, v4
	v_cmp_gt_i32_e32 vcc_lo, 0, v24
	v_and_b32_e32 v0, v0, v3
	v_not_b32_e32 v3, v5
	v_ashrrev_i32_e32 v2, 31, v2
	v_xor_b32_e32 v6, s13, v6
	v_cmp_gt_i32_e64 s13, 0, v5
	v_and_b32_e32 v0, v0, v4
	v_ashrrev_i32_e32 v3, 31, v3
	v_xor_b32_e32 v2, vcc_lo, v2
	v_and_b32_e32 v1, 0xff, v1
	s_delay_alu instid0(VALU_DEP_4) | instskip(NEXT) | instid1(VALU_DEP_4)
	v_and_b32_e32 v0, v0, v6
	v_xor_b32_e32 v3, s13, v3
	s_delay_alu instid0(VALU_DEP_3) | instskip(NEXT) | instid1(VALU_DEP_3)
	v_lshl_add_u32 v1, v1, 3, v22
	v_and_b32_e32 v0, v0, v2
	s_delay_alu instid0(VALU_DEP_2) | instskip(NEXT) | instid1(VALU_DEP_2)
	v_lshl_add_u32 v25, v1, 2, 32
	v_and_b32_e32 v0, v0, v3
	s_delay_alu instid0(VALU_DEP_1) | instskip(SKIP_1) | instid1(VALU_DEP_2)
	v_mbcnt_lo_u32_b32 v24, v0, 0
	v_cmp_ne_u32_e64 s13, 0, v0
	v_cmp_eq_u32_e32 vcc_lo, 0, v24
	s_delay_alu instid0(VALU_DEP_2) | instskip(NEXT) | instid1(SALU_CYCLE_1)
	s_and_b32 s20, s13, vcc_lo
	s_and_saveexec_b32 s13, s20
	s_cbranch_execz .LBB312_6
; %bb.5:                                ;   in Loop: Header=BB312_4 Depth=2
	v_bcnt_u32_b32 v0, v0, 0
	ds_store_b32 v25, v0
.LBB312_6:                              ;   in Loop: Header=BB312_4 Depth=2
	s_or_b32 exec_lo, exec_lo, s13
	; wave barrier
	s_waitcnt lgkmcnt(0)
	s_barrier
	buffer_gl0_inv
	ds_load_2addr_b64 v[4:7], v15 offset0:4 offset1:5
	ds_load_2addr_b64 v[0:3], v16 offset0:2 offset1:3
	s_waitcnt lgkmcnt(1)
	v_add_nc_u32_e32 v26, v5, v4
	s_delay_alu instid0(VALU_DEP_1) | instskip(SKIP_1) | instid1(VALU_DEP_1)
	v_add3_u32 v26, v26, v6, v7
	s_waitcnt lgkmcnt(0)
	v_add3_u32 v26, v26, v0, v1
	s_delay_alu instid0(VALU_DEP_1) | instskip(NEXT) | instid1(VALU_DEP_1)
	v_add3_u32 v3, v26, v2, v3
	v_mov_b32_dpp v26, v3 row_shr:1 row_mask:0xf bank_mask:0xf
	s_delay_alu instid0(VALU_DEP_1) | instskip(NEXT) | instid1(VALU_DEP_1)
	v_cndmask_b32_e64 v26, v26, 0, s1
	v_add_nc_u32_e32 v3, v26, v3
	s_delay_alu instid0(VALU_DEP_1) | instskip(NEXT) | instid1(VALU_DEP_1)
	v_mov_b32_dpp v26, v3 row_shr:2 row_mask:0xf bank_mask:0xf
	v_cndmask_b32_e64 v26, 0, v26, s2
	s_delay_alu instid0(VALU_DEP_1) | instskip(NEXT) | instid1(VALU_DEP_1)
	v_add_nc_u32_e32 v3, v3, v26
	v_mov_b32_dpp v26, v3 row_shr:4 row_mask:0xf bank_mask:0xf
	s_delay_alu instid0(VALU_DEP_1) | instskip(NEXT) | instid1(VALU_DEP_1)
	v_cndmask_b32_e64 v26, 0, v26, s3
	v_add_nc_u32_e32 v3, v3, v26
	s_delay_alu instid0(VALU_DEP_1) | instskip(NEXT) | instid1(VALU_DEP_1)
	v_mov_b32_dpp v26, v3 row_shr:8 row_mask:0xf bank_mask:0xf
	v_cndmask_b32_e64 v26, 0, v26, s4
	s_delay_alu instid0(VALU_DEP_1) | instskip(SKIP_3) | instid1(VALU_DEP_1)
	v_add_nc_u32_e32 v3, v3, v26
	ds_swizzle_b32 v26, v3 offset:swizzle(BROADCAST,32,15)
	s_waitcnt lgkmcnt(0)
	v_cndmask_b32_e64 v26, v26, 0, s5
	v_add_nc_u32_e32 v3, v3, v26
	s_and_saveexec_b32 s13, s12
	s_cbranch_execz .LBB312_8
; %bb.7:                                ;   in Loop: Header=BB312_4 Depth=2
	ds_store_b32 v17, v3
.LBB312_8:                              ;   in Loop: Header=BB312_4 Depth=2
	s_or_b32 exec_lo, exec_lo, s13
	s_waitcnt lgkmcnt(0)
	s_barrier
	buffer_gl0_inv
	s_and_saveexec_b32 s13, s6
	s_cbranch_execz .LBB312_10
; %bb.9:                                ;   in Loop: Header=BB312_4 Depth=2
	ds_load_b32 v26, v19
	s_waitcnt lgkmcnt(0)
	v_mov_b32_dpp v27, v26 row_shr:1 row_mask:0xf bank_mask:0xf
	s_delay_alu instid0(VALU_DEP_1) | instskip(NEXT) | instid1(VALU_DEP_1)
	v_cndmask_b32_e64 v27, v27, 0, s9
	v_add_nc_u32_e32 v26, v27, v26
	s_delay_alu instid0(VALU_DEP_1) | instskip(NEXT) | instid1(VALU_DEP_1)
	v_mov_b32_dpp v27, v26 row_shr:2 row_mask:0xf bank_mask:0xf
	v_cndmask_b32_e64 v27, 0, v27, s10
	s_delay_alu instid0(VALU_DEP_1) | instskip(NEXT) | instid1(VALU_DEP_1)
	v_add_nc_u32_e32 v26, v26, v27
	v_mov_b32_dpp v27, v26 row_shr:4 row_mask:0xf bank_mask:0xf
	s_delay_alu instid0(VALU_DEP_1) | instskip(NEXT) | instid1(VALU_DEP_1)
	v_cndmask_b32_e64 v27, 0, v27, s11
	v_add_nc_u32_e32 v26, v26, v27
	ds_store_b32 v19, v26
.LBB312_10:                             ;   in Loop: Header=BB312_4 Depth=2
	s_or_b32 exec_lo, exec_lo, s13
	v_mov_b32_e32 v26, 0
	s_waitcnt lgkmcnt(0)
	s_barrier
	buffer_gl0_inv
	s_and_saveexec_b32 s13, s7
	s_cbranch_execz .LBB312_12
; %bb.11:                               ;   in Loop: Header=BB312_4 Depth=2
	ds_load_b32 v26, v20
.LBB312_12:                             ;   in Loop: Header=BB312_4 Depth=2
	s_or_b32 exec_lo, exec_lo, s13
	s_waitcnt lgkmcnt(0)
	v_add_nc_u32_e32 v3, v26, v3
	s_cmp_gt_u32 s16, 55
	ds_bpermute_b32 v3, v18, v3
	s_waitcnt lgkmcnt(0)
	v_cndmask_b32_e64 v3, v3, v26, s0
	s_delay_alu instid0(VALU_DEP_1) | instskip(NEXT) | instid1(VALU_DEP_1)
	v_cndmask_b32_e64 v3, v3, 0, s8
	v_add_nc_u32_e32 v4, v3, v4
	s_delay_alu instid0(VALU_DEP_1) | instskip(NEXT) | instid1(VALU_DEP_1)
	v_add_nc_u32_e32 v5, v4, v5
	v_add_nc_u32_e32 v6, v5, v6
	s_delay_alu instid0(VALU_DEP_1) | instskip(NEXT) | instid1(VALU_DEP_1)
	v_add_nc_u32_e32 v26, v6, v7
	;; [unrolled: 3-line block ×3, first 2 shown]
	v_add_nc_u32_e32 v1, v0, v2
	ds_store_2addr_b64 v15, v[3:4], v[5:6] offset0:4 offset1:5
	ds_store_2addr_b64 v16, v[26:27], v[0:1] offset0:2 offset1:3
	s_waitcnt lgkmcnt(0)
	s_barrier
	buffer_gl0_inv
	ds_load_b32 v0, v25
	s_waitcnt lgkmcnt(0)
	v_add_nc_u32_e32 v0, v0, v24
	s_cbranch_scc0 .LBB312_3
; %bb.13:                               ;   in Loop: Header=BB312_2 Depth=1
                                        ; implicit-def: $vgpr1_vgpr2
                                        ; implicit-def: $sgpr16_sgpr17
	s_branch .LBB312_1
.LBB312_14:
	s_waitcnt lgkmcnt(0)
	v_xor_b32_e32 v2, 0x80000000, v2
	v_lshlrev_b32_e32 v0, 3, v8
	s_add_u32 s0, s18, s14
	s_addc_u32 s1, s19, s15
	global_store_b64 v0, v[1:2], s[0:1]
	s_nop 0
	s_sendmsg sendmsg(MSG_DEALLOC_VGPRS)
	s_endpgm
	.section	.rodata,"a",@progbits
	.p2align	6, 0x0
	.amdhsa_kernel _Z16sort_keys_kernelI22helper_blocked_stripedxLj256ELj1ELj10EEvPKT0_PS1_
		.amdhsa_group_segment_fixed_size 8224
		.amdhsa_private_segment_fixed_size 0
		.amdhsa_kernarg_size 272
		.amdhsa_user_sgpr_count 15
		.amdhsa_user_sgpr_dispatch_ptr 0
		.amdhsa_user_sgpr_queue_ptr 0
		.amdhsa_user_sgpr_kernarg_segment_ptr 1
		.amdhsa_user_sgpr_dispatch_id 0
		.amdhsa_user_sgpr_private_segment_size 0
		.amdhsa_wavefront_size32 1
		.amdhsa_uses_dynamic_stack 0
		.amdhsa_enable_private_segment 0
		.amdhsa_system_sgpr_workgroup_id_x 1
		.amdhsa_system_sgpr_workgroup_id_y 0
		.amdhsa_system_sgpr_workgroup_id_z 0
		.amdhsa_system_sgpr_workgroup_info 0
		.amdhsa_system_vgpr_workitem_id 2
		.amdhsa_next_free_vgpr 28
		.amdhsa_next_free_sgpr 22
		.amdhsa_reserve_vcc 1
		.amdhsa_float_round_mode_32 0
		.amdhsa_float_round_mode_16_64 0
		.amdhsa_float_denorm_mode_32 3
		.amdhsa_float_denorm_mode_16_64 3
		.amdhsa_dx10_clamp 1
		.amdhsa_ieee_mode 1
		.amdhsa_fp16_overflow 0
		.amdhsa_workgroup_processor_mode 1
		.amdhsa_memory_ordered 1
		.amdhsa_forward_progress 0
		.amdhsa_shared_vgpr_count 0
		.amdhsa_exception_fp_ieee_invalid_op 0
		.amdhsa_exception_fp_denorm_src 0
		.amdhsa_exception_fp_ieee_div_zero 0
		.amdhsa_exception_fp_ieee_overflow 0
		.amdhsa_exception_fp_ieee_underflow 0
		.amdhsa_exception_fp_ieee_inexact 0
		.amdhsa_exception_int_div_zero 0
	.end_amdhsa_kernel
	.section	.text._Z16sort_keys_kernelI22helper_blocked_stripedxLj256ELj1ELj10EEvPKT0_PS1_,"axG",@progbits,_Z16sort_keys_kernelI22helper_blocked_stripedxLj256ELj1ELj10EEvPKT0_PS1_,comdat
.Lfunc_end312:
	.size	_Z16sort_keys_kernelI22helper_blocked_stripedxLj256ELj1ELj10EEvPKT0_PS1_, .Lfunc_end312-_Z16sort_keys_kernelI22helper_blocked_stripedxLj256ELj1ELj10EEvPKT0_PS1_
                                        ; -- End function
	.section	.AMDGPU.csdata,"",@progbits
; Kernel info:
; codeLenInByte = 1464
; NumSgprs: 24
; NumVgprs: 28
; ScratchSize: 0
; MemoryBound: 0
; FloatMode: 240
; IeeeMode: 1
; LDSByteSize: 8224 bytes/workgroup (compile time only)
; SGPRBlocks: 2
; VGPRBlocks: 3
; NumSGPRsForWavesPerEU: 24
; NumVGPRsForWavesPerEU: 28
; Occupancy: 16
; WaveLimiterHint : 0
; COMPUTE_PGM_RSRC2:SCRATCH_EN: 0
; COMPUTE_PGM_RSRC2:USER_SGPR: 15
; COMPUTE_PGM_RSRC2:TRAP_HANDLER: 0
; COMPUTE_PGM_RSRC2:TGID_X_EN: 1
; COMPUTE_PGM_RSRC2:TGID_Y_EN: 0
; COMPUTE_PGM_RSRC2:TGID_Z_EN: 0
; COMPUTE_PGM_RSRC2:TIDIG_COMP_CNT: 2
	.section	.text._Z17sort_pairs_kernelI22helper_blocked_stripedxLj256ELj1ELj10EEvPKT0_PS1_,"axG",@progbits,_Z17sort_pairs_kernelI22helper_blocked_stripedxLj256ELj1ELj10EEvPKT0_PS1_,comdat
	.protected	_Z17sort_pairs_kernelI22helper_blocked_stripedxLj256ELj1ELj10EEvPKT0_PS1_ ; -- Begin function _Z17sort_pairs_kernelI22helper_blocked_stripedxLj256ELj1ELj10EEvPKT0_PS1_
	.globl	_Z17sort_pairs_kernelI22helper_blocked_stripedxLj256ELj1ELj10EEvPKT0_PS1_
	.p2align	8
	.type	_Z17sort_pairs_kernelI22helper_blocked_stripedxLj256ELj1ELj10EEvPKT0_PS1_,@function
_Z17sort_pairs_kernelI22helper_blocked_stripedxLj256ELj1ELj10EEvPKT0_PS1_: ; @_Z17sort_pairs_kernelI22helper_blocked_stripedxLj256ELj1ELj10EEvPKT0_PS1_
; %bb.0:
	s_clause 0x1
	s_load_b128 s[16:19], s[0:1], 0x0
	s_load_b32 s12, s[0:1], 0x1c
	v_and_b32_e32 v8, 0x3ff, v0
	s_mov_b32 s21, 0
	s_lshl_b32 s20, s15, 8
	v_mbcnt_lo_u32_b32 v5, -1, 0
	s_lshl_b64 s[14:15], s[20:21], 3
	v_lshlrev_b32_e32 v1, 3, v8
	v_bfe_u32 v3, v0, 10, 10
	v_bfe_u32 v0, v0, 20, 10
	s_mov_b32 s20, s21
	s_delay_alu instid0(SALU_CYCLE_1) | instskip(SKIP_3) | instid1(VALU_DEP_4)
	v_dual_mov_b32 v11, s20 :: v_dual_and_b32 v4, 15, v5
	v_and_b32_e32 v6, 16, v5
	v_dual_mov_b32 v12, s21 :: v_dual_add_nc_u32 v7, -1, v5
	v_and_b32_e32 v13, 7, v5
	v_cmp_lt_u32_e64 s2, 1, v4
	v_cmp_lt_u32_e64 s3, 3, v4
	;; [unrolled: 1-line block ×3, first 2 shown]
	s_waitcnt lgkmcnt(0)
	s_add_u32 s0, s16, s14
	s_addc_u32 s1, s17, s15
	s_lshr_b32 s13, s12, 16
	global_load_b64 v[1:2], v1, s[0:1]
	s_mov_b32 s1, s21
	s_mov_b32 s0, s21
	s_delay_alu instid0(SALU_CYCLE_1)
	v_dual_mov_b32 v10, s1 :: v_dual_mov_b32 v9, s0
	v_mad_u32_u24 v0, v0, s13, v3
	s_and_b32 s12, s12, 0xffff
	v_lshlrev_b32_e32 v17, 5, v8
	v_cmp_eq_u32_e64 s1, 0, v4
	v_cmp_eq_u32_e64 s5, 0, v6
	v_cmp_gt_i32_e32 vcc_lo, 0, v7
	v_and_b32_e32 v6, 0xe0, v8
	v_lshrrev_b32_e32 v14, 3, v8
	v_mad_u64_u32 v[3:4], null, v0, s12, v[8:9]
	v_cndmask_b32_e32 v7, v7, v5, vcc_lo
	v_cmp_eq_u32_e64 s9, 0, v13
	v_cmp_lt_u32_e64 s10, 1, v13
	v_cmp_lt_u32_e64 s11, 3, v13
	v_lshlrev_b32_e32 v13, 2, v8
	v_or_b32_e32 v15, 31, v6
	v_and_b32_e32 v19, 28, v14
	v_or_b32_e32 v0, v5, v6
	v_mad_i32_i24 v21, 0xffffffe4, v8, v17
	v_lshrrev_b32_e32 v24, 5, v3
	v_cmp_eq_u32_e64 s0, 0, v5
	v_cmp_gt_u32_e64 s6, 8, v8
	v_cmp_lt_u32_e64 s7, 31, v8
	v_cmp_eq_u32_e64 s8, 0, v8
	v_add_nc_u32_e32 v18, 32, v17
	v_lshlrev_b32_e32 v20, 2, v7
	v_cmp_eq_u32_e64 s12, v15, v8
	v_add_nc_u32_e32 v22, -4, v19
	v_lshlrev_b32_e32 v23, 3, v0
	v_add_nc_u32_e32 v25, v21, v13
	s_waitcnt vmcnt(0)
	v_add_co_u32 v3, vcc_lo, v1, 1
	v_add_co_ci_u32_e32 v4, vcc_lo, 0, v2, vcc_lo
	v_xor_b32_e32 v2, 0x80000000, v2
	s_branch .LBB313_2
.LBB313_1:                              ;   in Loop: Header=BB313_2 Depth=1
	s_delay_alu instid0(VALU_DEP_1)
	v_lshlrev_b32_e32 v0, 3, v0
	s_barrier
	buffer_gl0_inv
	s_add_i32 s21, s21, 1
	ds_store_b64 v0, v[13:14]
	s_waitcnt lgkmcnt(0)
	s_barrier
	buffer_gl0_inv
	ds_load_b64 v[1:2], v25
	s_waitcnt lgkmcnt(0)
	s_barrier
	buffer_gl0_inv
	ds_store_b64 v0, v[15:16]
	s_waitcnt lgkmcnt(0)
	s_barrier
	buffer_gl0_inv
	ds_load_b64 v[3:4], v25
	s_cmp_lg_u32 s21, 10
	s_cbranch_scc0 .LBB313_14
.LBB313_2:                              ; =>This Loop Header: Depth=1
                                        ;     Child Loop BB313_4 Depth 2
	s_mov_b64 s[16:17], 0
	s_branch .LBB313_4
.LBB313_3:                              ;   in Loop: Header=BB313_4 Depth=2
	s_delay_alu instid0(VALU_DEP_1)
	v_lshlrev_b32_e32 v3, 3, v0
	s_barrier
	buffer_gl0_inv
	s_add_u32 s16, s16, 8
	ds_store_b64 v3, v[13:14]
	s_waitcnt lgkmcnt(0)
	s_barrier
	buffer_gl0_inv
	ds_load_b64 v[1:2], v23
	s_waitcnt lgkmcnt(0)
	s_barrier
	buffer_gl0_inv
	ds_store_b64 v3, v[15:16]
	s_waitcnt lgkmcnt(0)
	s_barrier
	buffer_gl0_inv
	ds_load_b64 v[3:4], v23
	s_addc_u32 s17, s17, 0
	s_waitcnt lgkmcnt(0)
	s_barrier
	buffer_gl0_inv
	s_cbranch_execz .LBB313_1
.LBB313_4:                              ;   Parent Loop BB313_2 Depth=1
                                        ; =>  This Inner Loop Header: Depth=2
	s_delay_alu instid0(VALU_DEP_1)
	v_dual_mov_b32 v14, v2 :: v_dual_mov_b32 v13, v1
	ds_store_2addr_b64 v17, v[11:12], v[9:10] offset0:4 offset1:5
	ds_store_2addr_b64 v18, v[11:12], v[9:10] offset0:2 offset1:3
	s_waitcnt lgkmcnt(0)
	s_barrier
	buffer_gl0_inv
	v_lshrrev_b64 v[1:2], s16, v[13:14]
	; wave barrier
	s_delay_alu instid0(VALU_DEP_1)
	v_and_b32_e32 v0, 1, v1
	v_lshlrev_b32_e32 v2, 30, v1
	v_lshlrev_b32_e32 v5, 29, v1
	;; [unrolled: 1-line block ×4, first 2 shown]
	v_add_co_u32 v0, s13, v0, -1
	s_delay_alu instid0(VALU_DEP_1)
	v_cndmask_b32_e64 v7, 0, 1, s13
	v_not_b32_e32 v27, v2
	v_cmp_gt_i32_e64 s13, 0, v2
	v_not_b32_e32 v2, v5
	v_lshlrev_b32_e32 v16, 26, v1
	v_cmp_ne_u32_e32 vcc_lo, 0, v7
	v_ashrrev_i32_e32 v27, 31, v27
	v_lshlrev_b32_e32 v26, 25, v1
	v_ashrrev_i32_e32 v2, 31, v2
	v_lshlrev_b32_e32 v7, 24, v1
	v_xor_b32_e32 v0, vcc_lo, v0
	v_cmp_gt_i32_e32 vcc_lo, 0, v5
	v_not_b32_e32 v5, v6
	v_xor_b32_e32 v27, s13, v27
	v_cmp_gt_i32_e64 s13, 0, v6
	v_and_b32_e32 v0, exec_lo, v0
	v_not_b32_e32 v6, v15
	v_ashrrev_i32_e32 v5, 31, v5
	v_xor_b32_e32 v2, vcc_lo, v2
	v_cmp_gt_i32_e32 vcc_lo, 0, v15
	v_and_b32_e32 v0, v0, v27
	v_not_b32_e32 v15, v16
	v_ashrrev_i32_e32 v6, 31, v6
	v_xor_b32_e32 v5, s13, v5
	v_cmp_gt_i32_e64 s13, 0, v16
	v_and_b32_e32 v0, v0, v2
	v_not_b32_e32 v2, v26
	v_ashrrev_i32_e32 v15, 31, v15
	v_xor_b32_e32 v6, vcc_lo, v6
	v_cmp_gt_i32_e32 vcc_lo, 0, v26
	v_and_b32_e32 v0, v0, v5
	v_not_b32_e32 v5, v7
	v_ashrrev_i32_e32 v2, 31, v2
	v_xor_b32_e32 v15, s13, v15
	v_cmp_gt_i32_e64 s13, 0, v7
	v_and_b32_e32 v0, v0, v6
	v_ashrrev_i32_e32 v5, 31, v5
	v_xor_b32_e32 v2, vcc_lo, v2
	v_and_b32_e32 v1, 0xff, v1
	s_delay_alu instid0(VALU_DEP_4) | instskip(SKIP_2) | instid1(VALU_DEP_4)
	v_and_b32_e32 v0, v0, v15
	v_mov_b32_e32 v16, v4
	v_xor_b32_e32 v5, s13, v5
	v_lshl_add_u32 v1, v1, 3, v24
	s_delay_alu instid0(VALU_DEP_4) | instskip(NEXT) | instid1(VALU_DEP_2)
	v_dual_mov_b32 v15, v3 :: v_dual_and_b32 v0, v0, v2
	v_lshl_add_u32 v27, v1, 2, 32
	s_delay_alu instid0(VALU_DEP_2) | instskip(NEXT) | instid1(VALU_DEP_1)
	v_and_b32_e32 v0, v0, v5
	v_mbcnt_lo_u32_b32 v26, v0, 0
	v_cmp_ne_u32_e64 s13, 0, v0
	s_delay_alu instid0(VALU_DEP_2) | instskip(NEXT) | instid1(VALU_DEP_2)
	v_cmp_eq_u32_e32 vcc_lo, 0, v26
	s_and_b32 s20, s13, vcc_lo
	s_delay_alu instid0(SALU_CYCLE_1)
	s_and_saveexec_b32 s13, s20
	s_cbranch_execz .LBB313_6
; %bb.5:                                ;   in Loop: Header=BB313_4 Depth=2
	v_bcnt_u32_b32 v0, v0, 0
	ds_store_b32 v27, v0
.LBB313_6:                              ;   in Loop: Header=BB313_4 Depth=2
	s_or_b32 exec_lo, exec_lo, s13
	; wave barrier
	s_waitcnt lgkmcnt(0)
	s_barrier
	buffer_gl0_inv
	ds_load_2addr_b64 v[4:7], v17 offset0:4 offset1:5
	ds_load_2addr_b64 v[0:3], v18 offset0:2 offset1:3
	s_waitcnt lgkmcnt(1)
	v_add_nc_u32_e32 v28, v5, v4
	s_delay_alu instid0(VALU_DEP_1) | instskip(SKIP_1) | instid1(VALU_DEP_1)
	v_add3_u32 v28, v28, v6, v7
	s_waitcnt lgkmcnt(0)
	v_add3_u32 v28, v28, v0, v1
	s_delay_alu instid0(VALU_DEP_1) | instskip(NEXT) | instid1(VALU_DEP_1)
	v_add3_u32 v3, v28, v2, v3
	v_mov_b32_dpp v28, v3 row_shr:1 row_mask:0xf bank_mask:0xf
	s_delay_alu instid0(VALU_DEP_1) | instskip(NEXT) | instid1(VALU_DEP_1)
	v_cndmask_b32_e64 v28, v28, 0, s1
	v_add_nc_u32_e32 v3, v28, v3
	s_delay_alu instid0(VALU_DEP_1) | instskip(NEXT) | instid1(VALU_DEP_1)
	v_mov_b32_dpp v28, v3 row_shr:2 row_mask:0xf bank_mask:0xf
	v_cndmask_b32_e64 v28, 0, v28, s2
	s_delay_alu instid0(VALU_DEP_1) | instskip(NEXT) | instid1(VALU_DEP_1)
	v_add_nc_u32_e32 v3, v3, v28
	v_mov_b32_dpp v28, v3 row_shr:4 row_mask:0xf bank_mask:0xf
	s_delay_alu instid0(VALU_DEP_1) | instskip(NEXT) | instid1(VALU_DEP_1)
	v_cndmask_b32_e64 v28, 0, v28, s3
	v_add_nc_u32_e32 v3, v3, v28
	s_delay_alu instid0(VALU_DEP_1) | instskip(NEXT) | instid1(VALU_DEP_1)
	v_mov_b32_dpp v28, v3 row_shr:8 row_mask:0xf bank_mask:0xf
	v_cndmask_b32_e64 v28, 0, v28, s4
	s_delay_alu instid0(VALU_DEP_1) | instskip(SKIP_3) | instid1(VALU_DEP_1)
	v_add_nc_u32_e32 v3, v3, v28
	ds_swizzle_b32 v28, v3 offset:swizzle(BROADCAST,32,15)
	s_waitcnt lgkmcnt(0)
	v_cndmask_b32_e64 v28, v28, 0, s5
	v_add_nc_u32_e32 v3, v3, v28
	s_and_saveexec_b32 s13, s12
	s_cbranch_execz .LBB313_8
; %bb.7:                                ;   in Loop: Header=BB313_4 Depth=2
	ds_store_b32 v19, v3
.LBB313_8:                              ;   in Loop: Header=BB313_4 Depth=2
	s_or_b32 exec_lo, exec_lo, s13
	s_waitcnt lgkmcnt(0)
	s_barrier
	buffer_gl0_inv
	s_and_saveexec_b32 s13, s6
	s_cbranch_execz .LBB313_10
; %bb.9:                                ;   in Loop: Header=BB313_4 Depth=2
	ds_load_b32 v28, v21
	s_waitcnt lgkmcnt(0)
	v_mov_b32_dpp v29, v28 row_shr:1 row_mask:0xf bank_mask:0xf
	s_delay_alu instid0(VALU_DEP_1) | instskip(NEXT) | instid1(VALU_DEP_1)
	v_cndmask_b32_e64 v29, v29, 0, s9
	v_add_nc_u32_e32 v28, v29, v28
	s_delay_alu instid0(VALU_DEP_1) | instskip(NEXT) | instid1(VALU_DEP_1)
	v_mov_b32_dpp v29, v28 row_shr:2 row_mask:0xf bank_mask:0xf
	v_cndmask_b32_e64 v29, 0, v29, s10
	s_delay_alu instid0(VALU_DEP_1) | instskip(NEXT) | instid1(VALU_DEP_1)
	v_add_nc_u32_e32 v28, v28, v29
	v_mov_b32_dpp v29, v28 row_shr:4 row_mask:0xf bank_mask:0xf
	s_delay_alu instid0(VALU_DEP_1) | instskip(NEXT) | instid1(VALU_DEP_1)
	v_cndmask_b32_e64 v29, 0, v29, s11
	v_add_nc_u32_e32 v28, v28, v29
	ds_store_b32 v21, v28
.LBB313_10:                             ;   in Loop: Header=BB313_4 Depth=2
	s_or_b32 exec_lo, exec_lo, s13
	v_mov_b32_e32 v28, 0
	s_waitcnt lgkmcnt(0)
	s_barrier
	buffer_gl0_inv
	s_and_saveexec_b32 s13, s7
	s_cbranch_execz .LBB313_12
; %bb.11:                               ;   in Loop: Header=BB313_4 Depth=2
	ds_load_b32 v28, v22
.LBB313_12:                             ;   in Loop: Header=BB313_4 Depth=2
	s_or_b32 exec_lo, exec_lo, s13
	s_waitcnt lgkmcnt(0)
	v_add_nc_u32_e32 v3, v28, v3
	s_cmp_gt_u32 s16, 55
	ds_bpermute_b32 v3, v20, v3
	s_waitcnt lgkmcnt(0)
	v_cndmask_b32_e64 v3, v3, v28, s0
	s_delay_alu instid0(VALU_DEP_1) | instskip(NEXT) | instid1(VALU_DEP_1)
	v_cndmask_b32_e64 v3, v3, 0, s8
	v_add_nc_u32_e32 v4, v3, v4
	s_delay_alu instid0(VALU_DEP_1) | instskip(NEXT) | instid1(VALU_DEP_1)
	v_add_nc_u32_e32 v5, v4, v5
	v_add_nc_u32_e32 v6, v5, v6
	s_delay_alu instid0(VALU_DEP_1) | instskip(NEXT) | instid1(VALU_DEP_1)
	v_add_nc_u32_e32 v28, v6, v7
	v_add_nc_u32_e32 v29, v28, v0
	s_delay_alu instid0(VALU_DEP_1) | instskip(NEXT) | instid1(VALU_DEP_1)
	v_add_nc_u32_e32 v0, v29, v1
	v_add_nc_u32_e32 v1, v0, v2
	ds_store_2addr_b64 v17, v[3:4], v[5:6] offset0:4 offset1:5
	ds_store_2addr_b64 v18, v[28:29], v[0:1] offset0:2 offset1:3
	s_waitcnt lgkmcnt(0)
	s_barrier
	buffer_gl0_inv
	ds_load_b32 v0, v27
	s_waitcnt lgkmcnt(0)
	v_add_nc_u32_e32 v0, v0, v26
	s_cbranch_scc0 .LBB313_3
; %bb.13:                               ;   in Loop: Header=BB313_2 Depth=1
                                        ; implicit-def: $vgpr3_vgpr4
                                        ; implicit-def: $vgpr1_vgpr2
                                        ; implicit-def: $sgpr16_sgpr17
	s_branch .LBB313_1
.LBB313_14:
	s_waitcnt lgkmcnt(0)
	v_add_co_u32 v0, vcc_lo, v3, v1
	v_add_co_ci_u32_e32 v1, vcc_lo, v4, v2, vcc_lo
	v_lshlrev_b32_e32 v2, 3, v8
	s_delay_alu instid0(VALU_DEP_3) | instskip(NEXT) | instid1(VALU_DEP_3)
	v_add_co_u32 v0, vcc_lo, v0, 0
	v_add_co_ci_u32_e32 v1, vcc_lo, 0x80000000, v1, vcc_lo
	s_add_u32 s0, s18, s14
	s_addc_u32 s1, s19, s15
	global_store_b64 v2, v[0:1], s[0:1]
	s_nop 0
	s_sendmsg sendmsg(MSG_DEALLOC_VGPRS)
	s_endpgm
	.section	.rodata,"a",@progbits
	.p2align	6, 0x0
	.amdhsa_kernel _Z17sort_pairs_kernelI22helper_blocked_stripedxLj256ELj1ELj10EEvPKT0_PS1_
		.amdhsa_group_segment_fixed_size 8224
		.amdhsa_private_segment_fixed_size 0
		.amdhsa_kernarg_size 272
		.amdhsa_user_sgpr_count 15
		.amdhsa_user_sgpr_dispatch_ptr 0
		.amdhsa_user_sgpr_queue_ptr 0
		.amdhsa_user_sgpr_kernarg_segment_ptr 1
		.amdhsa_user_sgpr_dispatch_id 0
		.amdhsa_user_sgpr_private_segment_size 0
		.amdhsa_wavefront_size32 1
		.amdhsa_uses_dynamic_stack 0
		.amdhsa_enable_private_segment 0
		.amdhsa_system_sgpr_workgroup_id_x 1
		.amdhsa_system_sgpr_workgroup_id_y 0
		.amdhsa_system_sgpr_workgroup_id_z 0
		.amdhsa_system_sgpr_workgroup_info 0
		.amdhsa_system_vgpr_workitem_id 2
		.amdhsa_next_free_vgpr 30
		.amdhsa_next_free_sgpr 22
		.amdhsa_reserve_vcc 1
		.amdhsa_float_round_mode_32 0
		.amdhsa_float_round_mode_16_64 0
		.amdhsa_float_denorm_mode_32 3
		.amdhsa_float_denorm_mode_16_64 3
		.amdhsa_dx10_clamp 1
		.amdhsa_ieee_mode 1
		.amdhsa_fp16_overflow 0
		.amdhsa_workgroup_processor_mode 1
		.amdhsa_memory_ordered 1
		.amdhsa_forward_progress 0
		.amdhsa_shared_vgpr_count 0
		.amdhsa_exception_fp_ieee_invalid_op 0
		.amdhsa_exception_fp_denorm_src 0
		.amdhsa_exception_fp_ieee_div_zero 0
		.amdhsa_exception_fp_ieee_overflow 0
		.amdhsa_exception_fp_ieee_underflow 0
		.amdhsa_exception_fp_ieee_inexact 0
		.amdhsa_exception_int_div_zero 0
	.end_amdhsa_kernel
	.section	.text._Z17sort_pairs_kernelI22helper_blocked_stripedxLj256ELj1ELj10EEvPKT0_PS1_,"axG",@progbits,_Z17sort_pairs_kernelI22helper_blocked_stripedxLj256ELj1ELj10EEvPKT0_PS1_,comdat
.Lfunc_end313:
	.size	_Z17sort_pairs_kernelI22helper_blocked_stripedxLj256ELj1ELj10EEvPKT0_PS1_, .Lfunc_end313-_Z17sort_pairs_kernelI22helper_blocked_stripedxLj256ELj1ELj10EEvPKT0_PS1_
                                        ; -- End function
	.section	.AMDGPU.csdata,"",@progbits
; Kernel info:
; codeLenInByte = 1600
; NumSgprs: 24
; NumVgprs: 30
; ScratchSize: 0
; MemoryBound: 0
; FloatMode: 240
; IeeeMode: 1
; LDSByteSize: 8224 bytes/workgroup (compile time only)
; SGPRBlocks: 2
; VGPRBlocks: 3
; NumSGPRsForWavesPerEU: 24
; NumVGPRsForWavesPerEU: 30
; Occupancy: 16
; WaveLimiterHint : 0
; COMPUTE_PGM_RSRC2:SCRATCH_EN: 0
; COMPUTE_PGM_RSRC2:USER_SGPR: 15
; COMPUTE_PGM_RSRC2:TRAP_HANDLER: 0
; COMPUTE_PGM_RSRC2:TGID_X_EN: 1
; COMPUTE_PGM_RSRC2:TGID_Y_EN: 0
; COMPUTE_PGM_RSRC2:TGID_Z_EN: 0
; COMPUTE_PGM_RSRC2:TIDIG_COMP_CNT: 2
	.section	.text._Z16sort_keys_kernelI22helper_blocked_stripedxLj256ELj3ELj10EEvPKT0_PS1_,"axG",@progbits,_Z16sort_keys_kernelI22helper_blocked_stripedxLj256ELj3ELj10EEvPKT0_PS1_,comdat
	.protected	_Z16sort_keys_kernelI22helper_blocked_stripedxLj256ELj3ELj10EEvPKT0_PS1_ ; -- Begin function _Z16sort_keys_kernelI22helper_blocked_stripedxLj256ELj3ELj10EEvPKT0_PS1_
	.globl	_Z16sort_keys_kernelI22helper_blocked_stripedxLj256ELj3ELj10EEvPKT0_PS1_
	.p2align	8
	.type	_Z16sort_keys_kernelI22helper_blocked_stripedxLj256ELj3ELj10EEvPKT0_PS1_,@function
_Z16sort_keys_kernelI22helper_blocked_stripedxLj256ELj3ELj10EEvPKT0_PS1_: ; @_Z16sort_keys_kernelI22helper_blocked_stripedxLj256ELj3ELj10EEvPKT0_PS1_
; %bb.0:
	s_clause 0x1
	s_load_b128 s[16:19], s[0:1], 0x0
	s_load_b32 s2, s[0:1], 0x1c
	s_mov_b32 s21, 0
	s_mul_i32 s20, s15, 0x300
	v_bfe_u32 v9, v0, 10, 10
	s_lshl_b64 s[14:15], s[20:21], 3
	s_mov_b32 s20, s21
	v_and_b32_e32 v8, 0x3ff, v0
	v_bfe_u32 v0, v0, 20, 10
	v_mbcnt_lo_u32_b32 v12, -1, 0
	s_delay_alu instid0(VALU_DEP_3) | instskip(NEXT) | instid1(VALU_DEP_2)
	v_mul_u32_u24_e32 v1, 3, v8
	v_cmp_eq_u32_e64 s8, 0, v12
	s_delay_alu instid0(VALU_DEP_2)
	v_lshlrev_b32_e32 v1, 3, v1
	s_waitcnt lgkmcnt(0)
	s_add_u32 s0, s16, s14
	s_addc_u32 s1, s17, s15
	s_mov_b32 s16, s21
	s_clause 0x1
	global_load_b64 v[5:6], v1, s[0:1] offset:16
	global_load_b128 v[1:4], v1, s[0:1]
	s_lshr_b32 s0, s2, 16
	s_mov_b32 s17, s21
	v_mad_u32_u24 v0, v0, s0, v9
	s_and_b32 s0, s2, 0xffff
	s_delay_alu instid0(VALU_DEP_1) | instid1(SALU_CYCLE_1)
	v_mad_u64_u32 v[9:10], null, v0, s0, v[8:9]
	v_and_b32_e32 v10, 15, v12
	s_delay_alu instid0(VALU_DEP_1) | instskip(NEXT) | instid1(VALU_DEP_3)
	v_cmp_eq_u32_e64 s0, 0, v10
	v_lshrrev_b32_e32 v23, 5, v9
	v_add_nc_u32_e32 v9, -1, v12
	v_cmp_lt_u32_e64 s1, 1, v10
	v_cmp_lt_u32_e64 s2, 3, v10
	;; [unrolled: 1-line block ×3, first 2 shown]
	s_delay_alu instid0(VALU_DEP_4) | instskip(SKIP_1) | instid1(VALU_DEP_1)
	v_cmp_gt_i32_e32 vcc_lo, 0, v9
	v_cndmask_b32_e32 v9, v9, v12, vcc_lo
	v_lshlrev_b32_e32 v24, 2, v9
	v_and_b32_e32 v9, 7, v12
	s_delay_alu instid0(VALU_DEP_1)
	v_cmp_eq_u32_e64 s10, 0, v9
	v_cmp_lt_u32_e64 s11, 1, v9
	v_cmp_lt_u32_e64 s12, 3, v9
	v_mov_b32_e32 v9, s20
	v_lshrrev_b32_e32 v7, 5, v8
	v_lshlrev_b32_e32 v19, 5, v8
	v_cmp_gt_u32_e64 s6, 8, v8
	v_cmp_lt_u32_e64 s7, 31, v8
	v_cmp_eq_u32_e64 s9, 0, v8
	v_mul_u32_u24_e32 v11, 0x60, v7
	v_lshlrev_b32_e32 v25, 2, v7
	v_mad_i32_i24 v26, 0xffffffe4, v8, v19
	v_add_nc_u32_e32 v22, 32, v19
	v_mov_b32_e32 v10, s21
	v_or_b32_e32 v0, v12, v11
	v_lshlrev_b32_e32 v13, 3, v11
	v_and_b32_e32 v11, 16, v12
	v_add_nc_u32_e32 v27, -4, v25
	s_delay_alu instid0(VALU_DEP_4) | instskip(SKIP_3) | instid1(VALU_DEP_3)
	v_lshlrev_b32_e32 v21, 3, v0
	v_and_b32_e32 v0, 0xe0, v8
	v_mad_u32_u24 v20, v12, 24, v13
	v_cmp_eq_u32_e64 s4, 0, v11
	v_or_b32_e32 v13, 31, v0
	v_mul_u32_u24_e32 v0, 3, v0
	s_delay_alu instid0(VALU_DEP_2) | instskip(NEXT) | instid1(VALU_DEP_2)
	v_cmp_eq_u32_e64 s5, v13, v8
	v_or_b32_e32 v0, v12, v0
	v_dual_mov_b32 v11, s16 :: v_dual_mov_b32 v12, s17
	s_delay_alu instid0(VALU_DEP_2) | instskip(SKIP_1) | instid1(VALU_DEP_1)
	v_lshlrev_b32_e32 v28, 3, v0
	v_lshlrev_b32_e32 v0, 2, v8
	v_add_nc_u32_e32 v29, v26, v0
	s_branch .LBB314_2
.LBB314_1:                              ;   in Loop: Header=BB314_2 Depth=1
	v_lshlrev_b32_e32 v0, 3, v30
	v_lshlrev_b32_e32 v1, 3, v7
	;; [unrolled: 1-line block ×3, first 2 shown]
	s_barrier
	buffer_gl0_inv
	ds_store_b64 v0, v[13:14]
	ds_store_b64 v1, v[17:18]
	;; [unrolled: 1-line block ×3, first 2 shown]
	s_waitcnt lgkmcnt(0)
	s_barrier
	buffer_gl0_inv
	ds_load_2addr_stride64_b64 v[1:4], v29 offset1:4
	ds_load_b64 v[5:6], v29 offset:4096
	s_add_i32 s21, s21, 1
	s_delay_alu instid0(SALU_CYCLE_1)
	s_cmp_eq_u32 s21, 10
	s_waitcnt lgkmcnt(1)
	v_xor_b32_e32 v2, 0x80000000, v2
	v_xor_b32_e32 v4, 0x80000000, v4
	s_waitcnt lgkmcnt(0)
	v_xor_b32_e32 v6, 0x80000000, v6
	s_cbranch_scc1 .LBB314_18
.LBB314_2:                              ; =>This Loop Header: Depth=1
                                        ;     Child Loop BB314_4 Depth 2
	s_waitcnt vmcnt(0)
	v_xor_b32_e32 v2, 0x80000000, v2
	v_xor_b32_e32 v4, 0x80000000, v4
	;; [unrolled: 1-line block ×3, first 2 shown]
	s_mov_b64 s[16:17], 0
	ds_store_2addr_b64 v20, v[1:2], v[3:4] offset1:1
	ds_store_b64 v20, v[5:6] offset:16
	; wave barrier
	ds_load_2addr_b64 v[0:3], v21 offset1:32
	ds_load_b64 v[4:5], v21 offset:512
	s_waitcnt lgkmcnt(0)
	s_barrier
	buffer_gl0_inv
	; wave barrier
	s_barrier
	s_branch .LBB314_4
.LBB314_3:                              ;   in Loop: Header=BB314_4 Depth=2
	v_lshlrev_b32_e32 v0, 3, v30
	v_lshlrev_b32_e32 v1, 3, v7
	s_delay_alu instid0(VALU_DEP_3)
	v_lshlrev_b32_e32 v2, 3, v6
	s_barrier
	buffer_gl0_inv
	ds_store_b64 v0, v[13:14]
	ds_store_b64 v1, v[17:18]
	;; [unrolled: 1-line block ×3, first 2 shown]
	s_waitcnt lgkmcnt(0)
	s_barrier
	buffer_gl0_inv
	ds_load_2addr_b64 v[0:3], v28 offset1:32
	ds_load_b64 v[4:5], v28 offset:512
	s_add_u32 s16, s16, 8
	s_addc_u32 s17, s17, 0
	s_waitcnt lgkmcnt(0)
	s_barrier
	s_cbranch_execz .LBB314_1
.LBB314_4:                              ;   Parent Loop BB314_2 Depth=1
                                        ; =>  This Inner Loop Header: Depth=2
	v_dual_mov_b32 v14, v1 :: v_dual_mov_b32 v13, v0
	buffer_gl0_inv
	ds_store_2addr_b64 v19, v[9:10], v[11:12] offset0:4 offset1:5
	ds_store_2addr_b64 v22, v[9:10], v[11:12] offset0:2 offset1:3
	s_waitcnt lgkmcnt(0)
	s_barrier
	v_lshrrev_b64 v[6:7], s16, v[13:14]
	buffer_gl0_inv
	; wave barrier
	v_and_b32_e32 v0, 1, v6
	v_lshlrev_b32_e32 v1, 30, v6
	v_lshlrev_b32_e32 v7, 29, v6
	;; [unrolled: 1-line block ×4, first 2 shown]
	v_add_co_u32 v0, s13, v0, -1
	s_delay_alu instid0(VALU_DEP_1)
	v_cndmask_b32_e64 v16, 0, 1, s13
	v_not_b32_e32 v31, v1
	v_cmp_gt_i32_e64 s13, 0, v1
	v_not_b32_e32 v1, v7
	v_lshlrev_b32_e32 v18, 26, v6
	v_cmp_ne_u32_e32 vcc_lo, 0, v16
	v_ashrrev_i32_e32 v31, 31, v31
	v_lshlrev_b32_e32 v30, 25, v6
	v_ashrrev_i32_e32 v1, 31, v1
	v_lshlrev_b32_e32 v16, 24, v6
	v_xor_b32_e32 v0, vcc_lo, v0
	v_cmp_gt_i32_e32 vcc_lo, 0, v7
	v_not_b32_e32 v7, v15
	v_xor_b32_e32 v31, s13, v31
	v_cmp_gt_i32_e64 s13, 0, v15
	v_and_b32_e32 v0, exec_lo, v0
	v_not_b32_e32 v15, v17
	v_ashrrev_i32_e32 v7, 31, v7
	v_xor_b32_e32 v1, vcc_lo, v1
	v_cmp_gt_i32_e32 vcc_lo, 0, v17
	v_and_b32_e32 v0, v0, v31
	v_not_b32_e32 v17, v18
	v_ashrrev_i32_e32 v15, 31, v15
	v_xor_b32_e32 v7, s13, v7
	v_cmp_gt_i32_e64 s13, 0, v18
	v_and_b32_e32 v0, v0, v1
	v_not_b32_e32 v1, v30
	v_ashrrev_i32_e32 v17, 31, v17
	v_xor_b32_e32 v15, vcc_lo, v15
	v_cmp_gt_i32_e32 vcc_lo, 0, v30
	v_and_b32_e32 v0, v0, v7
	v_not_b32_e32 v7, v16
	v_ashrrev_i32_e32 v1, 31, v1
	v_xor_b32_e32 v17, s13, v17
	v_cmp_gt_i32_e64 s13, 0, v16
	v_and_b32_e32 v0, v0, v15
	v_ashrrev_i32_e32 v7, 31, v7
	v_xor_b32_e32 v1, vcc_lo, v1
	v_dual_mov_b32 v16, v5 :: v_dual_mov_b32 v15, v4
	s_delay_alu instid0(VALU_DEP_4) | instskip(NEXT) | instid1(VALU_DEP_4)
	v_and_b32_e32 v0, v0, v17
	v_xor_b32_e32 v7, s13, v7
	v_dual_mov_b32 v18, v3 :: v_dual_mov_b32 v17, v2
	s_delay_alu instid0(VALU_DEP_3) | instskip(SKIP_1) | instid1(VALU_DEP_2)
	v_and_b32_e32 v0, v0, v1
	v_and_b32_e32 v1, 0xff, v6
	;; [unrolled: 1-line block ×3, first 2 shown]
	s_delay_alu instid0(VALU_DEP_2) | instskip(NEXT) | instid1(VALU_DEP_2)
	v_lshl_add_u32 v1, v1, 3, v23
	v_mbcnt_lo_u32_b32 v30, v0, 0
	v_cmp_ne_u32_e64 s13, 0, v0
	s_delay_alu instid0(VALU_DEP_3) | instskip(NEXT) | instid1(VALU_DEP_3)
	v_lshl_add_u32 v31, v1, 2, 32
	v_cmp_eq_u32_e32 vcc_lo, 0, v30
	s_delay_alu instid0(VALU_DEP_3) | instskip(NEXT) | instid1(SALU_CYCLE_1)
	s_and_b32 s20, s13, vcc_lo
	s_and_saveexec_b32 s13, s20
	s_cbranch_execz .LBB314_6
; %bb.5:                                ;   in Loop: Header=BB314_4 Depth=2
	v_bcnt_u32_b32 v0, v0, 0
	ds_store_b32 v31, v0
.LBB314_6:                              ;   in Loop: Header=BB314_4 Depth=2
	s_or_b32 exec_lo, exec_lo, s13
	v_lshrrev_b64 v[0:1], s16, v[17:18]
	; wave barrier
	s_delay_alu instid0(VALU_DEP_1)
	v_and_b32_e32 v2, 1, v0
	v_lshlrev_b32_e32 v3, 30, v0
	v_lshlrev_b32_e32 v4, 29, v0
	;; [unrolled: 1-line block ×4, first 2 shown]
	v_add_co_u32 v2, s13, v2, -1
	s_delay_alu instid0(VALU_DEP_1)
	v_cndmask_b32_e64 v6, 0, 1, s13
	v_not_b32_e32 v34, v3
	v_cmp_gt_i32_e64 s13, 0, v3
	v_not_b32_e32 v3, v4
	v_lshlrev_b32_e32 v32, 26, v0
	v_cmp_ne_u32_e32 vcc_lo, 0, v6
	v_ashrrev_i32_e32 v6, 31, v34
	v_lshlrev_b32_e32 v33, 25, v0
	v_ashrrev_i32_e32 v3, 31, v3
	v_and_b32_e32 v1, 0xff, v0
	v_xor_b32_e32 v2, vcc_lo, v2
	v_cmp_gt_i32_e32 vcc_lo, 0, v4
	v_not_b32_e32 v4, v5
	v_xor_b32_e32 v6, s13, v6
	v_cmp_gt_i32_e64 s13, 0, v5
	v_and_b32_e32 v2, exec_lo, v2
	v_not_b32_e32 v5, v7
	v_ashrrev_i32_e32 v4, 31, v4
	v_xor_b32_e32 v3, vcc_lo, v3
	v_cmp_gt_i32_e32 vcc_lo, 0, v7
	v_and_b32_e32 v2, v2, v6
	v_not_b32_e32 v6, v32
	v_ashrrev_i32_e32 v5, 31, v5
	v_xor_b32_e32 v4, s13, v4
	v_lshlrev_b32_e32 v0, 24, v0
	v_and_b32_e32 v2, v2, v3
	v_cmp_gt_i32_e64 s13, 0, v32
	v_not_b32_e32 v3, v33
	v_ashrrev_i32_e32 v6, 31, v6
	v_xor_b32_e32 v5, vcc_lo, v5
	v_and_b32_e32 v2, v2, v4
	v_cmp_gt_i32_e32 vcc_lo, 0, v33
	v_not_b32_e32 v4, v0
	v_ashrrev_i32_e32 v3, 31, v3
	v_xor_b32_e32 v6, s13, v6
	v_and_b32_e32 v2, v2, v5
	v_lshlrev_b32_e32 v1, 3, v1
	v_cmp_gt_i32_e64 s13, 0, v0
	v_ashrrev_i32_e32 v0, 31, v4
	v_xor_b32_e32 v3, vcc_lo, v3
	v_and_b32_e32 v2, v2, v6
	v_add_lshl_u32 v1, v1, v23, 2
	s_delay_alu instid0(VALU_DEP_4) | instskip(NEXT) | instid1(VALU_DEP_3)
	v_xor_b32_e32 v0, s13, v0
	v_and_b32_e32 v2, v2, v3
	ds_load_b32 v32, v1 offset:32
	v_add_nc_u32_e32 v34, 32, v1
	; wave barrier
	v_and_b32_e32 v0, v2, v0
	s_delay_alu instid0(VALU_DEP_1) | instskip(SKIP_1) | instid1(VALU_DEP_2)
	v_mbcnt_lo_u32_b32 v33, v0, 0
	v_cmp_ne_u32_e64 s13, 0, v0
	v_cmp_eq_u32_e32 vcc_lo, 0, v33
	s_delay_alu instid0(VALU_DEP_2) | instskip(NEXT) | instid1(SALU_CYCLE_1)
	s_and_b32 s20, s13, vcc_lo
	s_and_saveexec_b32 s13, s20
	s_cbranch_execz .LBB314_8
; %bb.7:                                ;   in Loop: Header=BB314_4 Depth=2
	s_waitcnt lgkmcnt(0)
	v_bcnt_u32_b32 v0, v0, v32
	ds_store_b32 v34, v0
.LBB314_8:                              ;   in Loop: Header=BB314_4 Depth=2
	s_or_b32 exec_lo, exec_lo, s13
	v_lshrrev_b64 v[0:1], s16, v[15:16]
	; wave barrier
	s_delay_alu instid0(VALU_DEP_1)
	v_and_b32_e32 v2, 1, v0
	v_lshlrev_b32_e32 v3, 30, v0
	v_lshlrev_b32_e32 v4, 29, v0
	v_lshlrev_b32_e32 v5, 28, v0
	v_lshlrev_b32_e32 v7, 27, v0
	v_add_co_u32 v2, s13, v2, -1
	s_delay_alu instid0(VALU_DEP_1)
	v_cndmask_b32_e64 v6, 0, 1, s13
	v_not_b32_e32 v37, v3
	v_cmp_gt_i32_e64 s13, 0, v3
	v_not_b32_e32 v3, v4
	v_lshlrev_b32_e32 v35, 26, v0
	v_cmp_ne_u32_e32 vcc_lo, 0, v6
	v_ashrrev_i32_e32 v6, 31, v37
	v_lshlrev_b32_e32 v36, 25, v0
	v_ashrrev_i32_e32 v3, 31, v3
	v_and_b32_e32 v1, 0xff, v0
	v_xor_b32_e32 v2, vcc_lo, v2
	v_cmp_gt_i32_e32 vcc_lo, 0, v4
	v_not_b32_e32 v4, v5
	v_xor_b32_e32 v6, s13, v6
	v_cmp_gt_i32_e64 s13, 0, v5
	v_and_b32_e32 v2, exec_lo, v2
	v_not_b32_e32 v5, v7
	v_ashrrev_i32_e32 v4, 31, v4
	v_xor_b32_e32 v3, vcc_lo, v3
	v_cmp_gt_i32_e32 vcc_lo, 0, v7
	v_and_b32_e32 v2, v2, v6
	v_not_b32_e32 v6, v35
	v_ashrrev_i32_e32 v5, 31, v5
	v_xor_b32_e32 v4, s13, v4
	v_lshlrev_b32_e32 v0, 24, v0
	v_and_b32_e32 v2, v2, v3
	v_cmp_gt_i32_e64 s13, 0, v35
	v_not_b32_e32 v3, v36
	v_ashrrev_i32_e32 v6, 31, v6
	v_xor_b32_e32 v5, vcc_lo, v5
	v_and_b32_e32 v2, v2, v4
	v_cmp_gt_i32_e32 vcc_lo, 0, v36
	v_not_b32_e32 v4, v0
	v_ashrrev_i32_e32 v3, 31, v3
	v_xor_b32_e32 v6, s13, v6
	v_and_b32_e32 v2, v2, v5
	v_lshlrev_b32_e32 v1, 3, v1
	v_cmp_gt_i32_e64 s13, 0, v0
	v_ashrrev_i32_e32 v0, 31, v4
	v_xor_b32_e32 v3, vcc_lo, v3
	v_and_b32_e32 v2, v2, v6
	v_add_lshl_u32 v1, v1, v23, 2
	s_delay_alu instid0(VALU_DEP_4) | instskip(NEXT) | instid1(VALU_DEP_3)
	v_xor_b32_e32 v0, s13, v0
	v_and_b32_e32 v2, v2, v3
	ds_load_b32 v35, v1 offset:32
	v_add_nc_u32_e32 v37, 32, v1
	; wave barrier
	v_and_b32_e32 v0, v2, v0
	s_delay_alu instid0(VALU_DEP_1) | instskip(SKIP_1) | instid1(VALU_DEP_2)
	v_mbcnt_lo_u32_b32 v36, v0, 0
	v_cmp_ne_u32_e64 s13, 0, v0
	v_cmp_eq_u32_e32 vcc_lo, 0, v36
	s_delay_alu instid0(VALU_DEP_2) | instskip(NEXT) | instid1(SALU_CYCLE_1)
	s_and_b32 s20, s13, vcc_lo
	s_and_saveexec_b32 s13, s20
	s_cbranch_execz .LBB314_10
; %bb.9:                                ;   in Loop: Header=BB314_4 Depth=2
	s_waitcnt lgkmcnt(0)
	v_bcnt_u32_b32 v0, v0, v35
	ds_store_b32 v37, v0
.LBB314_10:                             ;   in Loop: Header=BB314_4 Depth=2
	s_or_b32 exec_lo, exec_lo, s13
	; wave barrier
	s_waitcnt lgkmcnt(0)
	s_barrier
	buffer_gl0_inv
	ds_load_2addr_b64 v[4:7], v19 offset0:4 offset1:5
	ds_load_2addr_b64 v[0:3], v22 offset0:2 offset1:3
	s_waitcnt lgkmcnt(1)
	v_add_nc_u32_e32 v38, v5, v4
	s_delay_alu instid0(VALU_DEP_1) | instskip(SKIP_1) | instid1(VALU_DEP_1)
	v_add3_u32 v38, v38, v6, v7
	s_waitcnt lgkmcnt(0)
	v_add3_u32 v38, v38, v0, v1
	s_delay_alu instid0(VALU_DEP_1) | instskip(NEXT) | instid1(VALU_DEP_1)
	v_add3_u32 v3, v38, v2, v3
	v_mov_b32_dpp v38, v3 row_shr:1 row_mask:0xf bank_mask:0xf
	s_delay_alu instid0(VALU_DEP_1) | instskip(NEXT) | instid1(VALU_DEP_1)
	v_cndmask_b32_e64 v38, v38, 0, s0
	v_add_nc_u32_e32 v3, v38, v3
	s_delay_alu instid0(VALU_DEP_1) | instskip(NEXT) | instid1(VALU_DEP_1)
	v_mov_b32_dpp v38, v3 row_shr:2 row_mask:0xf bank_mask:0xf
	v_cndmask_b32_e64 v38, 0, v38, s1
	s_delay_alu instid0(VALU_DEP_1) | instskip(NEXT) | instid1(VALU_DEP_1)
	v_add_nc_u32_e32 v3, v3, v38
	v_mov_b32_dpp v38, v3 row_shr:4 row_mask:0xf bank_mask:0xf
	s_delay_alu instid0(VALU_DEP_1) | instskip(NEXT) | instid1(VALU_DEP_1)
	v_cndmask_b32_e64 v38, 0, v38, s2
	v_add_nc_u32_e32 v3, v3, v38
	s_delay_alu instid0(VALU_DEP_1) | instskip(NEXT) | instid1(VALU_DEP_1)
	v_mov_b32_dpp v38, v3 row_shr:8 row_mask:0xf bank_mask:0xf
	v_cndmask_b32_e64 v38, 0, v38, s3
	s_delay_alu instid0(VALU_DEP_1) | instskip(SKIP_3) | instid1(VALU_DEP_1)
	v_add_nc_u32_e32 v3, v3, v38
	ds_swizzle_b32 v38, v3 offset:swizzle(BROADCAST,32,15)
	s_waitcnt lgkmcnt(0)
	v_cndmask_b32_e64 v38, v38, 0, s4
	v_add_nc_u32_e32 v3, v3, v38
	s_and_saveexec_b32 s13, s5
	s_cbranch_execz .LBB314_12
; %bb.11:                               ;   in Loop: Header=BB314_4 Depth=2
	ds_store_b32 v25, v3
.LBB314_12:                             ;   in Loop: Header=BB314_4 Depth=2
	s_or_b32 exec_lo, exec_lo, s13
	s_waitcnt lgkmcnt(0)
	s_barrier
	buffer_gl0_inv
	s_and_saveexec_b32 s13, s6
	s_cbranch_execz .LBB314_14
; %bb.13:                               ;   in Loop: Header=BB314_4 Depth=2
	ds_load_b32 v38, v26
	s_waitcnt lgkmcnt(0)
	v_mov_b32_dpp v39, v38 row_shr:1 row_mask:0xf bank_mask:0xf
	s_delay_alu instid0(VALU_DEP_1) | instskip(NEXT) | instid1(VALU_DEP_1)
	v_cndmask_b32_e64 v39, v39, 0, s10
	v_add_nc_u32_e32 v38, v39, v38
	s_delay_alu instid0(VALU_DEP_1) | instskip(NEXT) | instid1(VALU_DEP_1)
	v_mov_b32_dpp v39, v38 row_shr:2 row_mask:0xf bank_mask:0xf
	v_cndmask_b32_e64 v39, 0, v39, s11
	s_delay_alu instid0(VALU_DEP_1) | instskip(NEXT) | instid1(VALU_DEP_1)
	v_add_nc_u32_e32 v38, v38, v39
	v_mov_b32_dpp v39, v38 row_shr:4 row_mask:0xf bank_mask:0xf
	s_delay_alu instid0(VALU_DEP_1) | instskip(NEXT) | instid1(VALU_DEP_1)
	v_cndmask_b32_e64 v39, 0, v39, s12
	v_add_nc_u32_e32 v38, v38, v39
	ds_store_b32 v26, v38
.LBB314_14:                             ;   in Loop: Header=BB314_4 Depth=2
	s_or_b32 exec_lo, exec_lo, s13
	v_mov_b32_e32 v38, 0
	s_waitcnt lgkmcnt(0)
	s_barrier
	buffer_gl0_inv
	s_and_saveexec_b32 s13, s7
	s_cbranch_execz .LBB314_16
; %bb.15:                               ;   in Loop: Header=BB314_4 Depth=2
	ds_load_b32 v38, v27
.LBB314_16:                             ;   in Loop: Header=BB314_4 Depth=2
	s_or_b32 exec_lo, exec_lo, s13
	s_waitcnt lgkmcnt(0)
	v_add_nc_u32_e32 v3, v38, v3
	s_cmp_gt_u32 s16, 55
	ds_bpermute_b32 v3, v24, v3
	s_waitcnt lgkmcnt(0)
	v_cndmask_b32_e64 v3, v3, v38, s8
	s_delay_alu instid0(VALU_DEP_1) | instskip(NEXT) | instid1(VALU_DEP_1)
	v_cndmask_b32_e64 v3, v3, 0, s9
	v_add_nc_u32_e32 v4, v3, v4
	s_delay_alu instid0(VALU_DEP_1) | instskip(NEXT) | instid1(VALU_DEP_1)
	v_add_nc_u32_e32 v5, v4, v5
	v_add_nc_u32_e32 v6, v5, v6
	s_delay_alu instid0(VALU_DEP_1) | instskip(NEXT) | instid1(VALU_DEP_1)
	v_add_nc_u32_e32 v38, v6, v7
	;; [unrolled: 3-line block ×3, first 2 shown]
	v_add_nc_u32_e32 v1, v0, v2
	ds_store_2addr_b64 v19, v[3:4], v[5:6] offset0:4 offset1:5
	ds_store_2addr_b64 v22, v[38:39], v[0:1] offset0:2 offset1:3
	s_waitcnt lgkmcnt(0)
	s_barrier
	buffer_gl0_inv
	ds_load_b32 v0, v31
	ds_load_b32 v1, v34
	;; [unrolled: 1-line block ×3, first 2 shown]
	s_waitcnt lgkmcnt(2)
	v_add_nc_u32_e32 v30, v0, v30
	s_waitcnt lgkmcnt(1)
	v_add3_u32 v7, v33, v32, v1
	s_waitcnt lgkmcnt(0)
	v_add3_u32 v6, v36, v35, v2
	s_cbranch_scc0 .LBB314_3
; %bb.17:                               ;   in Loop: Header=BB314_2 Depth=1
                                        ; implicit-def: $vgpr4_vgpr5
                                        ; implicit-def: $vgpr2_vgpr3
                                        ; implicit-def: $sgpr16_sgpr17
	s_branch .LBB314_1
.LBB314_18:
	v_lshlrev_b32_e32 v0, 3, v8
	s_add_u32 s0, s18, s14
	s_addc_u32 s1, s19, s15
	s_delay_alu instid0(VALU_DEP_1) | instskip(NEXT) | instid1(VALU_DEP_1)
	v_add_co_u32 v7, s2, s0, v0
	v_add_co_ci_u32_e64 v8, null, s1, 0, s2
	s_delay_alu instid0(VALU_DEP_2) | instskip(NEXT) | instid1(VALU_DEP_2)
	v_add_co_u32 v7, vcc_lo, 0x1000, v7
	v_add_co_ci_u32_e32 v8, vcc_lo, 0, v8, vcc_lo
	s_clause 0x2
	global_store_b64 v0, v[1:2], s[0:1]
	global_store_b64 v0, v[3:4], s[0:1] offset:2048
	global_store_b64 v[7:8], v[5:6], off
	s_nop 0
	s_sendmsg sendmsg(MSG_DEALLOC_VGPRS)
	s_endpgm
	.section	.rodata,"a",@progbits
	.p2align	6, 0x0
	.amdhsa_kernel _Z16sort_keys_kernelI22helper_blocked_stripedxLj256ELj3ELj10EEvPKT0_PS1_
		.amdhsa_group_segment_fixed_size 8224
		.amdhsa_private_segment_fixed_size 0
		.amdhsa_kernarg_size 272
		.amdhsa_user_sgpr_count 15
		.amdhsa_user_sgpr_dispatch_ptr 0
		.amdhsa_user_sgpr_queue_ptr 0
		.amdhsa_user_sgpr_kernarg_segment_ptr 1
		.amdhsa_user_sgpr_dispatch_id 0
		.amdhsa_user_sgpr_private_segment_size 0
		.amdhsa_wavefront_size32 1
		.amdhsa_uses_dynamic_stack 0
		.amdhsa_enable_private_segment 0
		.amdhsa_system_sgpr_workgroup_id_x 1
		.amdhsa_system_sgpr_workgroup_id_y 0
		.amdhsa_system_sgpr_workgroup_id_z 0
		.amdhsa_system_sgpr_workgroup_info 0
		.amdhsa_system_vgpr_workitem_id 2
		.amdhsa_next_free_vgpr 40
		.amdhsa_next_free_sgpr 22
		.amdhsa_reserve_vcc 1
		.amdhsa_float_round_mode_32 0
		.amdhsa_float_round_mode_16_64 0
		.amdhsa_float_denorm_mode_32 3
		.amdhsa_float_denorm_mode_16_64 3
		.amdhsa_dx10_clamp 1
		.amdhsa_ieee_mode 1
		.amdhsa_fp16_overflow 0
		.amdhsa_workgroup_processor_mode 1
		.amdhsa_memory_ordered 1
		.amdhsa_forward_progress 0
		.amdhsa_shared_vgpr_count 0
		.amdhsa_exception_fp_ieee_invalid_op 0
		.amdhsa_exception_fp_denorm_src 0
		.amdhsa_exception_fp_ieee_div_zero 0
		.amdhsa_exception_fp_ieee_overflow 0
		.amdhsa_exception_fp_ieee_underflow 0
		.amdhsa_exception_fp_ieee_inexact 0
		.amdhsa_exception_int_div_zero 0
	.end_amdhsa_kernel
	.section	.text._Z16sort_keys_kernelI22helper_blocked_stripedxLj256ELj3ELj10EEvPKT0_PS1_,"axG",@progbits,_Z16sort_keys_kernelI22helper_blocked_stripedxLj256ELj3ELj10EEvPKT0_PS1_,comdat
.Lfunc_end314:
	.size	_Z16sort_keys_kernelI22helper_blocked_stripedxLj256ELj3ELj10EEvPKT0_PS1_, .Lfunc_end314-_Z16sort_keys_kernelI22helper_blocked_stripedxLj256ELj3ELj10EEvPKT0_PS1_
                                        ; -- End function
	.section	.AMDGPU.csdata,"",@progbits
; Kernel info:
; codeLenInByte = 2464
; NumSgprs: 24
; NumVgprs: 40
; ScratchSize: 0
; MemoryBound: 0
; FloatMode: 240
; IeeeMode: 1
; LDSByteSize: 8224 bytes/workgroup (compile time only)
; SGPRBlocks: 2
; VGPRBlocks: 4
; NumSGPRsForWavesPerEU: 24
; NumVGPRsForWavesPerEU: 40
; Occupancy: 16
; WaveLimiterHint : 1
; COMPUTE_PGM_RSRC2:SCRATCH_EN: 0
; COMPUTE_PGM_RSRC2:USER_SGPR: 15
; COMPUTE_PGM_RSRC2:TRAP_HANDLER: 0
; COMPUTE_PGM_RSRC2:TGID_X_EN: 1
; COMPUTE_PGM_RSRC2:TGID_Y_EN: 0
; COMPUTE_PGM_RSRC2:TGID_Z_EN: 0
; COMPUTE_PGM_RSRC2:TIDIG_COMP_CNT: 2
	.section	.text._Z17sort_pairs_kernelI22helper_blocked_stripedxLj256ELj3ELj10EEvPKT0_PS1_,"axG",@progbits,_Z17sort_pairs_kernelI22helper_blocked_stripedxLj256ELj3ELj10EEvPKT0_PS1_,comdat
	.protected	_Z17sort_pairs_kernelI22helper_blocked_stripedxLj256ELj3ELj10EEvPKT0_PS1_ ; -- Begin function _Z17sort_pairs_kernelI22helper_blocked_stripedxLj256ELj3ELj10EEvPKT0_PS1_
	.globl	_Z17sort_pairs_kernelI22helper_blocked_stripedxLj256ELj3ELj10EEvPKT0_PS1_
	.p2align	8
	.type	_Z17sort_pairs_kernelI22helper_blocked_stripedxLj256ELj3ELj10EEvPKT0_PS1_,@function
_Z17sort_pairs_kernelI22helper_blocked_stripedxLj256ELj3ELj10EEvPKT0_PS1_: ; @_Z17sort_pairs_kernelI22helper_blocked_stripedxLj256ELj3ELj10EEvPKT0_PS1_
; %bb.0:
	s_clause 0x1
	s_load_b128 s[16:19], s[0:1], 0x0
	s_load_b32 s12, s[0:1], 0x1c
	v_and_b32_e32 v9, 0x3ff, v0
	s_mov_b32 s21, 0
	s_mul_i32 s20, s15, 0x300
	v_mbcnt_lo_u32_b32 v7, -1, 0
	s_lshl_b64 s[14:15], s[20:21], 3
	v_mul_u32_u24_e32 v1, 3, v9
	s_mov_b32 s20, s21
	s_delay_alu instid0(VALU_DEP_2) | instskip(NEXT) | instid1(VALU_DEP_2)
	v_add_nc_u32_e32 v16, -1, v7
	v_dual_mov_b32 v12, s20 :: v_dual_lshlrev_b32 v5, 3, v1
	v_dual_mov_b32 v13, s21 :: v_dual_and_b32 v8, 16, v7
	s_delay_alu instid0(VALU_DEP_3) | instskip(SKIP_2) | instid1(VALU_DEP_4)
	v_cmp_gt_i32_e32 vcc_lo, 0, v16
	v_and_b32_e32 v17, 7, v7
	v_and_b32_e32 v6, 15, v7
	v_cmp_eq_u32_e64 s5, 0, v8
	s_waitcnt lgkmcnt(0)
	s_add_u32 s0, s16, s14
	s_addc_u32 s1, s17, s15
	s_clause 0x1
	global_load_b128 v[1:4], v5, s[0:1]
	global_load_b64 v[14:15], v5, s[0:1] offset:16
	s_mov_b32 s1, s21
	s_mov_b32 s0, s21
	v_mov_b32_e32 v11, s1
	v_bfe_u32 v5, v0, 10, 10
	v_bfe_u32 v0, v0, 20, 10
	s_lshr_b32 s13, s12, 16
	v_mov_b32_e32 v10, s0
	v_cmp_eq_u32_e64 s1, 0, v6
	v_cmp_lt_u32_e64 s2, 1, v6
	v_cmp_lt_u32_e64 s3, 3, v6
	;; [unrolled: 1-line block ×3, first 2 shown]
	v_and_b32_e32 v6, 0xe0, v9
	v_dual_cndmask_b32 v8, v16, v7 :: v_dual_lshlrev_b32 v19, 2, v9
	v_mad_u32_u24 v0, v0, s13, v5
	v_lshrrev_b32_e32 v18, 5, v9
	s_and_b32 s12, s12, 0xffff
	v_cmp_eq_u32_e64 s9, 0, v17
	v_cmp_lt_u32_e64 s10, 1, v17
	v_cmp_lt_u32_e64 s11, 3, v17
	v_or_b32_e32 v17, 31, v6
	v_lshlrev_b32_e32 v32, 2, v8
	v_mul_u32_u24_e32 v8, 3, v6
	v_mad_u64_u32 v[5:6], null, v0, s12, v[9:10]
	v_mul_u32_u24_e32 v16, 0x60, v18
	v_lshlrev_b32_e32 v30, 5, v9
	s_delay_alu instid0(VALU_DEP_4)
	v_or_b32_e32 v6, v7, v8
	v_lshlrev_b32_e32 v33, 2, v18
	v_cmp_eq_u32_e64 s0, 0, v7
	v_lshlrev_b32_e32 v18, 3, v16
	v_lshrrev_b32_e32 v39, 5, v5
	v_lshlrev_b32_e32 v38, 3, v6
	v_mad_i32_i24 v34, 0xffffffe4, v9, v30
	v_or_b32_e32 v0, v7, v16
	v_mad_u32_u24 v36, v7, 24, v18
	v_cmp_gt_u32_e64 s6, 8, v9
	v_cmp_lt_u32_e64 s7, 31, v9
	v_cmp_eq_u32_e64 s8, 0, v9
	v_add_nc_u32_e32 v31, 32, v30
	v_cmp_eq_u32_e64 s12, v17, v9
	v_add_nc_u32_e32 v35, -4, v33
	v_lshlrev_b32_e32 v37, 3, v0
	v_add_nc_u32_e32 v40, v34, v19
	s_waitcnt vmcnt(1)
	v_add_co_u32 v5, vcc_lo, v1, 1
	v_add_co_ci_u32_e32 v6, vcc_lo, 0, v2, vcc_lo
	v_add_co_u32 v7, vcc_lo, v3, 1
	v_add_co_ci_u32_e32 v8, vcc_lo, 0, v4, vcc_lo
	s_waitcnt vmcnt(0)
	v_add_co_u32 v16, vcc_lo, v14, 1
	v_add_co_ci_u32_e32 v17, vcc_lo, 0, v15, vcc_lo
	s_branch .LBB315_2
.LBB315_1:                              ;   in Loop: Header=BB315_2 Depth=1
	v_lshlrev_b32_e32 v0, 3, v44
	v_lshlrev_b32_e32 v5, 3, v43
	;; [unrolled: 1-line block ×3, first 2 shown]
	s_barrier
	buffer_gl0_inv
	ds_store_b64 v0, v[14:15]
	ds_store_b64 v5, v[24:25]
	;; [unrolled: 1-line block ×3, first 2 shown]
	s_waitcnt lgkmcnt(0)
	s_barrier
	buffer_gl0_inv
	ds_load_2addr_stride64_b64 v[1:4], v40 offset1:4
	ds_load_b64 v[14:15], v40 offset:4096
	s_waitcnt lgkmcnt(0)
	s_barrier
	buffer_gl0_inv
	ds_store_b64 v0, v[20:21]
	ds_store_b64 v5, v[18:19]
	ds_store_b64 v6, v[16:17]
	s_waitcnt lgkmcnt(0)
	s_barrier
	buffer_gl0_inv
	ds_load_2addr_stride64_b64 v[5:8], v40 offset1:4
	ds_load_b64 v[16:17], v40 offset:4096
	s_add_i32 s21, s21, 1
	s_delay_alu instid0(SALU_CYCLE_1)
	s_cmp_eq_u32 s21, 10
	v_xor_b32_e32 v2, 0x80000000, v2
	v_xor_b32_e32 v4, 0x80000000, v4
	;; [unrolled: 1-line block ×3, first 2 shown]
	s_cbranch_scc1 .LBB315_18
.LBB315_2:                              ; =>This Loop Header: Depth=1
                                        ;     Child Loop BB315_4 Depth 2
	s_delay_alu instid0(VALU_DEP_3) | instskip(NEXT) | instid1(VALU_DEP_3)
	v_xor_b32_e32 v2, 0x80000000, v2
	v_xor_b32_e32 v4, 0x80000000, v4
	s_delay_alu instid0(VALU_DEP_3)
	v_xor_b32_e32 v15, 0x80000000, v15
	s_mov_b64 s[16:17], 0
	ds_store_2addr_b64 v36, v[1:2], v[3:4] offset1:1
	ds_store_b64 v36, v[14:15] offset:16
	; wave barrier
	ds_load_2addr_b64 v[0:3], v37 offset1:32
	ds_load_b64 v[26:27], v37 offset:512
	; wave barrier
	s_waitcnt lgkmcnt(5)
	ds_store_2addr_b64 v36, v[5:6], v[7:8] offset1:1
	s_waitcnt lgkmcnt(5)
	ds_store_b64 v36, v[16:17] offset:16
	; wave barrier
	ds_load_2addr_b64 v[4:7], v37 offset1:32
	ds_load_b64 v[28:29], v37 offset:512
	s_waitcnt lgkmcnt(0)
	s_barrier
	s_branch .LBB315_4
.LBB315_3:                              ;   in Loop: Header=BB315_4 Depth=2
	v_lshlrev_b32_e32 v4, 3, v44
	v_lshlrev_b32_e32 v5, 3, v43
	s_delay_alu instid0(VALU_DEP_3)
	v_lshlrev_b32_e32 v6, 3, v8
	s_barrier
	buffer_gl0_inv
	ds_store_b64 v4, v[14:15]
	ds_store_b64 v5, v[24:25]
	;; [unrolled: 1-line block ×3, first 2 shown]
	s_waitcnt lgkmcnt(0)
	s_barrier
	buffer_gl0_inv
	ds_load_2addr_b64 v[0:3], v38 offset1:32
	ds_load_b64 v[26:27], v38 offset:512
	s_waitcnt lgkmcnt(0)
	s_barrier
	buffer_gl0_inv
	ds_store_b64 v4, v[20:21]
	ds_store_b64 v5, v[18:19]
	;; [unrolled: 1-line block ×3, first 2 shown]
	s_waitcnt lgkmcnt(0)
	s_barrier
	buffer_gl0_inv
	ds_load_2addr_b64 v[4:7], v38 offset1:32
	ds_load_b64 v[28:29], v38 offset:512
	s_add_u32 s16, s16, 8
	s_addc_u32 s17, s17, 0
	s_waitcnt lgkmcnt(0)
	s_barrier
	s_cbranch_execz .LBB315_1
.LBB315_4:                              ;   Parent Loop BB315_2 Depth=1
                                        ; =>  This Inner Loop Header: Depth=2
	v_dual_mov_b32 v15, v1 :: v_dual_mov_b32 v14, v0
	buffer_gl0_inv
	ds_store_2addr_b64 v30, v[12:13], v[10:11] offset0:4 offset1:5
	ds_store_2addr_b64 v31, v[12:13], v[10:11] offset0:2 offset1:3
	s_waitcnt lgkmcnt(0)
	s_barrier
	v_lshrrev_b64 v[41:42], s16, v[14:15]
	buffer_gl0_inv
	; wave barrier
	v_dual_mov_b32 v22, v26 :: v_dual_mov_b32 v25, v3
	v_dual_mov_b32 v23, v27 :: v_dual_and_b32 v0, 1, v41
	v_lshlrev_b32_e32 v1, 30, v41
	v_lshlrev_b32_e32 v8, 29, v41
	;; [unrolled: 1-line block ×3, first 2 shown]
	s_delay_alu instid0(VALU_DEP_4) | instskip(NEXT) | instid1(VALU_DEP_1)
	v_add_co_u32 v0, s13, v0, -1
	v_cndmask_b32_e64 v17, 0, 1, s13
	v_not_b32_e32 v21, v1
	v_cmp_gt_i32_e64 s13, 0, v1
	v_not_b32_e32 v1, v8
	v_lshlrev_b32_e32 v18, 27, v41
	v_cmp_ne_u32_e32 vcc_lo, 0, v17
	v_ashrrev_i32_e32 v21, 31, v21
	v_dual_mov_b32 v24, v2 :: v_dual_lshlrev_b32 v19, 26, v41
	v_ashrrev_i32_e32 v1, 31, v1
	v_xor_b32_e32 v0, vcc_lo, v0
	v_cmp_gt_i32_e32 vcc_lo, 0, v8
	v_not_b32_e32 v8, v16
	v_xor_b32_e32 v21, s13, v21
	v_cmp_gt_i32_e64 s13, 0, v16
	v_and_b32_e32 v0, exec_lo, v0
	v_not_b32_e32 v16, v18
	v_ashrrev_i32_e32 v8, 31, v8
	v_xor_b32_e32 v1, vcc_lo, v1
	v_cmp_gt_i32_e32 vcc_lo, 0, v18
	v_and_b32_e32 v0, v0, v21
	v_not_b32_e32 v18, v19
	v_ashrrev_i32_e32 v16, 31, v16
	v_xor_b32_e32 v8, s13, v8
	v_cmp_gt_i32_e64 s13, 0, v19
	v_and_b32_e32 v0, v0, v1
	v_ashrrev_i32_e32 v18, 31, v18
	v_xor_b32_e32 v16, vcc_lo, v16
	v_lshlrev_b32_e32 v20, 25, v41
	v_lshlrev_b32_e32 v17, 24, v41
	v_and_b32_e32 v0, v0, v8
	v_xor_b32_e32 v18, s13, v18
	s_delay_alu instid0(VALU_DEP_2) | instskip(NEXT) | instid1(VALU_DEP_1)
	v_and_b32_e32 v0, v0, v16
	v_dual_mov_b32 v19, v7 :: v_dual_and_b32 v0, v0, v18
	v_mov_b32_e32 v18, v6
	v_not_b32_e32 v1, v20
	v_cmp_gt_i32_e32 vcc_lo, 0, v20
	v_not_b32_e32 v8, v17
	v_cmp_gt_i32_e64 s13, 0, v17
	v_mov_b32_e32 v16, v28
	v_ashrrev_i32_e32 v1, 31, v1
	v_mov_b32_e32 v21, v5
	v_ashrrev_i32_e32 v8, 31, v8
	v_dual_mov_b32 v17, v29 :: v_dual_mov_b32 v20, v4
	s_delay_alu instid0(VALU_DEP_4) | instskip(NEXT) | instid1(VALU_DEP_3)
	v_xor_b32_e32 v1, vcc_lo, v1
	v_xor_b32_e32 v8, s13, v8
	s_delay_alu instid0(VALU_DEP_2) | instskip(SKIP_1) | instid1(VALU_DEP_2)
	v_and_b32_e32 v0, v0, v1
	v_and_b32_e32 v1, 0xff, v41
	;; [unrolled: 1-line block ×3, first 2 shown]
	s_delay_alu instid0(VALU_DEP_2) | instskip(NEXT) | instid1(VALU_DEP_2)
	v_lshl_add_u32 v1, v1, 3, v39
	v_mbcnt_lo_u32_b32 v8, v0, 0
	v_cmp_ne_u32_e64 s13, 0, v0
	s_delay_alu instid0(VALU_DEP_3) | instskip(NEXT) | instid1(VALU_DEP_3)
	v_lshl_add_u32 v26, v1, 2, 32
	v_cmp_eq_u32_e32 vcc_lo, 0, v8
	s_delay_alu instid0(VALU_DEP_3) | instskip(NEXT) | instid1(SALU_CYCLE_1)
	s_and_b32 s20, s13, vcc_lo
	s_and_saveexec_b32 s13, s20
	s_cbranch_execz .LBB315_6
; %bb.5:                                ;   in Loop: Header=BB315_4 Depth=2
	v_bcnt_u32_b32 v0, v0, 0
	ds_store_b32 v26, v0
.LBB315_6:                              ;   in Loop: Header=BB315_4 Depth=2
	s_or_b32 exec_lo, exec_lo, s13
	v_lshrrev_b64 v[0:1], s16, v[24:25]
	; wave barrier
	s_delay_alu instid0(VALU_DEP_1)
	v_and_b32_e32 v2, 1, v0
	v_lshlrev_b32_e32 v3, 30, v0
	v_lshlrev_b32_e32 v4, 29, v0
	;; [unrolled: 1-line block ×4, first 2 shown]
	v_add_co_u32 v2, s13, v2, -1
	s_delay_alu instid0(VALU_DEP_1)
	v_cndmask_b32_e64 v6, 0, 1, s13
	v_not_b32_e32 v29, v3
	v_cmp_gt_i32_e64 s13, 0, v3
	v_not_b32_e32 v3, v4
	v_lshlrev_b32_e32 v27, 26, v0
	v_cmp_ne_u32_e32 vcc_lo, 0, v6
	v_ashrrev_i32_e32 v6, 31, v29
	v_lshlrev_b32_e32 v28, 25, v0
	v_ashrrev_i32_e32 v3, 31, v3
	v_and_b32_e32 v1, 0xff, v0
	v_xor_b32_e32 v2, vcc_lo, v2
	v_cmp_gt_i32_e32 vcc_lo, 0, v4
	v_not_b32_e32 v4, v5
	v_xor_b32_e32 v6, s13, v6
	v_cmp_gt_i32_e64 s13, 0, v5
	v_and_b32_e32 v2, exec_lo, v2
	v_not_b32_e32 v5, v7
	v_ashrrev_i32_e32 v4, 31, v4
	v_xor_b32_e32 v3, vcc_lo, v3
	v_cmp_gt_i32_e32 vcc_lo, 0, v7
	v_and_b32_e32 v2, v2, v6
	v_not_b32_e32 v6, v27
	v_ashrrev_i32_e32 v5, 31, v5
	v_xor_b32_e32 v4, s13, v4
	v_lshlrev_b32_e32 v0, 24, v0
	v_and_b32_e32 v2, v2, v3
	v_cmp_gt_i32_e64 s13, 0, v27
	v_not_b32_e32 v3, v28
	v_ashrrev_i32_e32 v6, 31, v6
	v_xor_b32_e32 v5, vcc_lo, v5
	v_and_b32_e32 v2, v2, v4
	v_cmp_gt_i32_e32 vcc_lo, 0, v28
	v_not_b32_e32 v4, v0
	v_ashrrev_i32_e32 v3, 31, v3
	v_xor_b32_e32 v6, s13, v6
	v_and_b32_e32 v2, v2, v5
	v_lshlrev_b32_e32 v1, 3, v1
	v_cmp_gt_i32_e64 s13, 0, v0
	v_ashrrev_i32_e32 v0, 31, v4
	v_xor_b32_e32 v3, vcc_lo, v3
	v_and_b32_e32 v2, v2, v6
	v_add_lshl_u32 v1, v1, v39, 2
	s_delay_alu instid0(VALU_DEP_4) | instskip(NEXT) | instid1(VALU_DEP_3)
	v_xor_b32_e32 v0, s13, v0
	v_and_b32_e32 v2, v2, v3
	ds_load_b32 v27, v1 offset:32
	v_add_nc_u32_e32 v29, 32, v1
	; wave barrier
	v_and_b32_e32 v0, v2, v0
	s_delay_alu instid0(VALU_DEP_1) | instskip(SKIP_1) | instid1(VALU_DEP_2)
	v_mbcnt_lo_u32_b32 v28, v0, 0
	v_cmp_ne_u32_e64 s13, 0, v0
	v_cmp_eq_u32_e32 vcc_lo, 0, v28
	s_delay_alu instid0(VALU_DEP_2) | instskip(NEXT) | instid1(SALU_CYCLE_1)
	s_and_b32 s20, s13, vcc_lo
	s_and_saveexec_b32 s13, s20
	s_cbranch_execz .LBB315_8
; %bb.7:                                ;   in Loop: Header=BB315_4 Depth=2
	s_waitcnt lgkmcnt(0)
	v_bcnt_u32_b32 v0, v0, v27
	ds_store_b32 v29, v0
.LBB315_8:                              ;   in Loop: Header=BB315_4 Depth=2
	s_or_b32 exec_lo, exec_lo, s13
	v_lshrrev_b64 v[0:1], s16, v[22:23]
	; wave barrier
	s_delay_alu instid0(VALU_DEP_1)
	v_and_b32_e32 v2, 1, v0
	v_lshlrev_b32_e32 v3, 30, v0
	v_lshlrev_b32_e32 v4, 29, v0
	;; [unrolled: 1-line block ×4, first 2 shown]
	v_add_co_u32 v2, s13, v2, -1
	s_delay_alu instid0(VALU_DEP_1)
	v_cndmask_b32_e64 v6, 0, 1, s13
	v_not_b32_e32 v43, v3
	v_cmp_gt_i32_e64 s13, 0, v3
	v_not_b32_e32 v3, v4
	v_lshlrev_b32_e32 v41, 26, v0
	v_cmp_ne_u32_e32 vcc_lo, 0, v6
	v_ashrrev_i32_e32 v6, 31, v43
	v_lshlrev_b32_e32 v42, 25, v0
	v_ashrrev_i32_e32 v3, 31, v3
	v_and_b32_e32 v1, 0xff, v0
	v_xor_b32_e32 v2, vcc_lo, v2
	v_cmp_gt_i32_e32 vcc_lo, 0, v4
	v_not_b32_e32 v4, v5
	v_xor_b32_e32 v6, s13, v6
	v_cmp_gt_i32_e64 s13, 0, v5
	v_and_b32_e32 v2, exec_lo, v2
	v_not_b32_e32 v5, v7
	v_ashrrev_i32_e32 v4, 31, v4
	v_xor_b32_e32 v3, vcc_lo, v3
	v_cmp_gt_i32_e32 vcc_lo, 0, v7
	v_and_b32_e32 v2, v2, v6
	v_not_b32_e32 v6, v41
	v_ashrrev_i32_e32 v5, 31, v5
	v_xor_b32_e32 v4, s13, v4
	v_lshlrev_b32_e32 v0, 24, v0
	v_and_b32_e32 v2, v2, v3
	v_cmp_gt_i32_e64 s13, 0, v41
	v_not_b32_e32 v3, v42
	v_ashrrev_i32_e32 v6, 31, v6
	v_xor_b32_e32 v5, vcc_lo, v5
	v_and_b32_e32 v2, v2, v4
	v_cmp_gt_i32_e32 vcc_lo, 0, v42
	v_not_b32_e32 v4, v0
	v_ashrrev_i32_e32 v3, 31, v3
	v_xor_b32_e32 v6, s13, v6
	v_and_b32_e32 v2, v2, v5
	v_lshlrev_b32_e32 v1, 3, v1
	v_cmp_gt_i32_e64 s13, 0, v0
	v_ashrrev_i32_e32 v0, 31, v4
	v_xor_b32_e32 v3, vcc_lo, v3
	v_and_b32_e32 v2, v2, v6
	v_add_lshl_u32 v1, v1, v39, 2
	s_delay_alu instid0(VALU_DEP_4) | instskip(NEXT) | instid1(VALU_DEP_3)
	v_xor_b32_e32 v0, s13, v0
	v_and_b32_e32 v2, v2, v3
	ds_load_b32 v41, v1 offset:32
	v_add_nc_u32_e32 v43, 32, v1
	; wave barrier
	v_and_b32_e32 v0, v2, v0
	s_delay_alu instid0(VALU_DEP_1) | instskip(SKIP_1) | instid1(VALU_DEP_2)
	v_mbcnt_lo_u32_b32 v42, v0, 0
	v_cmp_ne_u32_e64 s13, 0, v0
	v_cmp_eq_u32_e32 vcc_lo, 0, v42
	s_delay_alu instid0(VALU_DEP_2) | instskip(NEXT) | instid1(SALU_CYCLE_1)
	s_and_b32 s20, s13, vcc_lo
	s_and_saveexec_b32 s13, s20
	s_cbranch_execz .LBB315_10
; %bb.9:                                ;   in Loop: Header=BB315_4 Depth=2
	s_waitcnt lgkmcnt(0)
	v_bcnt_u32_b32 v0, v0, v41
	ds_store_b32 v43, v0
.LBB315_10:                             ;   in Loop: Header=BB315_4 Depth=2
	s_or_b32 exec_lo, exec_lo, s13
	; wave barrier
	s_waitcnt lgkmcnt(0)
	s_barrier
	buffer_gl0_inv
	ds_load_2addr_b64 v[4:7], v30 offset0:4 offset1:5
	ds_load_2addr_b64 v[0:3], v31 offset0:2 offset1:3
	s_waitcnt lgkmcnt(1)
	v_add_nc_u32_e32 v44, v5, v4
	s_delay_alu instid0(VALU_DEP_1) | instskip(SKIP_1) | instid1(VALU_DEP_1)
	v_add3_u32 v44, v44, v6, v7
	s_waitcnt lgkmcnt(0)
	v_add3_u32 v44, v44, v0, v1
	s_delay_alu instid0(VALU_DEP_1) | instskip(NEXT) | instid1(VALU_DEP_1)
	v_add3_u32 v3, v44, v2, v3
	v_mov_b32_dpp v44, v3 row_shr:1 row_mask:0xf bank_mask:0xf
	s_delay_alu instid0(VALU_DEP_1) | instskip(NEXT) | instid1(VALU_DEP_1)
	v_cndmask_b32_e64 v44, v44, 0, s1
	v_add_nc_u32_e32 v3, v44, v3
	s_delay_alu instid0(VALU_DEP_1) | instskip(NEXT) | instid1(VALU_DEP_1)
	v_mov_b32_dpp v44, v3 row_shr:2 row_mask:0xf bank_mask:0xf
	v_cndmask_b32_e64 v44, 0, v44, s2
	s_delay_alu instid0(VALU_DEP_1) | instskip(NEXT) | instid1(VALU_DEP_1)
	v_add_nc_u32_e32 v3, v3, v44
	v_mov_b32_dpp v44, v3 row_shr:4 row_mask:0xf bank_mask:0xf
	s_delay_alu instid0(VALU_DEP_1) | instskip(NEXT) | instid1(VALU_DEP_1)
	v_cndmask_b32_e64 v44, 0, v44, s3
	v_add_nc_u32_e32 v3, v3, v44
	s_delay_alu instid0(VALU_DEP_1) | instskip(NEXT) | instid1(VALU_DEP_1)
	v_mov_b32_dpp v44, v3 row_shr:8 row_mask:0xf bank_mask:0xf
	v_cndmask_b32_e64 v44, 0, v44, s4
	s_delay_alu instid0(VALU_DEP_1) | instskip(SKIP_3) | instid1(VALU_DEP_1)
	v_add_nc_u32_e32 v3, v3, v44
	ds_swizzle_b32 v44, v3 offset:swizzle(BROADCAST,32,15)
	s_waitcnt lgkmcnt(0)
	v_cndmask_b32_e64 v44, v44, 0, s5
	v_add_nc_u32_e32 v3, v3, v44
	s_and_saveexec_b32 s13, s12
	s_cbranch_execz .LBB315_12
; %bb.11:                               ;   in Loop: Header=BB315_4 Depth=2
	ds_store_b32 v33, v3
.LBB315_12:                             ;   in Loop: Header=BB315_4 Depth=2
	s_or_b32 exec_lo, exec_lo, s13
	s_waitcnt lgkmcnt(0)
	s_barrier
	buffer_gl0_inv
	s_and_saveexec_b32 s13, s6
	s_cbranch_execz .LBB315_14
; %bb.13:                               ;   in Loop: Header=BB315_4 Depth=2
	ds_load_b32 v44, v34
	s_waitcnt lgkmcnt(0)
	v_mov_b32_dpp v45, v44 row_shr:1 row_mask:0xf bank_mask:0xf
	s_delay_alu instid0(VALU_DEP_1) | instskip(NEXT) | instid1(VALU_DEP_1)
	v_cndmask_b32_e64 v45, v45, 0, s9
	v_add_nc_u32_e32 v44, v45, v44
	s_delay_alu instid0(VALU_DEP_1) | instskip(NEXT) | instid1(VALU_DEP_1)
	v_mov_b32_dpp v45, v44 row_shr:2 row_mask:0xf bank_mask:0xf
	v_cndmask_b32_e64 v45, 0, v45, s10
	s_delay_alu instid0(VALU_DEP_1) | instskip(NEXT) | instid1(VALU_DEP_1)
	v_add_nc_u32_e32 v44, v44, v45
	v_mov_b32_dpp v45, v44 row_shr:4 row_mask:0xf bank_mask:0xf
	s_delay_alu instid0(VALU_DEP_1) | instskip(NEXT) | instid1(VALU_DEP_1)
	v_cndmask_b32_e64 v45, 0, v45, s11
	v_add_nc_u32_e32 v44, v44, v45
	ds_store_b32 v34, v44
.LBB315_14:                             ;   in Loop: Header=BB315_4 Depth=2
	s_or_b32 exec_lo, exec_lo, s13
	v_mov_b32_e32 v44, 0
	s_waitcnt lgkmcnt(0)
	s_barrier
	buffer_gl0_inv
	s_and_saveexec_b32 s13, s7
	s_cbranch_execz .LBB315_16
; %bb.15:                               ;   in Loop: Header=BB315_4 Depth=2
	ds_load_b32 v44, v35
.LBB315_16:                             ;   in Loop: Header=BB315_4 Depth=2
	s_or_b32 exec_lo, exec_lo, s13
	s_waitcnt lgkmcnt(0)
	v_add_nc_u32_e32 v3, v44, v3
	s_cmp_gt_u32 s16, 55
	ds_bpermute_b32 v3, v32, v3
	s_waitcnt lgkmcnt(0)
	v_cndmask_b32_e64 v3, v3, v44, s0
	s_delay_alu instid0(VALU_DEP_1) | instskip(NEXT) | instid1(VALU_DEP_1)
	v_cndmask_b32_e64 v3, v3, 0, s8
	v_add_nc_u32_e32 v4, v3, v4
	s_delay_alu instid0(VALU_DEP_1) | instskip(NEXT) | instid1(VALU_DEP_1)
	v_add_nc_u32_e32 v5, v4, v5
	v_add_nc_u32_e32 v6, v5, v6
	s_delay_alu instid0(VALU_DEP_1) | instskip(NEXT) | instid1(VALU_DEP_1)
	v_add_nc_u32_e32 v44, v6, v7
	;; [unrolled: 3-line block ×3, first 2 shown]
	v_add_nc_u32_e32 v1, v0, v2
	ds_store_2addr_b64 v30, v[3:4], v[5:6] offset0:4 offset1:5
	ds_store_2addr_b64 v31, v[44:45], v[0:1] offset0:2 offset1:3
	s_waitcnt lgkmcnt(0)
	s_barrier
	buffer_gl0_inv
	ds_load_b32 v0, v26
	ds_load_b32 v1, v29
	;; [unrolled: 1-line block ×3, first 2 shown]
	s_waitcnt lgkmcnt(2)
	v_add_nc_u32_e32 v44, v0, v8
	s_waitcnt lgkmcnt(1)
	v_add3_u32 v43, v28, v27, v1
	s_waitcnt lgkmcnt(0)
	v_add3_u32 v8, v42, v41, v2
	s_cbranch_scc0 .LBB315_3
; %bb.17:                               ;   in Loop: Header=BB315_2 Depth=1
                                        ; implicit-def: $vgpr26_vgpr27
                                        ; implicit-def: $vgpr2_vgpr3
                                        ; implicit-def: $vgpr28_vgpr29
                                        ; implicit-def: $vgpr6_vgpr7
                                        ; implicit-def: $sgpr16_sgpr17
	s_branch .LBB315_1
.LBB315_18:
	v_lshlrev_b32_e32 v9, 3, v9
	s_waitcnt lgkmcnt(1)
	v_add_co_u32 v0, vcc_lo, v1, v5
	v_add_co_ci_u32_e32 v1, vcc_lo, v2, v6, vcc_lo
	s_add_u32 s0, s18, s14
	v_add_co_u32 v2, vcc_lo, v3, v7
	s_addc_u32 s1, s19, s15
	v_add_co_u32 v6, s2, s0, v9
	v_add_co_ci_u32_e32 v3, vcc_lo, v4, v8, vcc_lo
	v_add_co_ci_u32_e64 v7, null, s1, 0, s2
	s_waitcnt lgkmcnt(0)
	v_add_co_u32 v4, vcc_lo, v14, v16
	v_add_co_ci_u32_e32 v5, vcc_lo, v15, v17, vcc_lo
	v_add_co_u32 v6, vcc_lo, 0x1000, v6
	v_add_co_ci_u32_e32 v7, vcc_lo, 0, v7, vcc_lo
	s_clause 0x2
	global_store_b64 v9, v[0:1], s[0:1]
	global_store_b64 v9, v[2:3], s[0:1] offset:2048
	global_store_b64 v[6:7], v[4:5], off
	s_nop 0
	s_sendmsg sendmsg(MSG_DEALLOC_VGPRS)
	s_endpgm
	.section	.rodata,"a",@progbits
	.p2align	6, 0x0
	.amdhsa_kernel _Z17sort_pairs_kernelI22helper_blocked_stripedxLj256ELj3ELj10EEvPKT0_PS1_
		.amdhsa_group_segment_fixed_size 8224
		.amdhsa_private_segment_fixed_size 0
		.amdhsa_kernarg_size 272
		.amdhsa_user_sgpr_count 15
		.amdhsa_user_sgpr_dispatch_ptr 0
		.amdhsa_user_sgpr_queue_ptr 0
		.amdhsa_user_sgpr_kernarg_segment_ptr 1
		.amdhsa_user_sgpr_dispatch_id 0
		.amdhsa_user_sgpr_private_segment_size 0
		.amdhsa_wavefront_size32 1
		.amdhsa_uses_dynamic_stack 0
		.amdhsa_enable_private_segment 0
		.amdhsa_system_sgpr_workgroup_id_x 1
		.amdhsa_system_sgpr_workgroup_id_y 0
		.amdhsa_system_sgpr_workgroup_id_z 0
		.amdhsa_system_sgpr_workgroup_info 0
		.amdhsa_system_vgpr_workitem_id 2
		.amdhsa_next_free_vgpr 46
		.amdhsa_next_free_sgpr 22
		.amdhsa_reserve_vcc 1
		.amdhsa_float_round_mode_32 0
		.amdhsa_float_round_mode_16_64 0
		.amdhsa_float_denorm_mode_32 3
		.amdhsa_float_denorm_mode_16_64 3
		.amdhsa_dx10_clamp 1
		.amdhsa_ieee_mode 1
		.amdhsa_fp16_overflow 0
		.amdhsa_workgroup_processor_mode 1
		.amdhsa_memory_ordered 1
		.amdhsa_forward_progress 0
		.amdhsa_shared_vgpr_count 0
		.amdhsa_exception_fp_ieee_invalid_op 0
		.amdhsa_exception_fp_denorm_src 0
		.amdhsa_exception_fp_ieee_div_zero 0
		.amdhsa_exception_fp_ieee_overflow 0
		.amdhsa_exception_fp_ieee_underflow 0
		.amdhsa_exception_fp_ieee_inexact 0
		.amdhsa_exception_int_div_zero 0
	.end_amdhsa_kernel
	.section	.text._Z17sort_pairs_kernelI22helper_blocked_stripedxLj256ELj3ELj10EEvPKT0_PS1_,"axG",@progbits,_Z17sort_pairs_kernelI22helper_blocked_stripedxLj256ELj3ELj10EEvPKT0_PS1_,comdat
.Lfunc_end315:
	.size	_Z17sort_pairs_kernelI22helper_blocked_stripedxLj256ELj3ELj10EEvPKT0_PS1_, .Lfunc_end315-_Z17sort_pairs_kernelI22helper_blocked_stripedxLj256ELj3ELj10EEvPKT0_PS1_
                                        ; -- End function
	.section	.AMDGPU.csdata,"",@progbits
; Kernel info:
; codeLenInByte = 2716
; NumSgprs: 24
; NumVgprs: 46
; ScratchSize: 0
; MemoryBound: 0
; FloatMode: 240
; IeeeMode: 1
; LDSByteSize: 8224 bytes/workgroup (compile time only)
; SGPRBlocks: 2
; VGPRBlocks: 5
; NumSGPRsForWavesPerEU: 24
; NumVGPRsForWavesPerEU: 46
; Occupancy: 16
; WaveLimiterHint : 1
; COMPUTE_PGM_RSRC2:SCRATCH_EN: 0
; COMPUTE_PGM_RSRC2:USER_SGPR: 15
; COMPUTE_PGM_RSRC2:TRAP_HANDLER: 0
; COMPUTE_PGM_RSRC2:TGID_X_EN: 1
; COMPUTE_PGM_RSRC2:TGID_Y_EN: 0
; COMPUTE_PGM_RSRC2:TGID_Z_EN: 0
; COMPUTE_PGM_RSRC2:TIDIG_COMP_CNT: 2
	.section	.text._Z16sort_keys_kernelI22helper_blocked_stripedxLj256ELj4ELj10EEvPKT0_PS1_,"axG",@progbits,_Z16sort_keys_kernelI22helper_blocked_stripedxLj256ELj4ELj10EEvPKT0_PS1_,comdat
	.protected	_Z16sort_keys_kernelI22helper_blocked_stripedxLj256ELj4ELj10EEvPKT0_PS1_ ; -- Begin function _Z16sort_keys_kernelI22helper_blocked_stripedxLj256ELj4ELj10EEvPKT0_PS1_
	.globl	_Z16sort_keys_kernelI22helper_blocked_stripedxLj256ELj4ELj10EEvPKT0_PS1_
	.p2align	8
	.type	_Z16sort_keys_kernelI22helper_blocked_stripedxLj256ELj4ELj10EEvPKT0_PS1_,@function
_Z16sort_keys_kernelI22helper_blocked_stripedxLj256ELj4ELj10EEvPKT0_PS1_: ; @_Z16sort_keys_kernelI22helper_blocked_stripedxLj256ELj4ELj10EEvPKT0_PS1_
; %bb.0:
	s_clause 0x1
	s_load_b128 s[16:19], s[0:1], 0x0
	s_load_b32 s2, s[0:1], 0x1c
	s_mov_b32 s23, 0
	s_lshl_b32 s22, s15, 10
	v_bfe_u32 v10, v0, 10, 10
	s_lshl_b64 s[20:21], s[22:23], 3
	s_mov_b32 s22, s23
	v_and_b32_e32 v9, 0x3ff, v0
	v_bfe_u32 v0, v0, 20, 10
	v_mbcnt_lo_u32_b32 v12, -1, 0
	s_delay_alu instid0(VALU_DEP_3) | instskip(NEXT) | instid1(VALU_DEP_2)
	v_lshlrev_b32_e32 v22, 5, v9
	v_and_b32_e32 v13, 3, v12
	v_cmp_eq_u32_e64 s11, 0, v12
	s_waitcnt lgkmcnt(0)
	s_add_u32 s0, s16, s20
	s_addc_u32 s1, s17, s21
	s_mov_b32 s16, s23
	s_clause 0x1
	global_load_b128 v[1:4], v22, s[0:1] offset:16
	global_load_b128 v[5:8], v22, s[0:1]
	s_lshr_b32 s0, s2, 16
	s_and_b32 s1, s2, 0xffff
	v_mad_u32_u24 v0, v0, s0, v10
	s_mov_b32 s17, s23
	v_cmp_eq_u32_e64 s0, 3, v13
	v_cmp_eq_u32_e64 s2, 1, v13
	v_and_b32_e32 v24, 28, v12
	v_mad_u64_u32 v[10:11], null, v0, s1, v[9:10]
	v_add_nc_u32_e32 v11, -1, v12
	v_and_b32_e32 v0, 15, v12
	v_cmp_eq_u32_e64 s1, 2, v13
	s_delay_alu instid0(VALU_DEP_3)
	v_cmp_gt_i32_e32 vcc_lo, 0, v11
	v_lshrrev_b32_e32 v29, 5, v10
	v_and_b32_e32 v10, 16, v12
	v_lshlrev_b32_e32 v23, 2, v9
	v_cmp_eq_u32_e64 s3, 0, v0
	v_cmp_lt_u32_e64 s4, 1, v0
	v_cmp_lt_u32_e64 s5, 3, v0
	v_cmp_eq_u32_e64 s7, 0, v10
	v_lshrrev_b32_e32 v10, 3, v9
	v_cmp_lt_u32_e64 s6, 7, v0
	s_delay_alu instid0(VALU_DEP_2) | instskip(SKIP_1) | instid1(VALU_DEP_2)
	v_dual_cndmask_b32 v0, v11, v12 :: v_dual_and_b32 v31, 28, v10
	v_and_or_b32 v10, 0x380, v23, v12
	v_lshlrev_b32_e32 v30, 2, v0
	v_and_b32_e32 v0, 7, v12
	s_delay_alu instid0(VALU_DEP_4) | instskip(NEXT) | instid1(VALU_DEP_4)
	v_add_nc_u32_e32 v33, -4, v31
	v_lshlrev_b32_e32 v34, 3, v10
	v_mov_b32_e32 v10, s22
	v_or_b32_e32 v13, 31, v9
	v_cmp_gt_u32_e64 s9, 8, v9
	v_cmp_lt_u32_e64 s10, 31, v9
	v_cmp_eq_u32_e64 s12, 0, v9
	v_cmp_eq_u32_e64 s13, 0, v0
	;; [unrolled: 1-line block ×3, first 2 shown]
	v_mov_b32_e32 v12, s16
	v_cmp_lt_u32_e64 s14, 1, v0
	v_cmp_lt_u32_e64 s15, 3, v0
	v_dual_mov_b32 v11, s23 :: v_dual_add_nc_u32 v28, 32, v22
	v_mad_i32_i24 v32, 0xffffffe4, v9, v22
	v_mov_b32_e32 v13, s17
	v_or_b32_e32 v25, 32, v24
	v_or_b32_e32 v26, 64, v24
	;; [unrolled: 1-line block ×3, first 2 shown]
	s_branch .LBB316_2
.LBB316_1:                              ;   in Loop: Header=BB316_2 Depth=1
	v_lshlrev_b32_e32 v0, 3, v38
	v_lshlrev_b32_e32 v1, 3, v36
	;; [unrolled: 1-line block ×3, first 2 shown]
	s_barrier
	buffer_gl0_inv
	v_lshlrev_b32_e32 v3, 3, v8
	ds_store_b64 v0, v[14:15]
	ds_store_b64 v1, v[20:21]
	;; [unrolled: 1-line block ×3, first 2 shown]
	v_add_nc_u32_e32 v0, v32, v23
	s_add_i32 s23, s23, 1
	ds_store_b64 v3, v[16:17]
	s_waitcnt lgkmcnt(0)
	s_barrier
	buffer_gl0_inv
	ds_load_2addr_stride64_b64 v[5:8], v0 offset1:4
	ds_load_2addr_stride64_b64 v[1:4], v0 offset0:8 offset1:12
	s_cmp_eq_u32 s23, 10
	s_waitcnt lgkmcnt(1)
	v_xor_b32_e32 v6, 0x80000000, v6
	v_xor_b32_e32 v8, 0x80000000, v8
	s_waitcnt lgkmcnt(0)
	v_xor_b32_e32 v2, 0x80000000, v2
	v_xor_b32_e32 v4, 0x80000000, v4
	s_cbranch_scc1 .LBB316_20
.LBB316_2:                              ; =>This Loop Header: Depth=1
                                        ;     Child Loop BB316_4 Depth 2
	s_waitcnt vmcnt(0)
	v_xor_b32_e32 v0, 0x80000000, v6
	v_xor_b32_e32 v6, 0x80000000, v8
	ds_bpermute_b32 v8, v24, v5
	ds_bpermute_b32 v14, v24, v7
	v_xor_b32_e32 v2, 0x80000000, v2
	ds_bpermute_b32 v15, v24, v0
	ds_bpermute_b32 v16, v24, v6
	;; [unrolled: 1-line block ×14, first 2 shown]
	v_xor_b32_e32 v4, 0x80000000, v4
	ds_bpermute_b32 v37, v25, v1
	ds_bpermute_b32 v43, v27, v2
	;; [unrolled: 1-line block ×3, first 2 shown]
	s_waitcnt lgkmcnt(17)
	v_cndmask_b32_e64 v8, v8, v14, s2
	ds_bpermute_b32 v14, v26, v6
	ds_bpermute_b32 v6, v27, v6
	s_waitcnt lgkmcnt(17)
	v_cndmask_b32_e64 v15, v15, v16, s2
	ds_bpermute_b32 v16, v27, v0
	s_waitcnt lgkmcnt(17)
	v_cndmask_b32_e64 v0, v8, v17, s1
	s_waitcnt lgkmcnt(15)
	v_cndmask_b32_e64 v8, v18, v19, s2
	ds_bpermute_b32 v18, v26, v1
	s_waitcnt lgkmcnt(15)
	v_cndmask_b32_e64 v15, v15, v20, s1
	ds_bpermute_b32 v19, v26, v2
	ds_bpermute_b32 v20, v27, v1
	;; [unrolled: 1-line block ×9, first 2 shown]
	s_waitcnt lgkmcnt(22)
	v_cndmask_b32_e64 v2, v35, v36, s2
	s_waitcnt lgkmcnt(17)
	v_cndmask_b32_e64 v3, v8, v41, s1
	v_cndmask_b32_e64 v4, v38, v39, s2
	s_waitcnt lgkmcnt(12)
	v_cndmask_b32_e64 v8, v42, v14, s2
	v_cndmask_b32_e64 v5, v5, v7, s2
	;; [unrolled: 1-line block ×3, first 2 shown]
	s_waitcnt lgkmcnt(10)
	v_cndmask_b32_e64 v6, v16, v6, s2
	v_cndmask_b32_e64 v0, v0, v21, s0
	s_mov_b64 s[24:25], 0
	s_waitcnt lgkmcnt(9)
	v_cndmask_b32_e64 v4, v4, v18, s1
	s_waitcnt lgkmcnt(0)
	v_cndmask_b32_e64 v7, v8, v19, s1
	v_cndmask_b32_e64 v8, v5, v20, s1
	;; [unrolled: 1-line block ×10, first 2 shown]
	s_barrier
	s_branch .LBB316_4
.LBB316_3:                              ;   in Loop: Header=BB316_4 Depth=2
	v_lshlrev_b32_e32 v0, 3, v38
	v_lshlrev_b32_e32 v1, 3, v36
	;; [unrolled: 1-line block ×4, first 2 shown]
	s_barrier
	buffer_gl0_inv
	ds_store_b64 v0, v[14:15]
	ds_store_b64 v1, v[20:21]
	;; [unrolled: 1-line block ×4, first 2 shown]
	s_waitcnt lgkmcnt(0)
	s_barrier
	buffer_gl0_inv
	ds_load_2addr_b64 v[0:3], v34 offset1:32
	ds_load_2addr_b64 v[4:7], v34 offset0:64 offset1:96
	s_add_u32 s24, s24, 8
	s_addc_u32 s25, s25, 0
	s_waitcnt lgkmcnt(0)
	s_barrier
	s_cbranch_execz .LBB316_1
.LBB316_4:                              ;   Parent Loop BB316_2 Depth=1
                                        ; =>  This Inner Loop Header: Depth=2
	v_dual_mov_b32 v15, v1 :: v_dual_mov_b32 v14, v0
	buffer_gl0_inv
	ds_store_2addr_b64 v22, v[10:11], v[12:13] offset0:4 offset1:5
	ds_store_2addr_b64 v28, v[10:11], v[12:13] offset0:2 offset1:3
	s_waitcnt lgkmcnt(0)
	s_barrier
	v_lshrrev_b64 v[35:36], s24, v[14:15]
	buffer_gl0_inv
	; wave barrier
	v_and_b32_e32 v0, 1, v35
	v_lshlrev_b32_e32 v1, 30, v35
	v_lshlrev_b32_e32 v8, 29, v35
	;; [unrolled: 1-line block ×4, first 2 shown]
	v_add_co_u32 v0, s16, v0, -1
	s_delay_alu instid0(VALU_DEP_1)
	v_cndmask_b32_e64 v17, 0, 1, s16
	v_not_b32_e32 v21, v1
	v_cmp_gt_i32_e64 s16, 0, v1
	v_not_b32_e32 v1, v8
	v_lshlrev_b32_e32 v19, 26, v35
	v_cmp_ne_u32_e32 vcc_lo, 0, v17
	v_ashrrev_i32_e32 v21, 31, v21
	v_lshlrev_b32_e32 v20, 25, v35
	v_ashrrev_i32_e32 v1, 31, v1
	v_lshlrev_b32_e32 v17, 24, v35
	v_xor_b32_e32 v0, vcc_lo, v0
	v_cmp_gt_i32_e32 vcc_lo, 0, v8
	v_not_b32_e32 v8, v16
	v_xor_b32_e32 v21, s16, v21
	v_cmp_gt_i32_e64 s16, 0, v16
	v_and_b32_e32 v0, exec_lo, v0
	v_not_b32_e32 v16, v18
	v_ashrrev_i32_e32 v8, 31, v8
	v_xor_b32_e32 v1, vcc_lo, v1
	v_cmp_gt_i32_e32 vcc_lo, 0, v18
	v_and_b32_e32 v0, v0, v21
	v_not_b32_e32 v18, v19
	v_ashrrev_i32_e32 v16, 31, v16
	v_xor_b32_e32 v8, s16, v8
	v_cmp_gt_i32_e64 s16, 0, v19
	v_and_b32_e32 v0, v0, v1
	v_not_b32_e32 v1, v20
	v_ashrrev_i32_e32 v18, 31, v18
	v_xor_b32_e32 v16, vcc_lo, v16
	v_cmp_gt_i32_e32 vcc_lo, 0, v20
	v_dual_mov_b32 v21, v3 :: v_dual_and_b32 v0, v0, v8
	v_mov_b32_e32 v20, v2
	v_not_b32_e32 v8, v17
	v_ashrrev_i32_e32 v1, 31, v1
	v_xor_b32_e32 v18, s16, v18
	v_and_b32_e32 v0, v0, v16
	v_cmp_gt_i32_e64 s16, 0, v17
	v_ashrrev_i32_e32 v8, 31, v8
	v_xor_b32_e32 v1, vcc_lo, v1
	s_delay_alu instid0(VALU_DEP_4) | instskip(SKIP_1) | instid1(VALU_DEP_4)
	v_dual_mov_b32 v17, v7 :: v_dual_and_b32 v0, v0, v18
	v_mov_b32_e32 v19, v5
	v_xor_b32_e32 v8, s16, v8
	v_mov_b32_e32 v16, v6
	v_mov_b32_e32 v18, v4
	v_and_b32_e32 v0, v0, v1
	v_and_b32_e32 v1, 0xff, v35
	s_delay_alu instid0(VALU_DEP_2) | instskip(NEXT) | instid1(VALU_DEP_2)
	v_and_b32_e32 v0, v0, v8
	v_lshl_add_u32 v1, v1, 3, v29
	s_delay_alu instid0(VALU_DEP_2) | instskip(SKIP_1) | instid1(VALU_DEP_3)
	v_mbcnt_lo_u32_b32 v8, v0, 0
	v_cmp_ne_u32_e64 s16, 0, v0
	v_lshl_add_u32 v35, v1, 2, 32
	s_delay_alu instid0(VALU_DEP_3) | instskip(NEXT) | instid1(VALU_DEP_3)
	v_cmp_eq_u32_e32 vcc_lo, 0, v8
	s_and_b32 s17, s16, vcc_lo
	s_delay_alu instid0(SALU_CYCLE_1)
	s_and_saveexec_b32 s16, s17
	s_cbranch_execz .LBB316_6
; %bb.5:                                ;   in Loop: Header=BB316_4 Depth=2
	v_bcnt_u32_b32 v0, v0, 0
	ds_store_b32 v35, v0
.LBB316_6:                              ;   in Loop: Header=BB316_4 Depth=2
	s_or_b32 exec_lo, exec_lo, s16
	v_lshrrev_b64 v[0:1], s24, v[20:21]
	; wave barrier
	s_delay_alu instid0(VALU_DEP_1)
	v_and_b32_e32 v2, 1, v0
	v_lshlrev_b32_e32 v3, 30, v0
	v_lshlrev_b32_e32 v4, 29, v0
	v_lshlrev_b32_e32 v5, 28, v0
	v_lshlrev_b32_e32 v7, 27, v0
	v_add_co_u32 v2, s16, v2, -1
	s_delay_alu instid0(VALU_DEP_1)
	v_cndmask_b32_e64 v6, 0, 1, s16
	v_not_b32_e32 v38, v3
	v_cmp_gt_i32_e64 s16, 0, v3
	v_not_b32_e32 v3, v4
	v_lshlrev_b32_e32 v36, 26, v0
	v_cmp_ne_u32_e32 vcc_lo, 0, v6
	v_ashrrev_i32_e32 v6, 31, v38
	v_lshlrev_b32_e32 v37, 25, v0
	v_ashrrev_i32_e32 v3, 31, v3
	v_and_b32_e32 v1, 0xff, v0
	v_xor_b32_e32 v2, vcc_lo, v2
	v_cmp_gt_i32_e32 vcc_lo, 0, v4
	v_not_b32_e32 v4, v5
	v_xor_b32_e32 v6, s16, v6
	v_cmp_gt_i32_e64 s16, 0, v5
	v_and_b32_e32 v2, exec_lo, v2
	v_not_b32_e32 v5, v7
	v_ashrrev_i32_e32 v4, 31, v4
	v_xor_b32_e32 v3, vcc_lo, v3
	v_cmp_gt_i32_e32 vcc_lo, 0, v7
	v_and_b32_e32 v2, v2, v6
	v_not_b32_e32 v6, v36
	v_ashrrev_i32_e32 v5, 31, v5
	v_xor_b32_e32 v4, s16, v4
	v_lshlrev_b32_e32 v0, 24, v0
	v_and_b32_e32 v2, v2, v3
	v_cmp_gt_i32_e64 s16, 0, v36
	v_not_b32_e32 v3, v37
	v_ashrrev_i32_e32 v6, 31, v6
	v_xor_b32_e32 v5, vcc_lo, v5
	v_and_b32_e32 v2, v2, v4
	v_cmp_gt_i32_e32 vcc_lo, 0, v37
	v_not_b32_e32 v4, v0
	v_ashrrev_i32_e32 v3, 31, v3
	v_xor_b32_e32 v6, s16, v6
	v_and_b32_e32 v2, v2, v5
	v_lshlrev_b32_e32 v1, 3, v1
	v_cmp_gt_i32_e64 s16, 0, v0
	v_ashrrev_i32_e32 v0, 31, v4
	v_xor_b32_e32 v3, vcc_lo, v3
	v_and_b32_e32 v2, v2, v6
	v_add_lshl_u32 v1, v1, v29, 2
	s_delay_alu instid0(VALU_DEP_4) | instskip(NEXT) | instid1(VALU_DEP_3)
	v_xor_b32_e32 v0, s16, v0
	v_and_b32_e32 v2, v2, v3
	ds_load_b32 v36, v1 offset:32
	v_add_nc_u32_e32 v38, 32, v1
	; wave barrier
	v_and_b32_e32 v0, v2, v0
	s_delay_alu instid0(VALU_DEP_1) | instskip(SKIP_1) | instid1(VALU_DEP_2)
	v_mbcnt_lo_u32_b32 v37, v0, 0
	v_cmp_ne_u32_e64 s16, 0, v0
	v_cmp_eq_u32_e32 vcc_lo, 0, v37
	s_delay_alu instid0(VALU_DEP_2) | instskip(NEXT) | instid1(SALU_CYCLE_1)
	s_and_b32 s17, s16, vcc_lo
	s_and_saveexec_b32 s16, s17
	s_cbranch_execz .LBB316_8
; %bb.7:                                ;   in Loop: Header=BB316_4 Depth=2
	s_waitcnt lgkmcnt(0)
	v_bcnt_u32_b32 v0, v0, v36
	ds_store_b32 v38, v0
.LBB316_8:                              ;   in Loop: Header=BB316_4 Depth=2
	s_or_b32 exec_lo, exec_lo, s16
	v_lshrrev_b64 v[0:1], s24, v[18:19]
	; wave barrier
	s_delay_alu instid0(VALU_DEP_1)
	v_and_b32_e32 v2, 1, v0
	v_lshlrev_b32_e32 v3, 30, v0
	v_lshlrev_b32_e32 v4, 29, v0
	;; [unrolled: 1-line block ×4, first 2 shown]
	v_add_co_u32 v2, s16, v2, -1
	s_delay_alu instid0(VALU_DEP_1)
	v_cndmask_b32_e64 v6, 0, 1, s16
	v_not_b32_e32 v41, v3
	v_cmp_gt_i32_e64 s16, 0, v3
	v_not_b32_e32 v3, v4
	v_lshlrev_b32_e32 v39, 26, v0
	v_cmp_ne_u32_e32 vcc_lo, 0, v6
	v_ashrrev_i32_e32 v6, 31, v41
	v_lshlrev_b32_e32 v40, 25, v0
	v_ashrrev_i32_e32 v3, 31, v3
	v_and_b32_e32 v1, 0xff, v0
	v_xor_b32_e32 v2, vcc_lo, v2
	v_cmp_gt_i32_e32 vcc_lo, 0, v4
	v_not_b32_e32 v4, v5
	v_xor_b32_e32 v6, s16, v6
	v_cmp_gt_i32_e64 s16, 0, v5
	v_and_b32_e32 v2, exec_lo, v2
	v_not_b32_e32 v5, v7
	v_ashrrev_i32_e32 v4, 31, v4
	v_xor_b32_e32 v3, vcc_lo, v3
	v_cmp_gt_i32_e32 vcc_lo, 0, v7
	v_and_b32_e32 v2, v2, v6
	v_not_b32_e32 v6, v39
	v_ashrrev_i32_e32 v5, 31, v5
	v_xor_b32_e32 v4, s16, v4
	v_lshlrev_b32_e32 v0, 24, v0
	v_and_b32_e32 v2, v2, v3
	v_cmp_gt_i32_e64 s16, 0, v39
	v_not_b32_e32 v3, v40
	v_ashrrev_i32_e32 v6, 31, v6
	v_xor_b32_e32 v5, vcc_lo, v5
	v_and_b32_e32 v2, v2, v4
	v_cmp_gt_i32_e32 vcc_lo, 0, v40
	v_not_b32_e32 v4, v0
	v_ashrrev_i32_e32 v3, 31, v3
	v_xor_b32_e32 v6, s16, v6
	v_and_b32_e32 v2, v2, v5
	v_lshlrev_b32_e32 v1, 3, v1
	v_cmp_gt_i32_e64 s16, 0, v0
	v_ashrrev_i32_e32 v0, 31, v4
	v_xor_b32_e32 v3, vcc_lo, v3
	v_and_b32_e32 v2, v2, v6
	v_add_lshl_u32 v1, v1, v29, 2
	s_delay_alu instid0(VALU_DEP_4) | instskip(NEXT) | instid1(VALU_DEP_3)
	v_xor_b32_e32 v0, s16, v0
	v_and_b32_e32 v2, v2, v3
	ds_load_b32 v39, v1 offset:32
	v_add_nc_u32_e32 v41, 32, v1
	; wave barrier
	v_and_b32_e32 v0, v2, v0
	s_delay_alu instid0(VALU_DEP_1) | instskip(SKIP_1) | instid1(VALU_DEP_2)
	v_mbcnt_lo_u32_b32 v40, v0, 0
	v_cmp_ne_u32_e64 s16, 0, v0
	v_cmp_eq_u32_e32 vcc_lo, 0, v40
	s_delay_alu instid0(VALU_DEP_2) | instskip(NEXT) | instid1(SALU_CYCLE_1)
	s_and_b32 s17, s16, vcc_lo
	s_and_saveexec_b32 s16, s17
	s_cbranch_execz .LBB316_10
; %bb.9:                                ;   in Loop: Header=BB316_4 Depth=2
	s_waitcnt lgkmcnt(0)
	v_bcnt_u32_b32 v0, v0, v39
	ds_store_b32 v41, v0
.LBB316_10:                             ;   in Loop: Header=BB316_4 Depth=2
	s_or_b32 exec_lo, exec_lo, s16
	v_lshrrev_b64 v[0:1], s24, v[16:17]
	; wave barrier
	s_delay_alu instid0(VALU_DEP_1)
	v_and_b32_e32 v2, 1, v0
	v_lshlrev_b32_e32 v3, 30, v0
	v_lshlrev_b32_e32 v4, 29, v0
	;; [unrolled: 1-line block ×4, first 2 shown]
	v_add_co_u32 v2, s16, v2, -1
	s_delay_alu instid0(VALU_DEP_1)
	v_cndmask_b32_e64 v6, 0, 1, s16
	v_not_b32_e32 v44, v3
	v_cmp_gt_i32_e64 s16, 0, v3
	v_not_b32_e32 v3, v4
	v_lshlrev_b32_e32 v42, 26, v0
	v_cmp_ne_u32_e32 vcc_lo, 0, v6
	v_ashrrev_i32_e32 v6, 31, v44
	v_lshlrev_b32_e32 v43, 25, v0
	v_ashrrev_i32_e32 v3, 31, v3
	v_and_b32_e32 v1, 0xff, v0
	v_xor_b32_e32 v2, vcc_lo, v2
	v_cmp_gt_i32_e32 vcc_lo, 0, v4
	v_not_b32_e32 v4, v5
	v_xor_b32_e32 v6, s16, v6
	v_cmp_gt_i32_e64 s16, 0, v5
	v_and_b32_e32 v2, exec_lo, v2
	v_not_b32_e32 v5, v7
	v_ashrrev_i32_e32 v4, 31, v4
	v_xor_b32_e32 v3, vcc_lo, v3
	v_cmp_gt_i32_e32 vcc_lo, 0, v7
	v_and_b32_e32 v2, v2, v6
	v_not_b32_e32 v6, v42
	v_ashrrev_i32_e32 v5, 31, v5
	v_xor_b32_e32 v4, s16, v4
	v_lshlrev_b32_e32 v0, 24, v0
	v_and_b32_e32 v2, v2, v3
	v_cmp_gt_i32_e64 s16, 0, v42
	v_not_b32_e32 v3, v43
	v_ashrrev_i32_e32 v6, 31, v6
	v_xor_b32_e32 v5, vcc_lo, v5
	v_and_b32_e32 v2, v2, v4
	v_cmp_gt_i32_e32 vcc_lo, 0, v43
	v_not_b32_e32 v4, v0
	v_ashrrev_i32_e32 v3, 31, v3
	v_xor_b32_e32 v6, s16, v6
	v_and_b32_e32 v2, v2, v5
	v_lshlrev_b32_e32 v1, 3, v1
	v_cmp_gt_i32_e64 s16, 0, v0
	v_ashrrev_i32_e32 v0, 31, v4
	v_xor_b32_e32 v3, vcc_lo, v3
	v_and_b32_e32 v2, v2, v6
	v_add_lshl_u32 v1, v1, v29, 2
	s_delay_alu instid0(VALU_DEP_4) | instskip(NEXT) | instid1(VALU_DEP_3)
	v_xor_b32_e32 v0, s16, v0
	v_and_b32_e32 v2, v2, v3
	ds_load_b32 v42, v1 offset:32
	v_add_nc_u32_e32 v44, 32, v1
	; wave barrier
	v_and_b32_e32 v0, v2, v0
	s_delay_alu instid0(VALU_DEP_1) | instskip(SKIP_1) | instid1(VALU_DEP_2)
	v_mbcnt_lo_u32_b32 v43, v0, 0
	v_cmp_ne_u32_e64 s16, 0, v0
	v_cmp_eq_u32_e32 vcc_lo, 0, v43
	s_delay_alu instid0(VALU_DEP_2) | instskip(NEXT) | instid1(SALU_CYCLE_1)
	s_and_b32 s17, s16, vcc_lo
	s_and_saveexec_b32 s16, s17
	s_cbranch_execz .LBB316_12
; %bb.11:                               ;   in Loop: Header=BB316_4 Depth=2
	s_waitcnt lgkmcnt(0)
	v_bcnt_u32_b32 v0, v0, v42
	ds_store_b32 v44, v0
.LBB316_12:                             ;   in Loop: Header=BB316_4 Depth=2
	s_or_b32 exec_lo, exec_lo, s16
	; wave barrier
	s_waitcnt lgkmcnt(0)
	s_barrier
	buffer_gl0_inv
	ds_load_2addr_b64 v[4:7], v22 offset0:4 offset1:5
	ds_load_2addr_b64 v[0:3], v28 offset0:2 offset1:3
	s_waitcnt lgkmcnt(1)
	v_add_nc_u32_e32 v45, v5, v4
	s_delay_alu instid0(VALU_DEP_1) | instskip(SKIP_1) | instid1(VALU_DEP_1)
	v_add3_u32 v45, v45, v6, v7
	s_waitcnt lgkmcnt(0)
	v_add3_u32 v45, v45, v0, v1
	s_delay_alu instid0(VALU_DEP_1) | instskip(NEXT) | instid1(VALU_DEP_1)
	v_add3_u32 v3, v45, v2, v3
	v_mov_b32_dpp v45, v3 row_shr:1 row_mask:0xf bank_mask:0xf
	s_delay_alu instid0(VALU_DEP_1) | instskip(NEXT) | instid1(VALU_DEP_1)
	v_cndmask_b32_e64 v45, v45, 0, s3
	v_add_nc_u32_e32 v3, v45, v3
	s_delay_alu instid0(VALU_DEP_1) | instskip(NEXT) | instid1(VALU_DEP_1)
	v_mov_b32_dpp v45, v3 row_shr:2 row_mask:0xf bank_mask:0xf
	v_cndmask_b32_e64 v45, 0, v45, s4
	s_delay_alu instid0(VALU_DEP_1) | instskip(NEXT) | instid1(VALU_DEP_1)
	v_add_nc_u32_e32 v3, v3, v45
	v_mov_b32_dpp v45, v3 row_shr:4 row_mask:0xf bank_mask:0xf
	s_delay_alu instid0(VALU_DEP_1) | instskip(NEXT) | instid1(VALU_DEP_1)
	v_cndmask_b32_e64 v45, 0, v45, s5
	v_add_nc_u32_e32 v3, v3, v45
	s_delay_alu instid0(VALU_DEP_1) | instskip(NEXT) | instid1(VALU_DEP_1)
	v_mov_b32_dpp v45, v3 row_shr:8 row_mask:0xf bank_mask:0xf
	v_cndmask_b32_e64 v45, 0, v45, s6
	s_delay_alu instid0(VALU_DEP_1) | instskip(SKIP_3) | instid1(VALU_DEP_1)
	v_add_nc_u32_e32 v3, v3, v45
	ds_swizzle_b32 v45, v3 offset:swizzle(BROADCAST,32,15)
	s_waitcnt lgkmcnt(0)
	v_cndmask_b32_e64 v45, v45, 0, s7
	v_add_nc_u32_e32 v3, v3, v45
	s_and_saveexec_b32 s16, s8
	s_cbranch_execz .LBB316_14
; %bb.13:                               ;   in Loop: Header=BB316_4 Depth=2
	ds_store_b32 v31, v3
.LBB316_14:                             ;   in Loop: Header=BB316_4 Depth=2
	s_or_b32 exec_lo, exec_lo, s16
	s_waitcnt lgkmcnt(0)
	s_barrier
	buffer_gl0_inv
	s_and_saveexec_b32 s16, s9
	s_cbranch_execz .LBB316_16
; %bb.15:                               ;   in Loop: Header=BB316_4 Depth=2
	ds_load_b32 v45, v32
	s_waitcnt lgkmcnt(0)
	v_mov_b32_dpp v46, v45 row_shr:1 row_mask:0xf bank_mask:0xf
	s_delay_alu instid0(VALU_DEP_1) | instskip(NEXT) | instid1(VALU_DEP_1)
	v_cndmask_b32_e64 v46, v46, 0, s13
	v_add_nc_u32_e32 v45, v46, v45
	s_delay_alu instid0(VALU_DEP_1) | instskip(NEXT) | instid1(VALU_DEP_1)
	v_mov_b32_dpp v46, v45 row_shr:2 row_mask:0xf bank_mask:0xf
	v_cndmask_b32_e64 v46, 0, v46, s14
	s_delay_alu instid0(VALU_DEP_1) | instskip(NEXT) | instid1(VALU_DEP_1)
	v_add_nc_u32_e32 v45, v45, v46
	v_mov_b32_dpp v46, v45 row_shr:4 row_mask:0xf bank_mask:0xf
	s_delay_alu instid0(VALU_DEP_1) | instskip(NEXT) | instid1(VALU_DEP_1)
	v_cndmask_b32_e64 v46, 0, v46, s15
	v_add_nc_u32_e32 v45, v45, v46
	ds_store_b32 v32, v45
.LBB316_16:                             ;   in Loop: Header=BB316_4 Depth=2
	s_or_b32 exec_lo, exec_lo, s16
	v_mov_b32_e32 v45, 0
	s_waitcnt lgkmcnt(0)
	s_barrier
	buffer_gl0_inv
	s_and_saveexec_b32 s16, s10
	s_cbranch_execz .LBB316_18
; %bb.17:                               ;   in Loop: Header=BB316_4 Depth=2
	ds_load_b32 v45, v33
.LBB316_18:                             ;   in Loop: Header=BB316_4 Depth=2
	s_or_b32 exec_lo, exec_lo, s16
	s_waitcnt lgkmcnt(0)
	v_add_nc_u32_e32 v3, v45, v3
	s_cmp_gt_u32 s24, 55
	ds_bpermute_b32 v3, v30, v3
	s_waitcnt lgkmcnt(0)
	v_cndmask_b32_e64 v3, v3, v45, s11
	s_delay_alu instid0(VALU_DEP_1) | instskip(NEXT) | instid1(VALU_DEP_1)
	v_cndmask_b32_e64 v3, v3, 0, s12
	v_add_nc_u32_e32 v4, v3, v4
	s_delay_alu instid0(VALU_DEP_1) | instskip(NEXT) | instid1(VALU_DEP_1)
	v_add_nc_u32_e32 v5, v4, v5
	v_add_nc_u32_e32 v6, v5, v6
	s_delay_alu instid0(VALU_DEP_1) | instskip(NEXT) | instid1(VALU_DEP_1)
	v_add_nc_u32_e32 v45, v6, v7
	;; [unrolled: 3-line block ×3, first 2 shown]
	v_add_nc_u32_e32 v1, v0, v2
	ds_store_2addr_b64 v22, v[3:4], v[5:6] offset0:4 offset1:5
	ds_store_2addr_b64 v28, v[45:46], v[0:1] offset0:2 offset1:3
	s_waitcnt lgkmcnt(0)
	s_barrier
	buffer_gl0_inv
	ds_load_b32 v0, v35
	ds_load_b32 v1, v38
	;; [unrolled: 1-line block ×4, first 2 shown]
	s_waitcnt lgkmcnt(3)
	v_add_nc_u32_e32 v38, v0, v8
	s_waitcnt lgkmcnt(2)
	v_add3_u32 v36, v37, v36, v1
	s_waitcnt lgkmcnt(1)
	v_add3_u32 v35, v40, v39, v2
	;; [unrolled: 2-line block ×3, first 2 shown]
	s_cbranch_scc0 .LBB316_3
; %bb.19:                               ;   in Loop: Header=BB316_2 Depth=1
                                        ; implicit-def: $vgpr6_vgpr7
                                        ; implicit-def: $vgpr2_vgpr3
                                        ; implicit-def: $sgpr24_sgpr25
	s_branch .LBB316_1
.LBB316_20:
	v_lshlrev_b32_e32 v0, 3, v9
	s_add_u32 s0, s18, s20
	s_addc_u32 s1, s19, s21
	s_delay_alu instid0(VALU_DEP_1) | instskip(NEXT) | instid1(VALU_DEP_1)
	v_add_co_u32 v9, s2, s0, v0
	v_add_co_ci_u32_e64 v10, null, s1, 0, s2
	s_delay_alu instid0(VALU_DEP_2) | instskip(NEXT) | instid1(VALU_DEP_2)
	v_add_co_u32 v9, vcc_lo, 0x1000, v9
	v_add_co_ci_u32_e32 v10, vcc_lo, 0, v10, vcc_lo
	s_clause 0x3
	global_store_b64 v0, v[5:6], s[0:1]
	global_store_b64 v0, v[7:8], s[0:1] offset:2048
	global_store_b64 v[9:10], v[1:2], off
	global_store_b64 v[9:10], v[3:4], off offset:2048
	s_nop 0
	s_sendmsg sendmsg(MSG_DEALLOC_VGPRS)
	s_endpgm
	.section	.rodata,"a",@progbits
	.p2align	6, 0x0
	.amdhsa_kernel _Z16sort_keys_kernelI22helper_blocked_stripedxLj256ELj4ELj10EEvPKT0_PS1_
		.amdhsa_group_segment_fixed_size 8224
		.amdhsa_private_segment_fixed_size 0
		.amdhsa_kernarg_size 272
		.amdhsa_user_sgpr_count 15
		.amdhsa_user_sgpr_dispatch_ptr 0
		.amdhsa_user_sgpr_queue_ptr 0
		.amdhsa_user_sgpr_kernarg_segment_ptr 1
		.amdhsa_user_sgpr_dispatch_id 0
		.amdhsa_user_sgpr_private_segment_size 0
		.amdhsa_wavefront_size32 1
		.amdhsa_uses_dynamic_stack 0
		.amdhsa_enable_private_segment 0
		.amdhsa_system_sgpr_workgroup_id_x 1
		.amdhsa_system_sgpr_workgroup_id_y 0
		.amdhsa_system_sgpr_workgroup_id_z 0
		.amdhsa_system_sgpr_workgroup_info 0
		.amdhsa_system_vgpr_workitem_id 2
		.amdhsa_next_free_vgpr 49
		.amdhsa_next_free_sgpr 26
		.amdhsa_reserve_vcc 1
		.amdhsa_float_round_mode_32 0
		.amdhsa_float_round_mode_16_64 0
		.amdhsa_float_denorm_mode_32 3
		.amdhsa_float_denorm_mode_16_64 3
		.amdhsa_dx10_clamp 1
		.amdhsa_ieee_mode 1
		.amdhsa_fp16_overflow 0
		.amdhsa_workgroup_processor_mode 1
		.amdhsa_memory_ordered 1
		.amdhsa_forward_progress 0
		.amdhsa_shared_vgpr_count 0
		.amdhsa_exception_fp_ieee_invalid_op 0
		.amdhsa_exception_fp_denorm_src 0
		.amdhsa_exception_fp_ieee_div_zero 0
		.amdhsa_exception_fp_ieee_overflow 0
		.amdhsa_exception_fp_ieee_underflow 0
		.amdhsa_exception_fp_ieee_inexact 0
		.amdhsa_exception_int_div_zero 0
	.end_amdhsa_kernel
	.section	.text._Z16sort_keys_kernelI22helper_blocked_stripedxLj256ELj4ELj10EEvPKT0_PS1_,"axG",@progbits,_Z16sort_keys_kernelI22helper_blocked_stripedxLj256ELj4ELj10EEvPKT0_PS1_,comdat
.Lfunc_end316:
	.size	_Z16sort_keys_kernelI22helper_blocked_stripedxLj256ELj4ELj10EEvPKT0_PS1_, .Lfunc_end316-_Z16sort_keys_kernelI22helper_blocked_stripedxLj256ELj4ELj10EEvPKT0_PS1_
                                        ; -- End function
	.section	.AMDGPU.csdata,"",@progbits
; Kernel info:
; codeLenInByte = 3292
; NumSgprs: 28
; NumVgprs: 49
; ScratchSize: 0
; MemoryBound: 0
; FloatMode: 240
; IeeeMode: 1
; LDSByteSize: 8224 bytes/workgroup (compile time only)
; SGPRBlocks: 3
; VGPRBlocks: 6
; NumSGPRsForWavesPerEU: 28
; NumVGPRsForWavesPerEU: 49
; Occupancy: 16
; WaveLimiterHint : 1
; COMPUTE_PGM_RSRC2:SCRATCH_EN: 0
; COMPUTE_PGM_RSRC2:USER_SGPR: 15
; COMPUTE_PGM_RSRC2:TRAP_HANDLER: 0
; COMPUTE_PGM_RSRC2:TGID_X_EN: 1
; COMPUTE_PGM_RSRC2:TGID_Y_EN: 0
; COMPUTE_PGM_RSRC2:TGID_Z_EN: 0
; COMPUTE_PGM_RSRC2:TIDIG_COMP_CNT: 2
	.section	.text._Z17sort_pairs_kernelI22helper_blocked_stripedxLj256ELj4ELj10EEvPKT0_PS1_,"axG",@progbits,_Z17sort_pairs_kernelI22helper_blocked_stripedxLj256ELj4ELj10EEvPKT0_PS1_,comdat
	.protected	_Z17sort_pairs_kernelI22helper_blocked_stripedxLj256ELj4ELj10EEvPKT0_PS1_ ; -- Begin function _Z17sort_pairs_kernelI22helper_blocked_stripedxLj256ELj4ELj10EEvPKT0_PS1_
	.globl	_Z17sort_pairs_kernelI22helper_blocked_stripedxLj256ELj4ELj10EEvPKT0_PS1_
	.p2align	8
	.type	_Z17sort_pairs_kernelI22helper_blocked_stripedxLj256ELj4ELj10EEvPKT0_PS1_,@function
_Z17sort_pairs_kernelI22helper_blocked_stripedxLj256ELj4ELj10EEvPKT0_PS1_: ; @_Z17sort_pairs_kernelI22helper_blocked_stripedxLj256ELj4ELj10EEvPKT0_PS1_
; %bb.0:
	s_load_b128 s[16:19], s[0:1], 0x0
	v_mbcnt_lo_u32_b32 v10, -1, 0
	s_mov_b32 s23, 0
	s_lshl_b32 s22, s15, 10
	s_load_b32 s15, s[0:1], 0x1c
	s_lshl_b64 s[20:21], s[22:23], 3
	v_add_nc_u32_e32 v14, -1, v10
	v_and_b32_e32 v13, 16, v10
	v_bfe_u32 v11, v0, 10, 10
	v_and_b32_e32 v15, 7, v10
	v_and_b32_e32 v1, 3, v10
	v_cmp_gt_i32_e32 vcc_lo, 0, v14
	v_and_b32_e32 v18, 0x3ff, v0
	v_cmp_eq_u32_e64 s8, 0, v13
	v_bfe_u32 v0, v0, 20, 10
	v_and_b32_e32 v12, 15, v10
	v_cndmask_b32_e32 v13, v14, v10, vcc_lo
	v_lshlrev_b32_e32 v33, 5, v18
	v_lshrrev_b32_e32 v14, 3, v18
	v_lshlrev_b32_e32 v35, 2, v18
	s_waitcnt lgkmcnt(0)
	s_add_u32 s0, s16, s20
	s_addc_u32 s1, s17, s21
	v_cmp_eq_u32_e64 s12, 0, v15
	s_clause 0x1
	global_load_b128 v[6:9], v33, s[0:1]
	global_load_b128 v[2:5], v33, s[0:1] offset:16
	s_lshr_b32 s14, s15, 16
	v_and_b32_e32 v40, 28, v14
	v_mad_u32_u24 v11, v0, s14, v11
	s_and_b32 s15, s15, 0xffff
	v_cmp_lt_u32_e64 s13, 1, v15
	v_cmp_lt_u32_e64 s14, 3, v15
	v_cmp_eq_u32_e64 s1, 3, v1
	v_cmp_eq_u32_e64 s2, 2, v1
	;; [unrolled: 1-line block ×3, first 2 shown]
	v_mad_u64_u32 v[0:1], null, v11, s15, v[18:19]
	v_cmp_eq_u32_e64 s4, 0, v12
	v_cmp_lt_u32_e64 s5, 1, v12
	v_cmp_lt_u32_e64 s6, 3, v12
	;; [unrolled: 1-line block ×3, first 2 shown]
	v_or_b32_e32 v12, 31, v18
	v_and_b32_e32 v34, 28, v10
	v_cmp_eq_u32_e64 s0, 0, v10
	v_and_or_b32 v1, 0x380, v35, v10
	v_cmp_gt_u32_e64 s9, 8, v18
	v_cmp_eq_u32_e64 s15, v12, v18
	v_or_b32_e32 v36, 32, v34
	v_or_b32_e32 v37, 64, v34
	;; [unrolled: 1-line block ×3, first 2 shown]
	v_cmp_lt_u32_e64 s10, 31, v18
	v_cmp_eq_u32_e64 s11, 0, v18
	v_add_nc_u32_e32 v39, 32, v33
	v_lshlrev_b32_e32 v41, 2, v13
	v_mad_i32_i24 v42, 0xffffffe4, v18, v33
	v_add_nc_u32_e32 v43, -4, v40
	v_lshlrev_b32_e32 v44, 3, v1
	v_lshrrev_b32_e32 v45, 5, v0
	s_mov_b32 s22, s23
	s_mov_b32 s24, s23
	;; [unrolled: 1-line block ×4, first 2 shown]
	s_waitcnt vmcnt(1)
	v_add_co_u32 v14, vcc_lo, v6, 1
	v_add_co_ci_u32_e32 v15, vcc_lo, 0, v7, vcc_lo
	v_add_co_u32 v16, vcc_lo, v8, 1
	v_add_co_ci_u32_e32 v17, vcc_lo, 0, v9, vcc_lo
	s_waitcnt vmcnt(0)
	v_add_co_u32 v10, vcc_lo, v2, 1
	v_add_co_ci_u32_e32 v11, vcc_lo, 0, v3, vcc_lo
	v_add_co_u32 v12, vcc_lo, v4, 1
	v_add_co_ci_u32_e32 v13, vcc_lo, 0, v5, vcc_lo
	s_branch .LBB317_2
.LBB317_1:                              ;   in Loop: Header=BB317_2 Depth=1
	v_lshlrev_b32_e32 v0, 3, v50
	s_delay_alu instid0(VALU_DEP_2)
	v_lshlrev_b32_e32 v11, 3, v46
	v_add_nc_u32_e32 v12, v42, v35
	v_lshlrev_b32_e32 v1, 3, v49
	v_lshlrev_b32_e32 v10, 3, v48
	s_barrier
	buffer_gl0_inv
	ds_store_b64 v0, v[16:17]
	ds_store_b64 v1, v[31:32]
	;; [unrolled: 1-line block ×4, first 2 shown]
	s_waitcnt lgkmcnt(0)
	s_barrier
	buffer_gl0_inv
	ds_load_2addr_stride64_b64 v[6:9], v12 offset1:4
	ds_load_2addr_stride64_b64 v[2:5], v12 offset0:8 offset1:12
	s_waitcnt lgkmcnt(0)
	s_barrier
	buffer_gl0_inv
	ds_store_b64 v0, v[23:24]
	ds_store_b64 v1, v[21:22]
	;; [unrolled: 1-line block ×4, first 2 shown]
	s_waitcnt lgkmcnt(0)
	s_barrier
	buffer_gl0_inv
	ds_load_2addr_stride64_b64 v[14:17], v12 offset1:4
	ds_load_2addr_stride64_b64 v[10:13], v12 offset0:8 offset1:12
	s_add_i32 s17, s17, 1
	s_delay_alu instid0(SALU_CYCLE_1)
	s_cmp_lg_u32 s17, 10
	v_xor_b32_e32 v7, 0x80000000, v7
	v_xor_b32_e32 v9, 0x80000000, v9
	;; [unrolled: 1-line block ×4, first 2 shown]
	s_cbranch_scc0 .LBB317_20
.LBB317_2:                              ; =>This Loop Header: Depth=1
                                        ;     Child Loop BB317_4 Depth 2
	v_xor_b32_e32 v7, 0x80000000, v7
	v_xor_b32_e32 v9, 0x80000000, v9
	ds_bpermute_b32 v0, v34, v6
	ds_bpermute_b32 v1, v34, v8
	v_xor_b32_e32 v3, 0x80000000, v3
	ds_bpermute_b32 v19, v34, v7
	ds_bpermute_b32 v20, v34, v9
	;; [unrolled: 1-line block ×6, first 2 shown]
	v_xor_b32_e32 v25, 0x80000000, v5
	ds_bpermute_b32 v5, v36, v6
	ds_bpermute_b32 v26, v36, v8
	;; [unrolled: 1-line block ×11, first 2 shown]
	s_waitcnt lgkmcnt(17)
	v_cndmask_b32_e64 v0, v0, v1, s3
	ds_bpermute_b32 v47, v37, v2
	ds_bpermute_b32 v48, v37, v4
	s_waitcnt lgkmcnt(17)
	v_cndmask_b32_e64 v1, v19, v20, s3
	ds_bpermute_b32 v19, v37, v7
	ds_bpermute_b32 v20, v37, v9
	s_waitcnt lgkmcnt(18)
	v_cndmask_b32_e64 v0, v0, v21, s2
	s_waitcnt lgkmcnt(15)
	v_cndmask_b32_e64 v21, v23, v24, s3
	v_cndmask_b32_e64 v1, v1, v22, s2
	ds_bpermute_b32 v49, v36, v25
	s_waitcnt lgkmcnt(14)
	v_cndmask_b32_e64 v5, v5, v26, s3
	s_waitcnt lgkmcnt(13)
	v_cndmask_b32_e64 v0, v0, v27, s1
	;; [unrolled: 2-line block ×4, first 2 shown]
	ds_bpermute_b32 v7, v38, v7
	ds_bpermute_b32 v9, v38, v9
	ds_bpermute_b32 v24, v38, v2
	ds_bpermute_b32 v26, v34, v14
	ds_bpermute_b32 v27, v34, v15
	ds_bpermute_b32 v28, v34, v16
	ds_bpermute_b32 v29, v34, v17
	s_waitcnt lgkmcnt(16)
	v_cndmask_b32_e64 v2, v32, v46, s3
	ds_bpermute_b32 v32, v38, v4
	ds_bpermute_b32 v22, v37, v3
	;; [unrolled: 1-line block ×3, first 2 shown]
	s_waitcnt lgkmcnt(11)
	v_cndmask_b32_e64 v4, v19, v20, s3
	ds_bpermute_b32 v19, v36, v14
	ds_bpermute_b32 v20, v36, v16
	;; [unrolled: 1-line block ×5, first 2 shown]
	v_cndmask_b32_e64 v3, v5, v30, s2
	v_cndmask_b32_e64 v6, v6, v8, s3
	;; [unrolled: 1-line block ×3, first 2 shown]
	ds_bpermute_b32 v30, v37, v17
	s_waitcnt lgkmcnt(14)
	v_cndmask_b32_e64 v7, v7, v9, s3
	v_cndmask_b32_e64 v2, v3, v31, s1
	v_cndmask_b32_e64 v3, v21, v49, s1
	s_waitcnt lgkmcnt(13)
	v_cndmask_b32_e64 v6, v6, v24, s2
	s_waitcnt lgkmcnt(10)
	v_cndmask_b32_e64 v8, v26, v28, s3
	s_waitcnt lgkmcnt(9)
	v_cndmask_b32_e64 v9, v27, v29, s3
	ds_bpermute_b32 v21, v38, v25
	ds_bpermute_b32 v24, v36, v15
	;; [unrolled: 1-line block ×6, first 2 shown]
	s_waitcnt lgkmcnt(10)
	v_cndmask_b32_e64 v19, v19, v20, s3
	ds_bpermute_b32 v20, v36, v10
	ds_bpermute_b32 v14, v38, v14
	ds_bpermute_b32 v15, v38, v15
	ds_bpermute_b32 v17, v38, v17
	ds_bpermute_b32 v16, v38, v16
	v_cndmask_b32_e64 v22, v4, v22, s2
	v_cndmask_b32_e64 v6, v6, v32, s1
	v_cndmask_b32_e64 v8, v8, v46, s2
	ds_bpermute_b32 v26, v36, v11
	ds_bpermute_b32 v32, v37, v11
	;; [unrolled: 1-line block ×5, first 2 shown]
	v_cndmask_b32_e64 v4, v5, v48, s1
	s_waitcnt lgkmcnt(19)
	v_cndmask_b32_e64 v5, v22, v23, s1
	s_waitcnt lgkmcnt(18)
	;; [unrolled: 2-line block ×3, first 2 shown]
	v_cndmask_b32_e64 v9, v9, v51, s2
	ds_bpermute_b32 v22, v34, v12
	ds_bpermute_b32 v23, v34, v13
	ds_bpermute_b32 v31, v36, v13
	ds_bpermute_b32 v48, v36, v12
	ds_bpermute_b32 v49, v37, v13
	ds_bpermute_b32 v50, v37, v12
	ds_bpermute_b32 v51, v38, v13
	ds_bpermute_b32 v52, v38, v12
	s_waitcnt lgkmcnt(21)
	v_cndmask_b32_e64 v11, v24, v25, s3
	s_waitcnt lgkmcnt(17)
	v_cndmask_b32_e64 v12, v19, v20, s2
	v_cndmask_b32_e64 v13, v28, v30, s3
	;; [unrolled: 1-line block ×3, first 2 shown]
	s_waitcnt lgkmcnt(14)
	v_cndmask_b32_e64 v15, v15, v17, s3
	s_waitcnt lgkmcnt(13)
	v_cndmask_b32_e64 v14, v14, v16, s3
	;; [unrolled: 2-line block ×7, first 2 shown]
	v_cndmask_b32_e64 v7, v7, v21, s1
	s_waitcnt lgkmcnt(7)
	v_cndmask_b32_e64 v8, v8, v22, s1
	s_waitcnt lgkmcnt(6)
	;; [unrolled: 2-line block ×8, first 2 shown]
	v_cndmask_b32_e64 v14, v14, v52, s1
	s_mov_b64 s[26:27], 0
	s_barrier
	s_branch .LBB317_4
.LBB317_3:                              ;   in Loop: Header=BB317_4 Depth=2
	v_lshlrev_b32_e32 v8, 3, v50
	v_lshlrev_b32_e32 v9, 3, v49
	;; [unrolled: 1-line block ×4, first 2 shown]
	s_barrier
	buffer_gl0_inv
	ds_store_b64 v8, v[16:17]
	ds_store_b64 v9, v[31:32]
	;; [unrolled: 1-line block ×4, first 2 shown]
	s_waitcnt lgkmcnt(0)
	s_barrier
	buffer_gl0_inv
	ds_load_2addr_b64 v[0:3], v44 offset1:32
	ds_load_2addr_b64 v[4:7], v44 offset0:64 offset1:96
	s_waitcnt lgkmcnt(0)
	s_barrier
	buffer_gl0_inv
	ds_store_b64 v8, v[23:24]
	ds_store_b64 v9, v[21:22]
	;; [unrolled: 1-line block ×4, first 2 shown]
	s_waitcnt lgkmcnt(0)
	s_barrier
	buffer_gl0_inv
	ds_load_2addr_b64 v[8:11], v44 offset1:32
	ds_load_2addr_b64 v[12:15], v44 offset0:64 offset1:96
	s_add_u32 s26, s26, 8
	s_addc_u32 s27, s27, 0
	s_waitcnt lgkmcnt(0)
	s_barrier
	s_cbranch_execz .LBB317_1
.LBB317_4:                              ;   Parent Loop BB317_2 Depth=1
                                        ; =>  This Inner Loop Header: Depth=2
	v_dual_mov_b32 v17, v1 :: v_dual_mov_b32 v16, v0
	buffer_gl0_inv
	v_mov_b32_e32 v28, v7
	v_mov_b32_e32 v30, v5
	;; [unrolled: 1-line block ×3, first 2 shown]
	v_lshrrev_b64 v[46:47], s26, v[16:17]
	v_mov_b32_e32 v27, v6
	v_mov_b32_e32 v29, v4
	s_delay_alu instid0(VALU_DEP_3)
	v_dual_mov_b32 v31, v2 :: v_dual_and_b32 v0, 1, v46
	v_lshlrev_b32_e32 v1, 30, v46
	v_lshlrev_b32_e32 v19, 29, v46
	;; [unrolled: 1-line block ×4, first 2 shown]
	v_add_co_u32 v0, s16, v0, -1
	s_delay_alu instid0(VALU_DEP_1)
	v_cndmask_b32_e64 v21, 0, 1, s16
	v_not_b32_e32 v25, v1
	v_cmp_gt_i32_e64 s16, 0, v1
	v_not_b32_e32 v1, v19
	v_lshlrev_b32_e32 v23, 26, v46
	v_cmp_ne_u32_e32 vcc_lo, 0, v21
	v_ashrrev_i32_e32 v25, 31, v25
	v_lshlrev_b32_e32 v24, 25, v46
	v_ashrrev_i32_e32 v1, 31, v1
	v_lshlrev_b32_e32 v21, 24, v46
	v_xor_b32_e32 v0, vcc_lo, v0
	v_cmp_gt_i32_e32 vcc_lo, 0, v19
	v_not_b32_e32 v19, v20
	v_xor_b32_e32 v25, s16, v25
	v_cmp_gt_i32_e64 s16, 0, v20
	v_and_b32_e32 v0, exec_lo, v0
	v_not_b32_e32 v20, v22
	v_ashrrev_i32_e32 v19, 31, v19
	v_xor_b32_e32 v1, vcc_lo, v1
	v_cmp_gt_i32_e32 vcc_lo, 0, v22
	v_and_b32_e32 v0, v0, v25
	v_not_b32_e32 v22, v23
	v_ashrrev_i32_e32 v20, 31, v20
	v_xor_b32_e32 v19, s16, v19
	v_cmp_gt_i32_e64 s16, 0, v23
	v_and_b32_e32 v0, v0, v1
	v_not_b32_e32 v1, v24
	v_ashrrev_i32_e32 v22, 31, v22
	v_xor_b32_e32 v20, vcc_lo, v20
	v_mov_b32_e32 v26, v15
	v_dual_mov_b32 v25, v14 :: v_dual_and_b32 v0, v0, v19
	v_cmp_gt_i32_e32 vcc_lo, 0, v24
	v_ashrrev_i32_e32 v1, 31, v1
	v_xor_b32_e32 v22, s16, v22
	s_delay_alu instid0(VALU_DEP_4)
	v_and_b32_e32 v0, v0, v20
	v_mov_b32_e32 v24, v9
	v_not_b32_e32 v19, v21
	v_cmp_gt_i32_e64 s16, 0, v21
	v_xor_b32_e32 v1, vcc_lo, v1
	v_and_b32_e32 v0, v0, v22
	v_and_b32_e32 v5, 0xff, v46
	v_ashrrev_i32_e32 v19, 31, v19
	v_dual_mov_b32 v23, v8 :: v_dual_mov_b32 v22, v11
	s_delay_alu instid0(VALU_DEP_4) | instskip(NEXT) | instid1(VALU_DEP_3)
	v_dual_mov_b32 v1, s22 :: v_dual_and_b32 v0, v0, v1
	v_xor_b32_e32 v3, s16, v19
	v_mov_b32_e32 v20, v13
	v_dual_mov_b32 v2, s23 :: v_dual_mov_b32 v21, v10
	v_mov_b32_e32 v19, v12
	s_delay_alu instid0(VALU_DEP_4)
	v_dual_mov_b32 v3, s24 :: v_dual_and_b32 v0, v0, v3
	v_mov_b32_e32 v4, s25
	ds_store_2addr_b64 v33, v[1:2], v[3:4] offset0:4 offset1:5
	ds_store_2addr_b64 v39, v[1:2], v[3:4] offset0:2 offset1:3
	v_mbcnt_lo_u32_b32 v8, v0, 0
	v_lshl_add_u32 v1, v5, 3, v45
	v_cmp_ne_u32_e64 s16, 0, v0
	s_waitcnt lgkmcnt(0)
	s_barrier
	v_cmp_eq_u32_e32 vcc_lo, 0, v8
	v_lshl_add_u32 v9, v1, 2, 32
	buffer_gl0_inv
	; wave barrier
	s_and_b32 s28, s16, vcc_lo
	s_delay_alu instid0(SALU_CYCLE_1)
	s_and_saveexec_b32 s16, s28
	s_cbranch_execz .LBB317_6
; %bb.5:                                ;   in Loop: Header=BB317_4 Depth=2
	v_bcnt_u32_b32 v0, v0, 0
	ds_store_b32 v9, v0
.LBB317_6:                              ;   in Loop: Header=BB317_4 Depth=2
	s_or_b32 exec_lo, exec_lo, s16
	v_lshrrev_b64 v[0:1], s26, v[31:32]
	; wave barrier
	s_delay_alu instid0(VALU_DEP_1)
	v_and_b32_e32 v2, 1, v0
	v_lshlrev_b32_e32 v3, 30, v0
	v_lshlrev_b32_e32 v4, 29, v0
	;; [unrolled: 1-line block ×4, first 2 shown]
	v_add_co_u32 v2, s16, v2, -1
	s_delay_alu instid0(VALU_DEP_1)
	v_cndmask_b32_e64 v6, 0, 1, s16
	v_not_b32_e32 v12, v3
	v_cmp_gt_i32_e64 s16, 0, v3
	v_not_b32_e32 v3, v4
	v_lshlrev_b32_e32 v10, 26, v0
	v_cmp_ne_u32_e32 vcc_lo, 0, v6
	v_ashrrev_i32_e32 v6, 31, v12
	v_lshlrev_b32_e32 v11, 25, v0
	v_ashrrev_i32_e32 v3, 31, v3
	v_and_b32_e32 v1, 0xff, v0
	v_xor_b32_e32 v2, vcc_lo, v2
	v_cmp_gt_i32_e32 vcc_lo, 0, v4
	v_not_b32_e32 v4, v5
	v_xor_b32_e32 v6, s16, v6
	v_cmp_gt_i32_e64 s16, 0, v5
	v_and_b32_e32 v2, exec_lo, v2
	v_not_b32_e32 v5, v7
	v_ashrrev_i32_e32 v4, 31, v4
	v_xor_b32_e32 v3, vcc_lo, v3
	v_cmp_gt_i32_e32 vcc_lo, 0, v7
	v_and_b32_e32 v2, v2, v6
	v_not_b32_e32 v6, v10
	v_ashrrev_i32_e32 v5, 31, v5
	v_xor_b32_e32 v4, s16, v4
	v_lshlrev_b32_e32 v0, 24, v0
	v_and_b32_e32 v2, v2, v3
	v_cmp_gt_i32_e64 s16, 0, v10
	v_not_b32_e32 v3, v11
	v_ashrrev_i32_e32 v6, 31, v6
	v_xor_b32_e32 v5, vcc_lo, v5
	v_and_b32_e32 v2, v2, v4
	v_cmp_gt_i32_e32 vcc_lo, 0, v11
	v_not_b32_e32 v4, v0
	v_ashrrev_i32_e32 v3, 31, v3
	v_xor_b32_e32 v6, s16, v6
	v_and_b32_e32 v2, v2, v5
	v_lshlrev_b32_e32 v1, 3, v1
	v_cmp_gt_i32_e64 s16, 0, v0
	v_ashrrev_i32_e32 v0, 31, v4
	v_xor_b32_e32 v3, vcc_lo, v3
	v_and_b32_e32 v2, v2, v6
	v_add_lshl_u32 v1, v1, v45, 2
	s_delay_alu instid0(VALU_DEP_4) | instskip(NEXT) | instid1(VALU_DEP_3)
	v_xor_b32_e32 v0, s16, v0
	v_and_b32_e32 v2, v2, v3
	ds_load_b32 v10, v1 offset:32
	v_add_nc_u32_e32 v12, 32, v1
	; wave barrier
	v_and_b32_e32 v0, v2, v0
	s_delay_alu instid0(VALU_DEP_1) | instskip(SKIP_1) | instid1(VALU_DEP_2)
	v_mbcnt_lo_u32_b32 v11, v0, 0
	v_cmp_ne_u32_e64 s16, 0, v0
	v_cmp_eq_u32_e32 vcc_lo, 0, v11
	s_delay_alu instid0(VALU_DEP_2) | instskip(NEXT) | instid1(SALU_CYCLE_1)
	s_and_b32 s28, s16, vcc_lo
	s_and_saveexec_b32 s16, s28
	s_cbranch_execz .LBB317_8
; %bb.7:                                ;   in Loop: Header=BB317_4 Depth=2
	s_waitcnt lgkmcnt(0)
	v_bcnt_u32_b32 v0, v0, v10
	ds_store_b32 v12, v0
.LBB317_8:                              ;   in Loop: Header=BB317_4 Depth=2
	s_or_b32 exec_lo, exec_lo, s16
	v_lshrrev_b64 v[0:1], s26, v[29:30]
	; wave barrier
	s_delay_alu instid0(VALU_DEP_1)
	v_and_b32_e32 v2, 1, v0
	v_lshlrev_b32_e32 v3, 30, v0
	v_lshlrev_b32_e32 v4, 29, v0
	;; [unrolled: 1-line block ×4, first 2 shown]
	v_add_co_u32 v2, s16, v2, -1
	s_delay_alu instid0(VALU_DEP_1)
	v_cndmask_b32_e64 v6, 0, 1, s16
	v_not_b32_e32 v15, v3
	v_cmp_gt_i32_e64 s16, 0, v3
	v_not_b32_e32 v3, v4
	v_lshlrev_b32_e32 v13, 26, v0
	v_cmp_ne_u32_e32 vcc_lo, 0, v6
	v_ashrrev_i32_e32 v6, 31, v15
	v_lshlrev_b32_e32 v14, 25, v0
	v_ashrrev_i32_e32 v3, 31, v3
	v_and_b32_e32 v1, 0xff, v0
	v_xor_b32_e32 v2, vcc_lo, v2
	v_cmp_gt_i32_e32 vcc_lo, 0, v4
	v_not_b32_e32 v4, v5
	v_xor_b32_e32 v6, s16, v6
	v_cmp_gt_i32_e64 s16, 0, v5
	v_and_b32_e32 v2, exec_lo, v2
	v_not_b32_e32 v5, v7
	v_ashrrev_i32_e32 v4, 31, v4
	v_xor_b32_e32 v3, vcc_lo, v3
	v_cmp_gt_i32_e32 vcc_lo, 0, v7
	v_and_b32_e32 v2, v2, v6
	v_not_b32_e32 v6, v13
	v_ashrrev_i32_e32 v5, 31, v5
	v_xor_b32_e32 v4, s16, v4
	v_lshlrev_b32_e32 v0, 24, v0
	v_and_b32_e32 v2, v2, v3
	v_cmp_gt_i32_e64 s16, 0, v13
	v_not_b32_e32 v3, v14
	v_ashrrev_i32_e32 v6, 31, v6
	v_xor_b32_e32 v5, vcc_lo, v5
	v_and_b32_e32 v2, v2, v4
	v_cmp_gt_i32_e32 vcc_lo, 0, v14
	v_not_b32_e32 v4, v0
	v_ashrrev_i32_e32 v3, 31, v3
	v_xor_b32_e32 v6, s16, v6
	v_and_b32_e32 v2, v2, v5
	v_lshlrev_b32_e32 v1, 3, v1
	v_cmp_gt_i32_e64 s16, 0, v0
	v_ashrrev_i32_e32 v0, 31, v4
	v_xor_b32_e32 v3, vcc_lo, v3
	v_and_b32_e32 v2, v2, v6
	v_add_lshl_u32 v1, v1, v45, 2
	s_delay_alu instid0(VALU_DEP_4) | instskip(NEXT) | instid1(VALU_DEP_3)
	v_xor_b32_e32 v0, s16, v0
	v_and_b32_e32 v2, v2, v3
	ds_load_b32 v13, v1 offset:32
	v_add_nc_u32_e32 v15, 32, v1
	; wave barrier
	v_and_b32_e32 v0, v2, v0
	s_delay_alu instid0(VALU_DEP_1) | instskip(SKIP_1) | instid1(VALU_DEP_2)
	v_mbcnt_lo_u32_b32 v14, v0, 0
	v_cmp_ne_u32_e64 s16, 0, v0
	v_cmp_eq_u32_e32 vcc_lo, 0, v14
	s_delay_alu instid0(VALU_DEP_2) | instskip(NEXT) | instid1(SALU_CYCLE_1)
	s_and_b32 s28, s16, vcc_lo
	s_and_saveexec_b32 s16, s28
	s_cbranch_execz .LBB317_10
; %bb.9:                                ;   in Loop: Header=BB317_4 Depth=2
	s_waitcnt lgkmcnt(0)
	v_bcnt_u32_b32 v0, v0, v13
	ds_store_b32 v15, v0
.LBB317_10:                             ;   in Loop: Header=BB317_4 Depth=2
	s_or_b32 exec_lo, exec_lo, s16
	v_lshrrev_b64 v[0:1], s26, v[27:28]
	; wave barrier
	s_delay_alu instid0(VALU_DEP_1)
	v_and_b32_e32 v2, 1, v0
	v_lshlrev_b32_e32 v3, 30, v0
	v_lshlrev_b32_e32 v4, 29, v0
	;; [unrolled: 1-line block ×4, first 2 shown]
	v_add_co_u32 v2, s16, v2, -1
	s_delay_alu instid0(VALU_DEP_1)
	v_cndmask_b32_e64 v6, 0, 1, s16
	v_not_b32_e32 v48, v3
	v_cmp_gt_i32_e64 s16, 0, v3
	v_not_b32_e32 v3, v4
	v_lshlrev_b32_e32 v46, 26, v0
	v_cmp_ne_u32_e32 vcc_lo, 0, v6
	v_ashrrev_i32_e32 v6, 31, v48
	v_lshlrev_b32_e32 v47, 25, v0
	v_ashrrev_i32_e32 v3, 31, v3
	v_and_b32_e32 v1, 0xff, v0
	v_xor_b32_e32 v2, vcc_lo, v2
	v_cmp_gt_i32_e32 vcc_lo, 0, v4
	v_not_b32_e32 v4, v5
	v_xor_b32_e32 v6, s16, v6
	v_cmp_gt_i32_e64 s16, 0, v5
	v_and_b32_e32 v2, exec_lo, v2
	v_not_b32_e32 v5, v7
	v_ashrrev_i32_e32 v4, 31, v4
	v_xor_b32_e32 v3, vcc_lo, v3
	v_cmp_gt_i32_e32 vcc_lo, 0, v7
	v_and_b32_e32 v2, v2, v6
	v_not_b32_e32 v6, v46
	v_ashrrev_i32_e32 v5, 31, v5
	v_xor_b32_e32 v4, s16, v4
	v_lshlrev_b32_e32 v0, 24, v0
	v_and_b32_e32 v2, v2, v3
	v_cmp_gt_i32_e64 s16, 0, v46
	v_not_b32_e32 v3, v47
	v_ashrrev_i32_e32 v6, 31, v6
	v_xor_b32_e32 v5, vcc_lo, v5
	v_and_b32_e32 v2, v2, v4
	v_cmp_gt_i32_e32 vcc_lo, 0, v47
	v_not_b32_e32 v4, v0
	v_ashrrev_i32_e32 v3, 31, v3
	v_xor_b32_e32 v6, s16, v6
	v_and_b32_e32 v2, v2, v5
	v_lshlrev_b32_e32 v1, 3, v1
	v_cmp_gt_i32_e64 s16, 0, v0
	v_ashrrev_i32_e32 v0, 31, v4
	v_xor_b32_e32 v3, vcc_lo, v3
	v_and_b32_e32 v2, v2, v6
	v_add_lshl_u32 v1, v1, v45, 2
	s_delay_alu instid0(VALU_DEP_4) | instskip(NEXT) | instid1(VALU_DEP_3)
	v_xor_b32_e32 v0, s16, v0
	v_and_b32_e32 v2, v2, v3
	ds_load_b32 v46, v1 offset:32
	v_add_nc_u32_e32 v48, 32, v1
	; wave barrier
	v_and_b32_e32 v0, v2, v0
	s_delay_alu instid0(VALU_DEP_1) | instskip(SKIP_1) | instid1(VALU_DEP_2)
	v_mbcnt_lo_u32_b32 v47, v0, 0
	v_cmp_ne_u32_e64 s16, 0, v0
	v_cmp_eq_u32_e32 vcc_lo, 0, v47
	s_delay_alu instid0(VALU_DEP_2) | instskip(NEXT) | instid1(SALU_CYCLE_1)
	s_and_b32 s28, s16, vcc_lo
	s_and_saveexec_b32 s16, s28
	s_cbranch_execz .LBB317_12
; %bb.11:                               ;   in Loop: Header=BB317_4 Depth=2
	s_waitcnt lgkmcnt(0)
	v_bcnt_u32_b32 v0, v0, v46
	ds_store_b32 v48, v0
.LBB317_12:                             ;   in Loop: Header=BB317_4 Depth=2
	s_or_b32 exec_lo, exec_lo, s16
	; wave barrier
	s_waitcnt lgkmcnt(0)
	s_barrier
	buffer_gl0_inv
	ds_load_2addr_b64 v[4:7], v33 offset0:4 offset1:5
	ds_load_2addr_b64 v[0:3], v39 offset0:2 offset1:3
	s_waitcnt lgkmcnt(1)
	v_add_nc_u32_e32 v49, v5, v4
	s_delay_alu instid0(VALU_DEP_1) | instskip(SKIP_1) | instid1(VALU_DEP_1)
	v_add3_u32 v49, v49, v6, v7
	s_waitcnt lgkmcnt(0)
	v_add3_u32 v49, v49, v0, v1
	s_delay_alu instid0(VALU_DEP_1) | instskip(NEXT) | instid1(VALU_DEP_1)
	v_add3_u32 v3, v49, v2, v3
	v_mov_b32_dpp v49, v3 row_shr:1 row_mask:0xf bank_mask:0xf
	s_delay_alu instid0(VALU_DEP_1) | instskip(NEXT) | instid1(VALU_DEP_1)
	v_cndmask_b32_e64 v49, v49, 0, s4
	v_add_nc_u32_e32 v3, v49, v3
	s_delay_alu instid0(VALU_DEP_1) | instskip(NEXT) | instid1(VALU_DEP_1)
	v_mov_b32_dpp v49, v3 row_shr:2 row_mask:0xf bank_mask:0xf
	v_cndmask_b32_e64 v49, 0, v49, s5
	s_delay_alu instid0(VALU_DEP_1) | instskip(NEXT) | instid1(VALU_DEP_1)
	v_add_nc_u32_e32 v3, v3, v49
	v_mov_b32_dpp v49, v3 row_shr:4 row_mask:0xf bank_mask:0xf
	s_delay_alu instid0(VALU_DEP_1) | instskip(NEXT) | instid1(VALU_DEP_1)
	v_cndmask_b32_e64 v49, 0, v49, s6
	v_add_nc_u32_e32 v3, v3, v49
	s_delay_alu instid0(VALU_DEP_1) | instskip(NEXT) | instid1(VALU_DEP_1)
	v_mov_b32_dpp v49, v3 row_shr:8 row_mask:0xf bank_mask:0xf
	v_cndmask_b32_e64 v49, 0, v49, s7
	s_delay_alu instid0(VALU_DEP_1) | instskip(SKIP_3) | instid1(VALU_DEP_1)
	v_add_nc_u32_e32 v3, v3, v49
	ds_swizzle_b32 v49, v3 offset:swizzle(BROADCAST,32,15)
	s_waitcnt lgkmcnt(0)
	v_cndmask_b32_e64 v49, v49, 0, s8
	v_add_nc_u32_e32 v3, v3, v49
	s_and_saveexec_b32 s16, s15
	s_cbranch_execz .LBB317_14
; %bb.13:                               ;   in Loop: Header=BB317_4 Depth=2
	ds_store_b32 v40, v3
.LBB317_14:                             ;   in Loop: Header=BB317_4 Depth=2
	s_or_b32 exec_lo, exec_lo, s16
	s_waitcnt lgkmcnt(0)
	s_barrier
	buffer_gl0_inv
	s_and_saveexec_b32 s16, s9
	s_cbranch_execz .LBB317_16
; %bb.15:                               ;   in Loop: Header=BB317_4 Depth=2
	ds_load_b32 v49, v42
	s_waitcnt lgkmcnt(0)
	v_mov_b32_dpp v50, v49 row_shr:1 row_mask:0xf bank_mask:0xf
	s_delay_alu instid0(VALU_DEP_1) | instskip(NEXT) | instid1(VALU_DEP_1)
	v_cndmask_b32_e64 v50, v50, 0, s12
	v_add_nc_u32_e32 v49, v50, v49
	s_delay_alu instid0(VALU_DEP_1) | instskip(NEXT) | instid1(VALU_DEP_1)
	v_mov_b32_dpp v50, v49 row_shr:2 row_mask:0xf bank_mask:0xf
	v_cndmask_b32_e64 v50, 0, v50, s13
	s_delay_alu instid0(VALU_DEP_1) | instskip(NEXT) | instid1(VALU_DEP_1)
	v_add_nc_u32_e32 v49, v49, v50
	v_mov_b32_dpp v50, v49 row_shr:4 row_mask:0xf bank_mask:0xf
	s_delay_alu instid0(VALU_DEP_1) | instskip(NEXT) | instid1(VALU_DEP_1)
	v_cndmask_b32_e64 v50, 0, v50, s14
	v_add_nc_u32_e32 v49, v49, v50
	ds_store_b32 v42, v49
.LBB317_16:                             ;   in Loop: Header=BB317_4 Depth=2
	s_or_b32 exec_lo, exec_lo, s16
	v_mov_b32_e32 v49, 0
	s_waitcnt lgkmcnt(0)
	s_barrier
	buffer_gl0_inv
	s_and_saveexec_b32 s16, s10
	s_cbranch_execz .LBB317_18
; %bb.17:                               ;   in Loop: Header=BB317_4 Depth=2
	ds_load_b32 v49, v43
.LBB317_18:                             ;   in Loop: Header=BB317_4 Depth=2
	s_or_b32 exec_lo, exec_lo, s16
	s_waitcnt lgkmcnt(0)
	v_add_nc_u32_e32 v3, v49, v3
	s_cmp_gt_u32 s26, 55
	ds_bpermute_b32 v3, v41, v3
	s_waitcnt lgkmcnt(0)
	v_cndmask_b32_e64 v3, v3, v49, s0
	s_delay_alu instid0(VALU_DEP_1) | instskip(NEXT) | instid1(VALU_DEP_1)
	v_cndmask_b32_e64 v3, v3, 0, s11
	v_add_nc_u32_e32 v4, v3, v4
	s_delay_alu instid0(VALU_DEP_1) | instskip(NEXT) | instid1(VALU_DEP_1)
	v_add_nc_u32_e32 v5, v4, v5
	v_add_nc_u32_e32 v6, v5, v6
	s_delay_alu instid0(VALU_DEP_1) | instskip(NEXT) | instid1(VALU_DEP_1)
	v_add_nc_u32_e32 v49, v6, v7
	;; [unrolled: 3-line block ×3, first 2 shown]
	v_add_nc_u32_e32 v1, v0, v2
	ds_store_2addr_b64 v33, v[3:4], v[5:6] offset0:4 offset1:5
	ds_store_2addr_b64 v39, v[49:50], v[0:1] offset0:2 offset1:3
	s_waitcnt lgkmcnt(0)
	s_barrier
	buffer_gl0_inv
	ds_load_b32 v0, v9
	ds_load_b32 v1, v12
	;; [unrolled: 1-line block ×4, first 2 shown]
	s_waitcnt lgkmcnt(3)
	v_add_nc_u32_e32 v50, v0, v8
	s_waitcnt lgkmcnt(2)
	v_add3_u32 v49, v11, v10, v1
	s_waitcnt lgkmcnt(1)
	v_add3_u32 v48, v14, v13, v2
	;; [unrolled: 2-line block ×3, first 2 shown]
	s_cbranch_scc0 .LBB317_3
; %bb.19:                               ;   in Loop: Header=BB317_2 Depth=1
                                        ; implicit-def: $vgpr6_vgpr7
                                        ; implicit-def: $vgpr2_vgpr3
                                        ; implicit-def: $vgpr8_vgpr9
                                        ; implicit-def: $vgpr12_vgpr13
                                        ; implicit-def: $sgpr26_sgpr27
	s_branch .LBB317_1
.LBB317_20:
	s_waitcnt lgkmcnt(1)
	v_add_co_u32 v0, vcc_lo, v14, v6
	v_lshlrev_b32_e32 v14, 3, v18
	v_add_co_ci_u32_e32 v1, vcc_lo, v15, v7, vcc_lo
	s_add_u32 s0, s18, s20
	v_add_co_u32 v6, vcc_lo, v16, v8
	s_addc_u32 s1, s19, s21
	v_add_co_u32 v8, s2, s0, v14
	v_add_co_ci_u32_e32 v7, vcc_lo, v17, v9, vcc_lo
	v_add_co_ci_u32_e64 v9, null, s1, 0, s2
	s_waitcnt lgkmcnt(0)
	v_add_co_u32 v2, vcc_lo, v10, v2
	v_add_co_ci_u32_e32 v3, vcc_lo, v11, v3, vcc_lo
	v_add_co_u32 v8, vcc_lo, 0x1000, v8
	v_add_co_ci_u32_e32 v9, vcc_lo, 0, v9, vcc_lo
	;; [unrolled: 2-line block ×3, first 2 shown]
	s_clause 0x3
	global_store_b64 v14, v[0:1], s[0:1]
	global_store_b64 v14, v[6:7], s[0:1] offset:2048
	global_store_b64 v[8:9], v[2:3], off
	global_store_b64 v[8:9], v[4:5], off offset:2048
	s_nop 0
	s_sendmsg sendmsg(MSG_DEALLOC_VGPRS)
	s_endpgm
	.section	.rodata,"a",@progbits
	.p2align	6, 0x0
	.amdhsa_kernel _Z17sort_pairs_kernelI22helper_blocked_stripedxLj256ELj4ELj10EEvPKT0_PS1_
		.amdhsa_group_segment_fixed_size 8224
		.amdhsa_private_segment_fixed_size 0
		.amdhsa_kernarg_size 272
		.amdhsa_user_sgpr_count 15
		.amdhsa_user_sgpr_dispatch_ptr 0
		.amdhsa_user_sgpr_queue_ptr 0
		.amdhsa_user_sgpr_kernarg_segment_ptr 1
		.amdhsa_user_sgpr_dispatch_id 0
		.amdhsa_user_sgpr_private_segment_size 0
		.amdhsa_wavefront_size32 1
		.amdhsa_uses_dynamic_stack 0
		.amdhsa_enable_private_segment 0
		.amdhsa_system_sgpr_workgroup_id_x 1
		.amdhsa_system_sgpr_workgroup_id_y 0
		.amdhsa_system_sgpr_workgroup_id_z 0
		.amdhsa_system_sgpr_workgroup_info 0
		.amdhsa_system_vgpr_workitem_id 2
		.amdhsa_next_free_vgpr 53
		.amdhsa_next_free_sgpr 29
		.amdhsa_reserve_vcc 1
		.amdhsa_float_round_mode_32 0
		.amdhsa_float_round_mode_16_64 0
		.amdhsa_float_denorm_mode_32 3
		.amdhsa_float_denorm_mode_16_64 3
		.amdhsa_dx10_clamp 1
		.amdhsa_ieee_mode 1
		.amdhsa_fp16_overflow 0
		.amdhsa_workgroup_processor_mode 1
		.amdhsa_memory_ordered 1
		.amdhsa_forward_progress 0
		.amdhsa_shared_vgpr_count 0
		.amdhsa_exception_fp_ieee_invalid_op 0
		.amdhsa_exception_fp_denorm_src 0
		.amdhsa_exception_fp_ieee_div_zero 0
		.amdhsa_exception_fp_ieee_overflow 0
		.amdhsa_exception_fp_ieee_underflow 0
		.amdhsa_exception_fp_ieee_inexact 0
		.amdhsa_exception_int_div_zero 0
	.end_amdhsa_kernel
	.section	.text._Z17sort_pairs_kernelI22helper_blocked_stripedxLj256ELj4ELj10EEvPKT0_PS1_,"axG",@progbits,_Z17sort_pairs_kernelI22helper_blocked_stripedxLj256ELj4ELj10EEvPKT0_PS1_,comdat
.Lfunc_end317:
	.size	_Z17sort_pairs_kernelI22helper_blocked_stripedxLj256ELj4ELj10EEvPKT0_PS1_, .Lfunc_end317-_Z17sort_pairs_kernelI22helper_blocked_stripedxLj256ELj4ELj10EEvPKT0_PS1_
                                        ; -- End function
	.section	.AMDGPU.csdata,"",@progbits
; Kernel info:
; codeLenInByte = 4112
; NumSgprs: 31
; NumVgprs: 53
; ScratchSize: 0
; MemoryBound: 0
; FloatMode: 240
; IeeeMode: 1
; LDSByteSize: 8224 bytes/workgroup (compile time only)
; SGPRBlocks: 3
; VGPRBlocks: 6
; NumSGPRsForWavesPerEU: 31
; NumVGPRsForWavesPerEU: 53
; Occupancy: 16
; WaveLimiterHint : 1
; COMPUTE_PGM_RSRC2:SCRATCH_EN: 0
; COMPUTE_PGM_RSRC2:USER_SGPR: 15
; COMPUTE_PGM_RSRC2:TRAP_HANDLER: 0
; COMPUTE_PGM_RSRC2:TGID_X_EN: 1
; COMPUTE_PGM_RSRC2:TGID_Y_EN: 0
; COMPUTE_PGM_RSRC2:TGID_Z_EN: 0
; COMPUTE_PGM_RSRC2:TIDIG_COMP_CNT: 2
	.section	.text._Z16sort_keys_kernelI22helper_blocked_stripedxLj256ELj8ELj10EEvPKT0_PS1_,"axG",@progbits,_Z16sort_keys_kernelI22helper_blocked_stripedxLj256ELj8ELj10EEvPKT0_PS1_,comdat
	.protected	_Z16sort_keys_kernelI22helper_blocked_stripedxLj256ELj8ELj10EEvPKT0_PS1_ ; -- Begin function _Z16sort_keys_kernelI22helper_blocked_stripedxLj256ELj8ELj10EEvPKT0_PS1_
	.globl	_Z16sort_keys_kernelI22helper_blocked_stripedxLj256ELj8ELj10EEvPKT0_PS1_
	.p2align	8
	.type	_Z16sort_keys_kernelI22helper_blocked_stripedxLj256ELj8ELj10EEvPKT0_PS1_,@function
_Z16sort_keys_kernelI22helper_blocked_stripedxLj256ELj8ELj10EEvPKT0_PS1_: ; @_Z16sort_keys_kernelI22helper_blocked_stripedxLj256ELj8ELj10EEvPKT0_PS1_
; %bb.0:
	s_clause 0x1
	s_load_b128 s[16:19], s[0:1], 0x0
	s_load_b32 s2, s[0:1], 0x1c
	v_and_b32_e32 v17, 0x3ff, v0
	s_mov_b32 s21, 0
	s_lshl_b32 s20, s15, 11
	v_mbcnt_lo_u32_b32 v20, -1, 0
	s_lshl_b64 s[14:15], s[20:21], 3
	v_lshlrev_b32_e32 v13, 6, v17
	v_bfe_u32 v18, v0, 10, 10
	v_bfe_u32 v0, v0, 20, 10
	v_lshlrev_b32_e32 v32, 3, v17
	v_and_b32_e32 v21, 0xe0, v17
	v_lshlrev_b32_e32 v33, 5, v17
	v_cmp_gt_u32_e64 s6, 8, v17
	v_cmp_lt_u32_e64 s7, 31, v17
	v_cmp_eq_u32_e64 s9, 0, v17
	v_or_b32_e32 v22, v20, v21
	v_or_b32_e32 v21, 31, v21
	v_mad_i32_i24 v40, 0xffffffe4, v17, v33
	v_add_nc_u32_e32 v36, 32, v33
	s_waitcnt lgkmcnt(0)
	s_add_u32 s0, s16, s14
	s_addc_u32 s1, s17, s15
	v_cmp_eq_u32_e64 s5, v21, v17
	s_clause 0x3
	global_load_b128 v[1:4], v13, s[0:1] offset:48
	global_load_b128 v[5:8], v13, s[0:1] offset:32
	;; [unrolled: 1-line block ×3, first 2 shown]
	global_load_b128 v[13:16], v13, s[0:1]
	s_lshr_b32 s0, s2, 16
	v_lshlrev_b32_e32 v34, 6, v22
	v_mad_u32_u24 v0, v0, s0, v18
	s_and_b32 s0, s2, 0xffff
	v_cmp_eq_u32_e64 s8, 0, v20
	s_mov_b32 s20, s21
	s_mov_b32 s16, s21
	v_mad_u64_u32 v[18:19], null, v0, s0, v[17:18]
	v_and_or_b32 v0, 0x700, v32, v20
	v_and_b32_e32 v19, 15, v20
	s_mov_b32 s17, s21
	s_mov_b32 s24, s21
	s_delay_alu instid0(VALU_DEP_2) | instskip(NEXT) | instid1(VALU_DEP_4)
	v_lshlrev_b32_e32 v35, 3, v0
	v_lshrrev_b32_e32 v37, 5, v18
	v_add_nc_u32_e32 v18, -1, v20
	v_and_b32_e32 v0, 16, v20
	v_cmp_eq_u32_e64 s0, 0, v19
	v_cmp_lt_u32_e64 s1, 1, v19
	v_cmp_lt_u32_e64 s2, 3, v19
	v_cmp_gt_i32_e32 vcc_lo, 0, v18
	v_cmp_eq_u32_e64 s4, 0, v0
	v_cmp_lt_u32_e64 s3, 7, v19
	v_cndmask_b32_e32 v0, v18, v20, vcc_lo
	v_lshrrev_b32_e32 v18, 3, v17
	v_lshlrev_b32_e32 v17, 2, v17
	s_delay_alu instid0(VALU_DEP_3) | instskip(SKIP_1) | instid1(VALU_DEP_4)
	v_lshlrev_b32_e32 v38, 2, v0
	v_and_b32_e32 v0, 7, v20
	v_and_b32_e32 v39, 28, v18
	s_delay_alu instid0(VALU_DEP_4) | instskip(NEXT) | instid1(VALU_DEP_3)
	v_add_nc_u32_e32 v42, v40, v17
	v_cmp_eq_u32_e64 s10, 0, v0
	v_cmp_lt_u32_e64 s11, 1, v0
	v_cmp_lt_u32_e64 s12, 3, v0
	v_add_nc_u32_e32 v41, -4, v39
	s_branch .LBB318_2
.LBB318_1:                              ;   in Loop: Header=BB318_2 Depth=1
	v_lshlrev_b32_e32 v0, 3, v57
	v_lshlrev_b32_e32 v1, 3, v54
	;; [unrolled: 1-line block ×3, first 2 shown]
	s_barrier
	buffer_gl0_inv
	ds_store_b64 v0, v[16:17]
	ds_store_b64 v1, v[30:31]
	;; [unrolled: 1-line block ×3, first 2 shown]
	v_lshlrev_b32_e32 v0, 3, v48
	v_lshlrev_b32_e32 v1, 3, v46
	;; [unrolled: 1-line block ×5, first 2 shown]
	ds_store_b64 v0, v[26:27]
	ds_store_b64 v1, v[24:25]
	;; [unrolled: 1-line block ×5, first 2 shown]
	s_waitcnt lgkmcnt(0)
	s_barrier
	buffer_gl0_inv
	ds_load_2addr_stride64_b64 v[13:16], v42 offset1:4
	ds_load_2addr_stride64_b64 v[9:12], v42 offset0:8 offset1:12
	ds_load_2addr_stride64_b64 v[5:8], v42 offset0:16 offset1:20
	;; [unrolled: 1-line block ×3, first 2 shown]
	s_add_i32 s24, s24, 1
	s_delay_alu instid0(SALU_CYCLE_1)
	s_cmp_eq_u32 s24, 10
	s_waitcnt lgkmcnt(3)
	v_xor_b32_e32 v14, 0x80000000, v14
	v_xor_b32_e32 v16, 0x80000000, v16
	s_waitcnt lgkmcnt(2)
	v_xor_b32_e32 v10, 0x80000000, v10
	v_xor_b32_e32 v12, 0x80000000, v12
	;; [unrolled: 3-line block ×4, first 2 shown]
	s_cbranch_scc1 .LBB318_28
.LBB318_2:                              ; =>This Loop Header: Depth=1
                                        ;     Child Loop BB318_4 Depth 2
	s_waitcnt vmcnt(0)
	v_xor_b32_e32 v14, 0x80000000, v14
	v_xor_b32_e32 v16, 0x80000000, v16
	;; [unrolled: 1-line block ×8, first 2 shown]
	ds_store_2addr_b64 v34, v[13:14], v[15:16] offset1:1
	ds_store_2addr_b64 v34, v[9:10], v[11:12] offset0:2 offset1:3
	ds_store_2addr_b64 v34, v[5:6], v[7:8] offset0:4 offset1:5
	;; [unrolled: 1-line block ×3, first 2 shown]
	; wave barrier
	ds_load_2addr_b64 v[0:3], v35 offset1:32
	ds_load_2addr_b64 v[4:7], v35 offset0:64 offset1:96
	ds_load_2addr_b64 v[8:11], v35 offset0:128 offset1:160
	;; [unrolled: 1-line block ×3, first 2 shown]
	s_mov_b64 s[22:23], 0
	s_waitcnt lgkmcnt(0)
	s_barrier
	buffer_gl0_inv
	; wave barrier
	s_barrier
	s_branch .LBB318_4
.LBB318_3:                              ;   in Loop: Header=BB318_4 Depth=2
	v_lshlrev_b32_e32 v0, 3, v57
	v_lshlrev_b32_e32 v1, 3, v54
	;; [unrolled: 1-line block ×3, first 2 shown]
	s_barrier
	buffer_gl0_inv
	ds_store_b64 v0, v[16:17]
	ds_store_b64 v1, v[30:31]
	;; [unrolled: 1-line block ×3, first 2 shown]
	v_lshlrev_b32_e32 v0, 3, v48
	v_lshlrev_b32_e32 v1, 3, v46
	;; [unrolled: 1-line block ×5, first 2 shown]
	ds_store_b64 v0, v[26:27]
	ds_store_b64 v1, v[24:25]
	;; [unrolled: 1-line block ×5, first 2 shown]
	s_waitcnt lgkmcnt(0)
	s_barrier
	buffer_gl0_inv
	ds_load_2addr_b64 v[0:3], v35 offset1:32
	ds_load_2addr_b64 v[4:7], v35 offset0:64 offset1:96
	ds_load_2addr_b64 v[8:11], v35 offset0:128 offset1:160
	;; [unrolled: 1-line block ×3, first 2 shown]
	s_add_u32 s22, s22, 8
	s_addc_u32 s23, s23, 0
	s_waitcnt lgkmcnt(0)
	s_barrier
	s_cbranch_execz .LBB318_1
.LBB318_4:                              ;   Parent Loop BB318_2 Depth=1
                                        ; =>  This Inner Loop Header: Depth=2
	v_dual_mov_b32 v17, v1 :: v_dual_mov_b32 v16, v0
	buffer_gl0_inv
	v_mov_b32_e32 v27, v7
	v_dual_mov_b32 v29, v5 :: v_dual_mov_b32 v28, v4
	v_lshrrev_b64 v[43:44], s22, v[16:17]
	v_mov_b32_e32 v4, s20
	v_mov_b32_e32 v26, v6
	v_dual_mov_b32 v6, s16 :: v_dual_mov_b32 v5, s21
	s_delay_alu instid0(VALU_DEP_4)
	v_dual_mov_b32 v7, s17 :: v_dual_and_b32 v0, 1, v43
	v_lshlrev_b32_e32 v1, 30, v43
	v_lshlrev_b32_e32 v18, 29, v43
	;; [unrolled: 1-line block ×4, first 2 shown]
	v_add_co_u32 v0, s13, v0, -1
	s_delay_alu instid0(VALU_DEP_1)
	v_cndmask_b32_e64 v20, 0, 1, s13
	v_not_b32_e32 v24, v1
	v_cmp_gt_i32_e64 s13, 0, v1
	v_not_b32_e32 v1, v18
	v_lshlrev_b32_e32 v22, 26, v43
	v_cmp_ne_u32_e32 vcc_lo, 0, v20
	v_ashrrev_i32_e32 v24, 31, v24
	v_lshlrev_b32_e32 v23, 25, v43
	v_ashrrev_i32_e32 v1, 31, v1
	v_lshlrev_b32_e32 v20, 24, v43
	v_xor_b32_e32 v0, vcc_lo, v0
	v_cmp_gt_i32_e32 vcc_lo, 0, v18
	v_not_b32_e32 v18, v19
	v_xor_b32_e32 v24, s13, v24
	v_cmp_gt_i32_e64 s13, 0, v19
	v_and_b32_e32 v0, exec_lo, v0
	v_not_b32_e32 v19, v21
	v_ashrrev_i32_e32 v18, 31, v18
	v_xor_b32_e32 v1, vcc_lo, v1
	v_cmp_gt_i32_e32 vcc_lo, 0, v21
	v_and_b32_e32 v0, v0, v24
	v_not_b32_e32 v21, v22
	v_ashrrev_i32_e32 v19, 31, v19
	v_xor_b32_e32 v18, s13, v18
	v_cmp_gt_i32_e64 s13, 0, v22
	v_and_b32_e32 v0, v0, v1
	v_not_b32_e32 v1, v23
	v_ashrrev_i32_e32 v21, 31, v21
	v_xor_b32_e32 v19, vcc_lo, v19
	v_cmp_gt_i32_e32 vcc_lo, 0, v23
	v_and_b32_e32 v0, v0, v18
	v_ashrrev_i32_e32 v1, 31, v1
	v_xor_b32_e32 v21, s13, v21
	v_mov_b32_e32 v23, v11
	v_not_b32_e32 v18, v20
	v_dual_mov_b32 v31, v3 :: v_dual_and_b32 v0, v0, v19
	v_cmp_gt_i32_e64 s13, 0, v20
	v_xor_b32_e32 v1, vcc_lo, v1
	s_delay_alu instid0(VALU_DEP_4) | instskip(NEXT) | instid1(VALU_DEP_4)
	v_ashrrev_i32_e32 v24, 31, v18
	v_and_b32_e32 v0, v0, v21
	v_dual_mov_b32 v22, v10 :: v_dual_mov_b32 v19, v15
	v_mov_b32_e32 v21, v13
	s_delay_alu instid0(VALU_DEP_4) | instskip(NEXT) | instid1(VALU_DEP_4)
	v_xor_b32_e32 v10, s13, v24
	v_and_b32_e32 v0, v0, v1
	v_and_b32_e32 v1, 0xff, v43
	v_dual_mov_b32 v25, v9 :: v_dual_mov_b32 v24, v8
	v_mov_b32_e32 v18, v14
	s_delay_alu instid0(VALU_DEP_4) | instskip(NEXT) | instid1(VALU_DEP_4)
	v_and_b32_e32 v0, v0, v10
	v_lshl_add_u32 v1, v1, 3, v37
	v_mov_b32_e32 v20, v12
	v_mov_b32_e32 v30, v2
	ds_store_2addr_b64 v33, v[4:5], v[6:7] offset0:4 offset1:5
	ds_store_2addr_b64 v36, v[4:5], v[6:7] offset0:2 offset1:3
	v_mbcnt_lo_u32_b32 v8, v0, 0
	v_cmp_ne_u32_e64 s13, 0, v0
	v_lshl_add_u32 v9, v1, 2, 32
	s_waitcnt lgkmcnt(0)
	s_barrier
	v_cmp_eq_u32_e32 vcc_lo, 0, v8
	buffer_gl0_inv
	; wave barrier
	s_and_b32 s25, s13, vcc_lo
	s_delay_alu instid0(SALU_CYCLE_1)
	s_and_saveexec_b32 s13, s25
	s_cbranch_execz .LBB318_6
; %bb.5:                                ;   in Loop: Header=BB318_4 Depth=2
	v_bcnt_u32_b32 v0, v0, 0
	ds_store_b32 v9, v0
.LBB318_6:                              ;   in Loop: Header=BB318_4 Depth=2
	s_or_b32 exec_lo, exec_lo, s13
	v_lshrrev_b64 v[0:1], s22, v[30:31]
	; wave barrier
	s_delay_alu instid0(VALU_DEP_1)
	v_and_b32_e32 v2, 1, v0
	v_lshlrev_b32_e32 v3, 30, v0
	v_lshlrev_b32_e32 v4, 29, v0
	;; [unrolled: 1-line block ×4, first 2 shown]
	v_add_co_u32 v2, s13, v2, -1
	s_delay_alu instid0(VALU_DEP_1)
	v_cndmask_b32_e64 v6, 0, 1, s13
	v_not_b32_e32 v12, v3
	v_cmp_gt_i32_e64 s13, 0, v3
	v_not_b32_e32 v3, v4
	v_lshlrev_b32_e32 v10, 26, v0
	v_cmp_ne_u32_e32 vcc_lo, 0, v6
	v_ashrrev_i32_e32 v6, 31, v12
	v_lshlrev_b32_e32 v11, 25, v0
	v_ashrrev_i32_e32 v3, 31, v3
	v_and_b32_e32 v1, 0xff, v0
	v_xor_b32_e32 v2, vcc_lo, v2
	v_cmp_gt_i32_e32 vcc_lo, 0, v4
	v_not_b32_e32 v4, v5
	v_xor_b32_e32 v6, s13, v6
	v_cmp_gt_i32_e64 s13, 0, v5
	v_and_b32_e32 v2, exec_lo, v2
	v_not_b32_e32 v5, v7
	v_ashrrev_i32_e32 v4, 31, v4
	v_xor_b32_e32 v3, vcc_lo, v3
	v_cmp_gt_i32_e32 vcc_lo, 0, v7
	v_and_b32_e32 v2, v2, v6
	v_not_b32_e32 v6, v10
	v_ashrrev_i32_e32 v5, 31, v5
	v_xor_b32_e32 v4, s13, v4
	v_lshlrev_b32_e32 v0, 24, v0
	v_and_b32_e32 v2, v2, v3
	v_cmp_gt_i32_e64 s13, 0, v10
	v_not_b32_e32 v3, v11
	v_ashrrev_i32_e32 v6, 31, v6
	v_xor_b32_e32 v5, vcc_lo, v5
	v_and_b32_e32 v2, v2, v4
	v_cmp_gt_i32_e32 vcc_lo, 0, v11
	v_not_b32_e32 v4, v0
	v_ashrrev_i32_e32 v3, 31, v3
	v_xor_b32_e32 v6, s13, v6
	v_and_b32_e32 v2, v2, v5
	v_lshlrev_b32_e32 v1, 3, v1
	v_cmp_gt_i32_e64 s13, 0, v0
	v_ashrrev_i32_e32 v0, 31, v4
	v_xor_b32_e32 v3, vcc_lo, v3
	v_and_b32_e32 v2, v2, v6
	v_add_lshl_u32 v1, v1, v37, 2
	s_delay_alu instid0(VALU_DEP_4) | instskip(NEXT) | instid1(VALU_DEP_3)
	v_xor_b32_e32 v0, s13, v0
	v_and_b32_e32 v2, v2, v3
	ds_load_b32 v10, v1 offset:32
	v_add_nc_u32_e32 v12, 32, v1
	; wave barrier
	v_and_b32_e32 v0, v2, v0
	s_delay_alu instid0(VALU_DEP_1) | instskip(SKIP_1) | instid1(VALU_DEP_2)
	v_mbcnt_lo_u32_b32 v11, v0, 0
	v_cmp_ne_u32_e64 s13, 0, v0
	v_cmp_eq_u32_e32 vcc_lo, 0, v11
	s_delay_alu instid0(VALU_DEP_2) | instskip(NEXT) | instid1(SALU_CYCLE_1)
	s_and_b32 s25, s13, vcc_lo
	s_and_saveexec_b32 s13, s25
	s_cbranch_execz .LBB318_8
; %bb.7:                                ;   in Loop: Header=BB318_4 Depth=2
	s_waitcnt lgkmcnt(0)
	v_bcnt_u32_b32 v0, v0, v10
	ds_store_b32 v12, v0
.LBB318_8:                              ;   in Loop: Header=BB318_4 Depth=2
	s_or_b32 exec_lo, exec_lo, s13
	v_lshrrev_b64 v[0:1], s22, v[28:29]
	; wave barrier
	s_delay_alu instid0(VALU_DEP_1)
	v_and_b32_e32 v2, 1, v0
	v_lshlrev_b32_e32 v3, 30, v0
	v_lshlrev_b32_e32 v4, 29, v0
	;; [unrolled: 1-line block ×4, first 2 shown]
	v_add_co_u32 v2, s13, v2, -1
	s_delay_alu instid0(VALU_DEP_1)
	v_cndmask_b32_e64 v6, 0, 1, s13
	v_not_b32_e32 v15, v3
	v_cmp_gt_i32_e64 s13, 0, v3
	v_not_b32_e32 v3, v4
	v_lshlrev_b32_e32 v13, 26, v0
	v_cmp_ne_u32_e32 vcc_lo, 0, v6
	v_ashrrev_i32_e32 v6, 31, v15
	v_lshlrev_b32_e32 v14, 25, v0
	v_ashrrev_i32_e32 v3, 31, v3
	v_and_b32_e32 v1, 0xff, v0
	v_xor_b32_e32 v2, vcc_lo, v2
	v_cmp_gt_i32_e32 vcc_lo, 0, v4
	v_not_b32_e32 v4, v5
	v_xor_b32_e32 v6, s13, v6
	v_cmp_gt_i32_e64 s13, 0, v5
	v_and_b32_e32 v2, exec_lo, v2
	v_not_b32_e32 v5, v7
	v_ashrrev_i32_e32 v4, 31, v4
	v_xor_b32_e32 v3, vcc_lo, v3
	v_cmp_gt_i32_e32 vcc_lo, 0, v7
	v_and_b32_e32 v2, v2, v6
	v_not_b32_e32 v6, v13
	v_ashrrev_i32_e32 v5, 31, v5
	v_xor_b32_e32 v4, s13, v4
	v_lshlrev_b32_e32 v0, 24, v0
	v_and_b32_e32 v2, v2, v3
	v_cmp_gt_i32_e64 s13, 0, v13
	v_not_b32_e32 v3, v14
	v_ashrrev_i32_e32 v6, 31, v6
	v_xor_b32_e32 v5, vcc_lo, v5
	v_and_b32_e32 v2, v2, v4
	v_cmp_gt_i32_e32 vcc_lo, 0, v14
	v_not_b32_e32 v4, v0
	v_ashrrev_i32_e32 v3, 31, v3
	v_xor_b32_e32 v6, s13, v6
	v_and_b32_e32 v2, v2, v5
	v_lshlrev_b32_e32 v1, 3, v1
	v_cmp_gt_i32_e64 s13, 0, v0
	v_ashrrev_i32_e32 v0, 31, v4
	v_xor_b32_e32 v3, vcc_lo, v3
	v_and_b32_e32 v2, v2, v6
	v_add_lshl_u32 v1, v1, v37, 2
	s_delay_alu instid0(VALU_DEP_4) | instskip(NEXT) | instid1(VALU_DEP_3)
	v_xor_b32_e32 v0, s13, v0
	v_and_b32_e32 v2, v2, v3
	ds_load_b32 v13, v1 offset:32
	v_add_nc_u32_e32 v15, 32, v1
	; wave barrier
	v_and_b32_e32 v0, v2, v0
	s_delay_alu instid0(VALU_DEP_1) | instskip(SKIP_1) | instid1(VALU_DEP_2)
	v_mbcnt_lo_u32_b32 v14, v0, 0
	v_cmp_ne_u32_e64 s13, 0, v0
	v_cmp_eq_u32_e32 vcc_lo, 0, v14
	s_delay_alu instid0(VALU_DEP_2) | instskip(NEXT) | instid1(SALU_CYCLE_1)
	s_and_b32 s25, s13, vcc_lo
	s_and_saveexec_b32 s13, s25
	s_cbranch_execz .LBB318_10
; %bb.9:                                ;   in Loop: Header=BB318_4 Depth=2
	s_waitcnt lgkmcnt(0)
	v_bcnt_u32_b32 v0, v0, v13
	ds_store_b32 v15, v0
.LBB318_10:                             ;   in Loop: Header=BB318_4 Depth=2
	s_or_b32 exec_lo, exec_lo, s13
	v_lshrrev_b64 v[0:1], s22, v[26:27]
	; wave barrier
	s_delay_alu instid0(VALU_DEP_1)
	v_and_b32_e32 v2, 1, v0
	v_lshlrev_b32_e32 v3, 30, v0
	v_lshlrev_b32_e32 v4, 29, v0
	;; [unrolled: 1-line block ×4, first 2 shown]
	v_add_co_u32 v2, s13, v2, -1
	s_delay_alu instid0(VALU_DEP_1)
	v_cndmask_b32_e64 v6, 0, 1, s13
	v_not_b32_e32 v45, v3
	v_cmp_gt_i32_e64 s13, 0, v3
	v_not_b32_e32 v3, v4
	v_lshlrev_b32_e32 v43, 26, v0
	v_cmp_ne_u32_e32 vcc_lo, 0, v6
	v_ashrrev_i32_e32 v6, 31, v45
	v_lshlrev_b32_e32 v44, 25, v0
	v_ashrrev_i32_e32 v3, 31, v3
	v_and_b32_e32 v1, 0xff, v0
	v_xor_b32_e32 v2, vcc_lo, v2
	v_cmp_gt_i32_e32 vcc_lo, 0, v4
	v_not_b32_e32 v4, v5
	v_xor_b32_e32 v6, s13, v6
	v_cmp_gt_i32_e64 s13, 0, v5
	v_and_b32_e32 v2, exec_lo, v2
	v_not_b32_e32 v5, v7
	v_ashrrev_i32_e32 v4, 31, v4
	v_xor_b32_e32 v3, vcc_lo, v3
	v_cmp_gt_i32_e32 vcc_lo, 0, v7
	v_and_b32_e32 v2, v2, v6
	v_not_b32_e32 v6, v43
	v_ashrrev_i32_e32 v5, 31, v5
	v_xor_b32_e32 v4, s13, v4
	v_lshlrev_b32_e32 v0, 24, v0
	v_and_b32_e32 v2, v2, v3
	v_cmp_gt_i32_e64 s13, 0, v43
	v_not_b32_e32 v3, v44
	v_ashrrev_i32_e32 v6, 31, v6
	v_xor_b32_e32 v5, vcc_lo, v5
	v_and_b32_e32 v2, v2, v4
	v_cmp_gt_i32_e32 vcc_lo, 0, v44
	v_not_b32_e32 v4, v0
	v_ashrrev_i32_e32 v3, 31, v3
	v_xor_b32_e32 v6, s13, v6
	v_and_b32_e32 v2, v2, v5
	v_lshlrev_b32_e32 v1, 3, v1
	v_cmp_gt_i32_e64 s13, 0, v0
	v_ashrrev_i32_e32 v0, 31, v4
	v_xor_b32_e32 v3, vcc_lo, v3
	v_and_b32_e32 v2, v2, v6
	v_add_lshl_u32 v1, v1, v37, 2
	s_delay_alu instid0(VALU_DEP_4) | instskip(NEXT) | instid1(VALU_DEP_3)
	v_xor_b32_e32 v0, s13, v0
	v_and_b32_e32 v2, v2, v3
	ds_load_b32 v43, v1 offset:32
	v_add_nc_u32_e32 v45, 32, v1
	; wave barrier
	v_and_b32_e32 v0, v2, v0
	s_delay_alu instid0(VALU_DEP_1) | instskip(SKIP_1) | instid1(VALU_DEP_2)
	v_mbcnt_lo_u32_b32 v44, v0, 0
	v_cmp_ne_u32_e64 s13, 0, v0
	v_cmp_eq_u32_e32 vcc_lo, 0, v44
	s_delay_alu instid0(VALU_DEP_2) | instskip(NEXT) | instid1(SALU_CYCLE_1)
	s_and_b32 s25, s13, vcc_lo
	s_and_saveexec_b32 s13, s25
	s_cbranch_execz .LBB318_12
; %bb.11:                               ;   in Loop: Header=BB318_4 Depth=2
	s_waitcnt lgkmcnt(0)
	v_bcnt_u32_b32 v0, v0, v43
	ds_store_b32 v45, v0
.LBB318_12:                             ;   in Loop: Header=BB318_4 Depth=2
	s_or_b32 exec_lo, exec_lo, s13
	v_lshrrev_b64 v[0:1], s22, v[24:25]
	; wave barrier
	s_delay_alu instid0(VALU_DEP_1)
	v_and_b32_e32 v2, 1, v0
	v_lshlrev_b32_e32 v3, 30, v0
	v_lshlrev_b32_e32 v4, 29, v0
	;; [unrolled: 1-line block ×4, first 2 shown]
	v_add_co_u32 v2, s13, v2, -1
	s_delay_alu instid0(VALU_DEP_1)
	v_cndmask_b32_e64 v6, 0, 1, s13
	v_not_b32_e32 v48, v3
	v_cmp_gt_i32_e64 s13, 0, v3
	v_not_b32_e32 v3, v4
	v_lshlrev_b32_e32 v46, 26, v0
	v_cmp_ne_u32_e32 vcc_lo, 0, v6
	v_ashrrev_i32_e32 v6, 31, v48
	v_lshlrev_b32_e32 v47, 25, v0
	v_ashrrev_i32_e32 v3, 31, v3
	v_and_b32_e32 v1, 0xff, v0
	v_xor_b32_e32 v2, vcc_lo, v2
	v_cmp_gt_i32_e32 vcc_lo, 0, v4
	v_not_b32_e32 v4, v5
	v_xor_b32_e32 v6, s13, v6
	v_cmp_gt_i32_e64 s13, 0, v5
	v_and_b32_e32 v2, exec_lo, v2
	v_not_b32_e32 v5, v7
	v_ashrrev_i32_e32 v4, 31, v4
	v_xor_b32_e32 v3, vcc_lo, v3
	v_cmp_gt_i32_e32 vcc_lo, 0, v7
	v_and_b32_e32 v2, v2, v6
	v_not_b32_e32 v6, v46
	v_ashrrev_i32_e32 v5, 31, v5
	v_xor_b32_e32 v4, s13, v4
	v_lshlrev_b32_e32 v0, 24, v0
	v_and_b32_e32 v2, v2, v3
	v_cmp_gt_i32_e64 s13, 0, v46
	v_not_b32_e32 v3, v47
	v_ashrrev_i32_e32 v6, 31, v6
	v_xor_b32_e32 v5, vcc_lo, v5
	v_and_b32_e32 v2, v2, v4
	v_cmp_gt_i32_e32 vcc_lo, 0, v47
	v_not_b32_e32 v4, v0
	v_ashrrev_i32_e32 v3, 31, v3
	v_xor_b32_e32 v6, s13, v6
	v_and_b32_e32 v2, v2, v5
	v_lshlrev_b32_e32 v1, 3, v1
	v_cmp_gt_i32_e64 s13, 0, v0
	v_ashrrev_i32_e32 v0, 31, v4
	v_xor_b32_e32 v3, vcc_lo, v3
	v_and_b32_e32 v2, v2, v6
	v_add_lshl_u32 v1, v1, v37, 2
	s_delay_alu instid0(VALU_DEP_4) | instskip(NEXT) | instid1(VALU_DEP_3)
	v_xor_b32_e32 v0, s13, v0
	v_and_b32_e32 v2, v2, v3
	ds_load_b32 v46, v1 offset:32
	v_add_nc_u32_e32 v48, 32, v1
	; wave barrier
	v_and_b32_e32 v0, v2, v0
	s_delay_alu instid0(VALU_DEP_1) | instskip(SKIP_1) | instid1(VALU_DEP_2)
	v_mbcnt_lo_u32_b32 v47, v0, 0
	v_cmp_ne_u32_e64 s13, 0, v0
	v_cmp_eq_u32_e32 vcc_lo, 0, v47
	s_delay_alu instid0(VALU_DEP_2) | instskip(NEXT) | instid1(SALU_CYCLE_1)
	s_and_b32 s25, s13, vcc_lo
	s_and_saveexec_b32 s13, s25
	s_cbranch_execz .LBB318_14
; %bb.13:                               ;   in Loop: Header=BB318_4 Depth=2
	s_waitcnt lgkmcnt(0)
	v_bcnt_u32_b32 v0, v0, v46
	ds_store_b32 v48, v0
.LBB318_14:                             ;   in Loop: Header=BB318_4 Depth=2
	s_or_b32 exec_lo, exec_lo, s13
	v_lshrrev_b64 v[0:1], s22, v[22:23]
	; wave barrier
	s_delay_alu instid0(VALU_DEP_1)
	v_and_b32_e32 v2, 1, v0
	v_lshlrev_b32_e32 v3, 30, v0
	v_lshlrev_b32_e32 v4, 29, v0
	;; [unrolled: 1-line block ×4, first 2 shown]
	v_add_co_u32 v2, s13, v2, -1
	s_delay_alu instid0(VALU_DEP_1)
	v_cndmask_b32_e64 v6, 0, 1, s13
	v_not_b32_e32 v51, v3
	v_cmp_gt_i32_e64 s13, 0, v3
	v_not_b32_e32 v3, v4
	v_lshlrev_b32_e32 v49, 26, v0
	v_cmp_ne_u32_e32 vcc_lo, 0, v6
	v_ashrrev_i32_e32 v6, 31, v51
	v_lshlrev_b32_e32 v50, 25, v0
	v_ashrrev_i32_e32 v3, 31, v3
	v_and_b32_e32 v1, 0xff, v0
	v_xor_b32_e32 v2, vcc_lo, v2
	v_cmp_gt_i32_e32 vcc_lo, 0, v4
	v_not_b32_e32 v4, v5
	v_xor_b32_e32 v6, s13, v6
	v_cmp_gt_i32_e64 s13, 0, v5
	v_and_b32_e32 v2, exec_lo, v2
	v_not_b32_e32 v5, v7
	v_ashrrev_i32_e32 v4, 31, v4
	v_xor_b32_e32 v3, vcc_lo, v3
	v_cmp_gt_i32_e32 vcc_lo, 0, v7
	v_and_b32_e32 v2, v2, v6
	v_not_b32_e32 v6, v49
	v_ashrrev_i32_e32 v5, 31, v5
	v_xor_b32_e32 v4, s13, v4
	v_lshlrev_b32_e32 v0, 24, v0
	v_and_b32_e32 v2, v2, v3
	v_cmp_gt_i32_e64 s13, 0, v49
	v_not_b32_e32 v3, v50
	v_ashrrev_i32_e32 v6, 31, v6
	v_xor_b32_e32 v5, vcc_lo, v5
	v_and_b32_e32 v2, v2, v4
	v_cmp_gt_i32_e32 vcc_lo, 0, v50
	v_not_b32_e32 v4, v0
	v_ashrrev_i32_e32 v3, 31, v3
	v_xor_b32_e32 v6, s13, v6
	v_and_b32_e32 v2, v2, v5
	v_lshlrev_b32_e32 v1, 3, v1
	v_cmp_gt_i32_e64 s13, 0, v0
	v_ashrrev_i32_e32 v0, 31, v4
	v_xor_b32_e32 v3, vcc_lo, v3
	v_and_b32_e32 v2, v2, v6
	v_add_lshl_u32 v1, v1, v37, 2
	s_delay_alu instid0(VALU_DEP_4) | instskip(NEXT) | instid1(VALU_DEP_3)
	v_xor_b32_e32 v0, s13, v0
	v_and_b32_e32 v2, v2, v3
	ds_load_b32 v49, v1 offset:32
	v_add_nc_u32_e32 v51, 32, v1
	; wave barrier
	v_and_b32_e32 v0, v2, v0
	s_delay_alu instid0(VALU_DEP_1) | instskip(SKIP_1) | instid1(VALU_DEP_2)
	v_mbcnt_lo_u32_b32 v50, v0, 0
	v_cmp_ne_u32_e64 s13, 0, v0
	v_cmp_eq_u32_e32 vcc_lo, 0, v50
	s_delay_alu instid0(VALU_DEP_2) | instskip(NEXT) | instid1(SALU_CYCLE_1)
	s_and_b32 s25, s13, vcc_lo
	s_and_saveexec_b32 s13, s25
	s_cbranch_execz .LBB318_16
; %bb.15:                               ;   in Loop: Header=BB318_4 Depth=2
	s_waitcnt lgkmcnt(0)
	v_bcnt_u32_b32 v0, v0, v49
	ds_store_b32 v51, v0
.LBB318_16:                             ;   in Loop: Header=BB318_4 Depth=2
	s_or_b32 exec_lo, exec_lo, s13
	v_lshrrev_b64 v[0:1], s22, v[20:21]
	; wave barrier
	s_delay_alu instid0(VALU_DEP_1)
	v_and_b32_e32 v2, 1, v0
	v_lshlrev_b32_e32 v3, 30, v0
	v_lshlrev_b32_e32 v4, 29, v0
	;; [unrolled: 1-line block ×4, first 2 shown]
	v_add_co_u32 v2, s13, v2, -1
	s_delay_alu instid0(VALU_DEP_1)
	v_cndmask_b32_e64 v6, 0, 1, s13
	v_not_b32_e32 v54, v3
	v_cmp_gt_i32_e64 s13, 0, v3
	v_not_b32_e32 v3, v4
	v_lshlrev_b32_e32 v52, 26, v0
	v_cmp_ne_u32_e32 vcc_lo, 0, v6
	v_ashrrev_i32_e32 v6, 31, v54
	v_lshlrev_b32_e32 v53, 25, v0
	v_ashrrev_i32_e32 v3, 31, v3
	v_and_b32_e32 v1, 0xff, v0
	v_xor_b32_e32 v2, vcc_lo, v2
	v_cmp_gt_i32_e32 vcc_lo, 0, v4
	v_not_b32_e32 v4, v5
	v_xor_b32_e32 v6, s13, v6
	v_cmp_gt_i32_e64 s13, 0, v5
	v_and_b32_e32 v2, exec_lo, v2
	v_not_b32_e32 v5, v7
	v_ashrrev_i32_e32 v4, 31, v4
	v_xor_b32_e32 v3, vcc_lo, v3
	v_cmp_gt_i32_e32 vcc_lo, 0, v7
	v_and_b32_e32 v2, v2, v6
	v_not_b32_e32 v6, v52
	v_ashrrev_i32_e32 v5, 31, v5
	v_xor_b32_e32 v4, s13, v4
	v_lshlrev_b32_e32 v0, 24, v0
	v_and_b32_e32 v2, v2, v3
	v_cmp_gt_i32_e64 s13, 0, v52
	v_not_b32_e32 v3, v53
	v_ashrrev_i32_e32 v6, 31, v6
	v_xor_b32_e32 v5, vcc_lo, v5
	v_and_b32_e32 v2, v2, v4
	v_cmp_gt_i32_e32 vcc_lo, 0, v53
	v_not_b32_e32 v4, v0
	v_ashrrev_i32_e32 v3, 31, v3
	v_xor_b32_e32 v6, s13, v6
	v_and_b32_e32 v2, v2, v5
	v_lshlrev_b32_e32 v1, 3, v1
	v_cmp_gt_i32_e64 s13, 0, v0
	v_ashrrev_i32_e32 v0, 31, v4
	v_xor_b32_e32 v3, vcc_lo, v3
	v_and_b32_e32 v2, v2, v6
	v_add_lshl_u32 v1, v1, v37, 2
	s_delay_alu instid0(VALU_DEP_4) | instskip(NEXT) | instid1(VALU_DEP_3)
	v_xor_b32_e32 v0, s13, v0
	v_and_b32_e32 v2, v2, v3
	ds_load_b32 v52, v1 offset:32
	v_add_nc_u32_e32 v54, 32, v1
	; wave barrier
	v_and_b32_e32 v0, v2, v0
	s_delay_alu instid0(VALU_DEP_1) | instskip(SKIP_1) | instid1(VALU_DEP_2)
	v_mbcnt_lo_u32_b32 v53, v0, 0
	v_cmp_ne_u32_e64 s13, 0, v0
	v_cmp_eq_u32_e32 vcc_lo, 0, v53
	s_delay_alu instid0(VALU_DEP_2) | instskip(NEXT) | instid1(SALU_CYCLE_1)
	s_and_b32 s25, s13, vcc_lo
	s_and_saveexec_b32 s13, s25
	s_cbranch_execz .LBB318_18
; %bb.17:                               ;   in Loop: Header=BB318_4 Depth=2
	s_waitcnt lgkmcnt(0)
	v_bcnt_u32_b32 v0, v0, v52
	ds_store_b32 v54, v0
.LBB318_18:                             ;   in Loop: Header=BB318_4 Depth=2
	s_or_b32 exec_lo, exec_lo, s13
	v_lshrrev_b64 v[0:1], s22, v[18:19]
	; wave barrier
	s_delay_alu instid0(VALU_DEP_1)
	v_and_b32_e32 v2, 1, v0
	v_lshlrev_b32_e32 v3, 30, v0
	v_lshlrev_b32_e32 v4, 29, v0
	;; [unrolled: 1-line block ×4, first 2 shown]
	v_add_co_u32 v2, s13, v2, -1
	s_delay_alu instid0(VALU_DEP_1)
	v_cndmask_b32_e64 v6, 0, 1, s13
	v_not_b32_e32 v57, v3
	v_cmp_gt_i32_e64 s13, 0, v3
	v_not_b32_e32 v3, v4
	v_lshlrev_b32_e32 v55, 26, v0
	v_cmp_ne_u32_e32 vcc_lo, 0, v6
	v_ashrrev_i32_e32 v6, 31, v57
	v_lshlrev_b32_e32 v56, 25, v0
	v_ashrrev_i32_e32 v3, 31, v3
	v_and_b32_e32 v1, 0xff, v0
	v_xor_b32_e32 v2, vcc_lo, v2
	v_cmp_gt_i32_e32 vcc_lo, 0, v4
	v_not_b32_e32 v4, v5
	v_xor_b32_e32 v6, s13, v6
	v_cmp_gt_i32_e64 s13, 0, v5
	v_and_b32_e32 v2, exec_lo, v2
	v_not_b32_e32 v5, v7
	v_ashrrev_i32_e32 v4, 31, v4
	v_xor_b32_e32 v3, vcc_lo, v3
	v_cmp_gt_i32_e32 vcc_lo, 0, v7
	v_and_b32_e32 v2, v2, v6
	v_not_b32_e32 v6, v55
	v_ashrrev_i32_e32 v5, 31, v5
	v_xor_b32_e32 v4, s13, v4
	v_lshlrev_b32_e32 v0, 24, v0
	v_and_b32_e32 v2, v2, v3
	v_cmp_gt_i32_e64 s13, 0, v55
	v_not_b32_e32 v3, v56
	v_ashrrev_i32_e32 v6, 31, v6
	v_xor_b32_e32 v5, vcc_lo, v5
	v_and_b32_e32 v2, v2, v4
	v_cmp_gt_i32_e32 vcc_lo, 0, v56
	v_not_b32_e32 v4, v0
	v_ashrrev_i32_e32 v3, 31, v3
	v_xor_b32_e32 v6, s13, v6
	v_and_b32_e32 v2, v2, v5
	v_lshlrev_b32_e32 v1, 3, v1
	v_cmp_gt_i32_e64 s13, 0, v0
	v_ashrrev_i32_e32 v0, 31, v4
	v_xor_b32_e32 v3, vcc_lo, v3
	v_and_b32_e32 v2, v2, v6
	v_add_lshl_u32 v1, v1, v37, 2
	s_delay_alu instid0(VALU_DEP_4) | instskip(NEXT) | instid1(VALU_DEP_3)
	v_xor_b32_e32 v0, s13, v0
	v_and_b32_e32 v2, v2, v3
	ds_load_b32 v55, v1 offset:32
	v_add_nc_u32_e32 v57, 32, v1
	; wave barrier
	v_and_b32_e32 v0, v2, v0
	s_delay_alu instid0(VALU_DEP_1) | instskip(SKIP_1) | instid1(VALU_DEP_2)
	v_mbcnt_lo_u32_b32 v56, v0, 0
	v_cmp_ne_u32_e64 s13, 0, v0
	v_cmp_eq_u32_e32 vcc_lo, 0, v56
	s_delay_alu instid0(VALU_DEP_2) | instskip(NEXT) | instid1(SALU_CYCLE_1)
	s_and_b32 s25, s13, vcc_lo
	s_and_saveexec_b32 s13, s25
	s_cbranch_execz .LBB318_20
; %bb.19:                               ;   in Loop: Header=BB318_4 Depth=2
	s_waitcnt lgkmcnt(0)
	v_bcnt_u32_b32 v0, v0, v55
	ds_store_b32 v57, v0
.LBB318_20:                             ;   in Loop: Header=BB318_4 Depth=2
	s_or_b32 exec_lo, exec_lo, s13
	; wave barrier
	s_waitcnt lgkmcnt(0)
	s_barrier
	buffer_gl0_inv
	ds_load_2addr_b64 v[4:7], v33 offset0:4 offset1:5
	ds_load_2addr_b64 v[0:3], v36 offset0:2 offset1:3
	s_waitcnt lgkmcnt(1)
	v_add_nc_u32_e32 v58, v5, v4
	s_delay_alu instid0(VALU_DEP_1) | instskip(SKIP_1) | instid1(VALU_DEP_1)
	v_add3_u32 v58, v58, v6, v7
	s_waitcnt lgkmcnt(0)
	v_add3_u32 v58, v58, v0, v1
	s_delay_alu instid0(VALU_DEP_1) | instskip(NEXT) | instid1(VALU_DEP_1)
	v_add3_u32 v3, v58, v2, v3
	v_mov_b32_dpp v58, v3 row_shr:1 row_mask:0xf bank_mask:0xf
	s_delay_alu instid0(VALU_DEP_1) | instskip(NEXT) | instid1(VALU_DEP_1)
	v_cndmask_b32_e64 v58, v58, 0, s0
	v_add_nc_u32_e32 v3, v58, v3
	s_delay_alu instid0(VALU_DEP_1) | instskip(NEXT) | instid1(VALU_DEP_1)
	v_mov_b32_dpp v58, v3 row_shr:2 row_mask:0xf bank_mask:0xf
	v_cndmask_b32_e64 v58, 0, v58, s1
	s_delay_alu instid0(VALU_DEP_1) | instskip(NEXT) | instid1(VALU_DEP_1)
	v_add_nc_u32_e32 v3, v3, v58
	v_mov_b32_dpp v58, v3 row_shr:4 row_mask:0xf bank_mask:0xf
	s_delay_alu instid0(VALU_DEP_1) | instskip(NEXT) | instid1(VALU_DEP_1)
	v_cndmask_b32_e64 v58, 0, v58, s2
	v_add_nc_u32_e32 v3, v3, v58
	s_delay_alu instid0(VALU_DEP_1) | instskip(NEXT) | instid1(VALU_DEP_1)
	v_mov_b32_dpp v58, v3 row_shr:8 row_mask:0xf bank_mask:0xf
	v_cndmask_b32_e64 v58, 0, v58, s3
	s_delay_alu instid0(VALU_DEP_1) | instskip(SKIP_3) | instid1(VALU_DEP_1)
	v_add_nc_u32_e32 v3, v3, v58
	ds_swizzle_b32 v58, v3 offset:swizzle(BROADCAST,32,15)
	s_waitcnt lgkmcnt(0)
	v_cndmask_b32_e64 v58, v58, 0, s4
	v_add_nc_u32_e32 v3, v3, v58
	s_and_saveexec_b32 s13, s5
	s_cbranch_execz .LBB318_22
; %bb.21:                               ;   in Loop: Header=BB318_4 Depth=2
	ds_store_b32 v39, v3
.LBB318_22:                             ;   in Loop: Header=BB318_4 Depth=2
	s_or_b32 exec_lo, exec_lo, s13
	s_waitcnt lgkmcnt(0)
	s_barrier
	buffer_gl0_inv
	s_and_saveexec_b32 s13, s6
	s_cbranch_execz .LBB318_24
; %bb.23:                               ;   in Loop: Header=BB318_4 Depth=2
	ds_load_b32 v58, v40
	s_waitcnt lgkmcnt(0)
	v_mov_b32_dpp v59, v58 row_shr:1 row_mask:0xf bank_mask:0xf
	s_delay_alu instid0(VALU_DEP_1) | instskip(NEXT) | instid1(VALU_DEP_1)
	v_cndmask_b32_e64 v59, v59, 0, s10
	v_add_nc_u32_e32 v58, v59, v58
	s_delay_alu instid0(VALU_DEP_1) | instskip(NEXT) | instid1(VALU_DEP_1)
	v_mov_b32_dpp v59, v58 row_shr:2 row_mask:0xf bank_mask:0xf
	v_cndmask_b32_e64 v59, 0, v59, s11
	s_delay_alu instid0(VALU_DEP_1) | instskip(NEXT) | instid1(VALU_DEP_1)
	v_add_nc_u32_e32 v58, v58, v59
	v_mov_b32_dpp v59, v58 row_shr:4 row_mask:0xf bank_mask:0xf
	s_delay_alu instid0(VALU_DEP_1) | instskip(NEXT) | instid1(VALU_DEP_1)
	v_cndmask_b32_e64 v59, 0, v59, s12
	v_add_nc_u32_e32 v58, v58, v59
	ds_store_b32 v40, v58
.LBB318_24:                             ;   in Loop: Header=BB318_4 Depth=2
	s_or_b32 exec_lo, exec_lo, s13
	v_mov_b32_e32 v58, 0
	s_waitcnt lgkmcnt(0)
	s_barrier
	buffer_gl0_inv
	s_and_saveexec_b32 s13, s7
	s_cbranch_execz .LBB318_26
; %bb.25:                               ;   in Loop: Header=BB318_4 Depth=2
	ds_load_b32 v58, v41
.LBB318_26:                             ;   in Loop: Header=BB318_4 Depth=2
	s_or_b32 exec_lo, exec_lo, s13
	s_waitcnt lgkmcnt(0)
	v_add_nc_u32_e32 v3, v58, v3
	s_cmp_gt_u32 s22, 55
	ds_bpermute_b32 v3, v38, v3
	s_waitcnt lgkmcnt(0)
	v_cndmask_b32_e64 v3, v3, v58, s8
	s_delay_alu instid0(VALU_DEP_1) | instskip(NEXT) | instid1(VALU_DEP_1)
	v_cndmask_b32_e64 v3, v3, 0, s9
	v_add_nc_u32_e32 v4, v3, v4
	s_delay_alu instid0(VALU_DEP_1) | instskip(NEXT) | instid1(VALU_DEP_1)
	v_add_nc_u32_e32 v5, v4, v5
	v_add_nc_u32_e32 v6, v5, v6
	s_delay_alu instid0(VALU_DEP_1) | instskip(NEXT) | instid1(VALU_DEP_1)
	v_add_nc_u32_e32 v58, v6, v7
	;; [unrolled: 3-line block ×3, first 2 shown]
	v_add_nc_u32_e32 v1, v0, v2
	ds_store_2addr_b64 v33, v[3:4], v[5:6] offset0:4 offset1:5
	ds_store_2addr_b64 v36, v[58:59], v[0:1] offset0:2 offset1:3
	s_waitcnt lgkmcnt(0)
	s_barrier
	buffer_gl0_inv
	ds_load_b32 v0, v9
	ds_load_b32 v1, v12
	;; [unrolled: 1-line block ×8, first 2 shown]
	s_waitcnt lgkmcnt(7)
	v_add_nc_u32_e32 v57, v0, v8
	s_waitcnt lgkmcnt(6)
	v_add3_u32 v54, v11, v10, v1
	s_waitcnt lgkmcnt(5)
	v_add3_u32 v51, v14, v13, v2
	;; [unrolled: 2-line block ×7, first 2 shown]
	s_cbranch_scc0 .LBB318_3
; %bb.27:                               ;   in Loop: Header=BB318_2 Depth=1
                                        ; implicit-def: $vgpr14_vgpr15
                                        ; implicit-def: $vgpr10_vgpr11
                                        ; implicit-def: $vgpr6_vgpr7
                                        ; implicit-def: $vgpr2_vgpr3
                                        ; implicit-def: $sgpr22_sgpr23
	s_branch .LBB318_1
.LBB318_28:
	s_add_u32 s0, s18, s14
	s_addc_u32 s1, s19, s15
	v_add_co_u32 v0, s2, s0, v32
	s_delay_alu instid0(VALU_DEP_1) | instskip(NEXT) | instid1(VALU_DEP_2)
	v_add_co_ci_u32_e64 v23, null, s1, 0, s2
	v_add_co_u32 v17, vcc_lo, 0x1000, v0
	s_delay_alu instid0(VALU_DEP_2)
	v_add_co_ci_u32_e32 v18, vcc_lo, 0, v23, vcc_lo
	v_add_co_u32 v19, vcc_lo, v0, 0x2000
	v_add_co_ci_u32_e32 v20, vcc_lo, 0, v23, vcc_lo
	v_add_co_u32 v21, vcc_lo, 0x2000, v0
	v_add_co_ci_u32_e32 v22, vcc_lo, 0, v23, vcc_lo
	global_store_b64 v[19:20], v[5:6], off
	v_add_co_u32 v5, vcc_lo, 0x3000, v0
	v_add_co_ci_u32_e32 v6, vcc_lo, 0, v23, vcc_lo
	s_clause 0x6
	global_store_b64 v32, v[13:14], s[0:1]
	global_store_b64 v32, v[15:16], s[0:1] offset:2048
	global_store_b64 v[17:18], v[11:12], off offset:2048
	global_store_b64 v[21:22], v[7:8], off offset:2048
	global_store_b64 v[5:6], v[1:2], off
	global_store_b64 v[19:20], v[9:10], off offset:-4096
	global_store_b64 v[5:6], v[3:4], off offset:2048
	s_nop 0
	s_sendmsg sendmsg(MSG_DEALLOC_VGPRS)
	s_endpgm
	.section	.rodata,"a",@progbits
	.p2align	6, 0x0
	.amdhsa_kernel _Z16sort_keys_kernelI22helper_blocked_stripedxLj256ELj8ELj10EEvPKT0_PS1_
		.amdhsa_group_segment_fixed_size 16384
		.amdhsa_private_segment_fixed_size 0
		.amdhsa_kernarg_size 272
		.amdhsa_user_sgpr_count 15
		.amdhsa_user_sgpr_dispatch_ptr 0
		.amdhsa_user_sgpr_queue_ptr 0
		.amdhsa_user_sgpr_kernarg_segment_ptr 1
		.amdhsa_user_sgpr_dispatch_id 0
		.amdhsa_user_sgpr_private_segment_size 0
		.amdhsa_wavefront_size32 1
		.amdhsa_uses_dynamic_stack 0
		.amdhsa_enable_private_segment 0
		.amdhsa_system_sgpr_workgroup_id_x 1
		.amdhsa_system_sgpr_workgroup_id_y 0
		.amdhsa_system_sgpr_workgroup_id_z 0
		.amdhsa_system_sgpr_workgroup_info 0
		.amdhsa_system_vgpr_workitem_id 2
		.amdhsa_next_free_vgpr 60
		.amdhsa_next_free_sgpr 26
		.amdhsa_reserve_vcc 1
		.amdhsa_float_round_mode_32 0
		.amdhsa_float_round_mode_16_64 0
		.amdhsa_float_denorm_mode_32 3
		.amdhsa_float_denorm_mode_16_64 3
		.amdhsa_dx10_clamp 1
		.amdhsa_ieee_mode 1
		.amdhsa_fp16_overflow 0
		.amdhsa_workgroup_processor_mode 1
		.amdhsa_memory_ordered 1
		.amdhsa_forward_progress 0
		.amdhsa_shared_vgpr_count 0
		.amdhsa_exception_fp_ieee_invalid_op 0
		.amdhsa_exception_fp_denorm_src 0
		.amdhsa_exception_fp_ieee_div_zero 0
		.amdhsa_exception_fp_ieee_overflow 0
		.amdhsa_exception_fp_ieee_underflow 0
		.amdhsa_exception_fp_ieee_inexact 0
		.amdhsa_exception_int_div_zero 0
	.end_amdhsa_kernel
	.section	.text._Z16sort_keys_kernelI22helper_blocked_stripedxLj256ELj8ELj10EEvPKT0_PS1_,"axG",@progbits,_Z16sort_keys_kernelI22helper_blocked_stripedxLj256ELj8ELj10EEvPKT0_PS1_,comdat
.Lfunc_end318:
	.size	_Z16sort_keys_kernelI22helper_blocked_stripedxLj256ELj8ELj10EEvPKT0_PS1_, .Lfunc_end318-_Z16sort_keys_kernelI22helper_blocked_stripedxLj256ELj8ELj10EEvPKT0_PS1_
                                        ; -- End function
	.section	.AMDGPU.csdata,"",@progbits
; Kernel info:
; codeLenInByte = 4592
; NumSgprs: 28
; NumVgprs: 60
; ScratchSize: 0
; MemoryBound: 0
; FloatMode: 240
; IeeeMode: 1
; LDSByteSize: 16384 bytes/workgroup (compile time only)
; SGPRBlocks: 3
; VGPRBlocks: 7
; NumSGPRsForWavesPerEU: 28
; NumVGPRsForWavesPerEU: 60
; Occupancy: 16
; WaveLimiterHint : 1
; COMPUTE_PGM_RSRC2:SCRATCH_EN: 0
; COMPUTE_PGM_RSRC2:USER_SGPR: 15
; COMPUTE_PGM_RSRC2:TRAP_HANDLER: 0
; COMPUTE_PGM_RSRC2:TGID_X_EN: 1
; COMPUTE_PGM_RSRC2:TGID_Y_EN: 0
; COMPUTE_PGM_RSRC2:TGID_Z_EN: 0
; COMPUTE_PGM_RSRC2:TIDIG_COMP_CNT: 2
	.section	.text._Z17sort_pairs_kernelI22helper_blocked_stripedxLj256ELj8ELj10EEvPKT0_PS1_,"axG",@progbits,_Z17sort_pairs_kernelI22helper_blocked_stripedxLj256ELj8ELj10EEvPKT0_PS1_,comdat
	.protected	_Z17sort_pairs_kernelI22helper_blocked_stripedxLj256ELj8ELj10EEvPKT0_PS1_ ; -- Begin function _Z17sort_pairs_kernelI22helper_blocked_stripedxLj256ELj8ELj10EEvPKT0_PS1_
	.globl	_Z17sort_pairs_kernelI22helper_blocked_stripedxLj256ELj8ELj10EEvPKT0_PS1_
	.p2align	8
	.type	_Z17sort_pairs_kernelI22helper_blocked_stripedxLj256ELj8ELj10EEvPKT0_PS1_,@function
_Z17sort_pairs_kernelI22helper_blocked_stripedxLj256ELj8ELj10EEvPKT0_PS1_: ; @_Z17sort_pairs_kernelI22helper_blocked_stripedxLj256ELj8ELj10EEvPKT0_PS1_
; %bb.0:
	s_clause 0x1
	s_load_b128 s[16:19], s[0:1], 0x0
	s_load_b32 s12, s[0:1], 0x1c
	v_mbcnt_lo_u32_b32 v18, -1, 0
	s_mov_b32 s21, 0
	s_lshl_b32 s20, s15, 11
	v_bfe_u32 v19, v0, 10, 10
	s_lshl_b64 s[14:15], s[20:21], 3
	v_add_nc_u32_e32 v22, -1, v18
	v_and_b32_e32 v20, 15, v18
	v_and_b32_e32 v23, 7, v18
	;; [unrolled: 1-line block ×3, first 2 shown]
	s_mov_b32 s20, s21
	v_cmp_gt_i32_e32 vcc_lo, 0, v22
	v_and_b32_e32 v17, 0x3ff, v0
	v_cmp_lt_u32_e64 s2, 1, v20
	v_cmp_lt_u32_e64 s3, 3, v20
	;; [unrolled: 1-line block ×3, first 2 shown]
	v_bfe_u32 v0, v0, 20, 10
	v_lshlrev_b32_e32 v1, 6, v17
	v_cmp_eq_u32_e64 s9, 0, v23
	s_waitcnt lgkmcnt(0)
	s_add_u32 s0, s16, s14
	s_addc_u32 s1, s17, s15
	s_lshr_b32 s13, s12, 16
	s_clause 0x3
	global_load_b128 v[13:16], v1, s[0:1]
	global_load_b128 v[9:12], v1, s[0:1] offset:16
	global_load_b128 v[5:8], v1, s[0:1] offset:32
	;; [unrolled: 1-line block ×3, first 2 shown]
	v_cmp_eq_u32_e64 s1, 0, v20
	v_dual_cndmask_b32 v20, v22, v18 :: v_dual_lshlrev_b32 v65, 3, v17
	v_and_b32_e32 v24, 0xe0, v17
	v_mad_u32_u24 v0, v0, s13, v19
	s_and_b32 s12, s12, 0xffff
	v_cmp_eq_u32_e64 s0, 0, v18
	v_cmp_lt_u32_e64 s10, 1, v23
	v_cmp_lt_u32_e64 s11, 3, v23
	v_or_b32_e32 v23, v18, v24
	v_and_or_b32 v25, 0x700, v65, v18
	v_mad_u64_u32 v[18:19], null, v0, s12, v[17:18]
	v_lshlrev_b32_e32 v66, 5, v17
	v_cmp_eq_u32_e64 s5, 0, v21
	v_lshrrev_b32_e32 v21, 3, v17
	v_or_b32_e32 v24, 31, v24
	v_cmp_gt_u32_e64 s6, 8, v17
	v_cmp_lt_u32_e64 s7, 31, v17
	v_cmp_eq_u32_e64 s8, 0, v17
	v_lshlrev_b32_e32 v22, 2, v17
	v_and_b32_e32 v69, 28, v21
	v_mad_i32_i24 v70, 0xffffffe4, v17, v66
	v_cmp_eq_u32_e64 s12, v24, v17
	v_lshrrev_b32_e32 v74, 5, v18
	v_add_nc_u32_e32 v67, 32, v66
	v_lshlrev_b32_e32 v68, 2, v20
	v_lshlrev_b32_e32 v71, 6, v23
	;; [unrolled: 1-line block ×3, first 2 shown]
	v_add_nc_u32_e32 v73, -4, v69
	v_add_nc_u32_e32 v75, v70, v22
	s_mov_b32 s16, s21
	s_mov_b32 s17, s21
	s_mov_b32 s24, s21
	s_waitcnt vmcnt(3)
	v_add_co_u32 v41, vcc_lo, v13, 1
	v_add_co_ci_u32_e32 v42, vcc_lo, 0, v14, vcc_lo
	v_add_co_u32 v43, vcc_lo, v15, 1
	v_add_co_ci_u32_e32 v44, vcc_lo, 0, v16, vcc_lo
	s_waitcnt vmcnt(2)
	v_add_co_u32 v37, vcc_lo, v9, 1
	v_add_co_ci_u32_e32 v38, vcc_lo, 0, v10, vcc_lo
	v_add_co_u32 v39, vcc_lo, v11, 1
	v_add_co_ci_u32_e32 v40, vcc_lo, 0, v12, vcc_lo
	s_waitcnt vmcnt(1)
	v_add_co_u32 v29, vcc_lo, v5, 1
	v_add_co_ci_u32_e32 v30, vcc_lo, 0, v6, vcc_lo
	v_add_co_u32 v31, vcc_lo, v7, 1
	v_add_co_ci_u32_e32 v32, vcc_lo, 0, v8, vcc_lo
	s_waitcnt vmcnt(0)
	v_add_co_u32 v17, vcc_lo, v1, 1
	v_add_co_ci_u32_e32 v18, vcc_lo, 0, v2, vcc_lo
	v_add_co_u32 v19, vcc_lo, v3, 1
	v_add_co_ci_u32_e32 v20, vcc_lo, 0, v4, vcc_lo
	s_branch .LBB319_2
.LBB319_1:                              ;   in Loop: Header=BB319_2 Depth=1
	v_lshlrev_b32_e32 v0, 3, v82
	v_lshlrev_b32_e32 v23, 3, v79
	;; [unrolled: 1-line block ×8, first 2 shown]
	s_barrier
	buffer_gl0_inv
	ds_store_b64 v0, v[29:30]
	ds_store_b64 v21, v[43:44]
	ds_store_b64 v22, v[41:42]
	ds_store_b64 v23, v[39:40]
	ds_store_b64 v24, v[37:38]
	ds_store_b64 v25, v[31:32]
	ds_store_b64 v26, v[18:19]
	ds_store_b64 v20, v[16:17]
	s_waitcnt lgkmcnt(0)
	s_barrier
	buffer_gl0_inv
	ds_load_2addr_stride64_b64 v[13:16], v75 offset1:4
	ds_load_2addr_stride64_b64 v[9:12], v75 offset0:8 offset1:12
	ds_load_2addr_stride64_b64 v[5:8], v75 offset0:16 offset1:20
	;; [unrolled: 1-line block ×3, first 2 shown]
	s_waitcnt lgkmcnt(0)
	s_barrier
	buffer_gl0_inv
	ds_store_b64 v0, v[63:64]
	ds_store_b64 v21, v[61:62]
	;; [unrolled: 1-line block ×8, first 2 shown]
	s_waitcnt lgkmcnt(0)
	s_barrier
	buffer_gl0_inv
	ds_load_2addr_stride64_b64 v[41:44], v75 offset1:4
	ds_load_2addr_stride64_b64 v[37:40], v75 offset0:8 offset1:12
	ds_load_2addr_stride64_b64 v[29:32], v75 offset0:16 offset1:20
	;; [unrolled: 1-line block ×3, first 2 shown]
	s_add_i32 s24, s24, 1
	s_delay_alu instid0(SALU_CYCLE_1)
	s_cmp_eq_u32 s24, 10
	v_xor_b32_e32 v14, 0x80000000, v14
	v_xor_b32_e32 v16, 0x80000000, v16
	;; [unrolled: 1-line block ×8, first 2 shown]
	s_cbranch_scc1 .LBB319_28
.LBB319_2:                              ; =>This Loop Header: Depth=1
                                        ;     Child Loop BB319_4 Depth 2
	v_xor_b32_e32 v14, 0x80000000, v14
	v_xor_b32_e32 v16, 0x80000000, v16
	;; [unrolled: 1-line block ×8, first 2 shown]
	ds_store_2addr_b64 v71, v[13:14], v[15:16] offset1:1
	ds_store_2addr_b64 v71, v[9:10], v[11:12] offset0:2 offset1:3
	ds_store_2addr_b64 v71, v[5:6], v[7:8] offset0:4 offset1:5
	;; [unrolled: 1-line block ×3, first 2 shown]
	; wave barrier
	ds_load_2addr_b64 v[21:24], v72 offset1:32
	ds_load_2addr_b64 v[25:28], v72 offset0:64 offset1:96
	ds_load_2addr_b64 v[33:36], v72 offset0:128 offset1:160
	ds_load_2addr_b64 v[45:48], v72 offset0:192 offset1:224
	; wave barrier
	s_waitcnt lgkmcnt(11)
	ds_store_2addr_b64 v71, v[41:42], v[43:44] offset1:1
	s_waitcnt lgkmcnt(11)
	ds_store_2addr_b64 v71, v[37:38], v[39:40] offset0:2 offset1:3
	s_waitcnt lgkmcnt(11)
	ds_store_2addr_b64 v71, v[29:30], v[31:32] offset0:4 offset1:5
	;; [unrolled: 2-line block ×3, first 2 shown]
	; wave barrier
	ds_load_2addr_b64 v[0:3], v72 offset1:32
	ds_load_2addr_b64 v[4:7], v72 offset0:64 offset1:96
	ds_load_2addr_b64 v[8:11], v72 offset0:128 offset1:160
	;; [unrolled: 1-line block ×3, first 2 shown]
	s_mov_b64 s[22:23], 0
	s_waitcnt lgkmcnt(0)
	s_barrier
	s_branch .LBB319_4
.LBB319_3:                              ;   in Loop: Header=BB319_4 Depth=2
	v_lshlrev_b32_e32 v0, 3, v82
	v_lshlrev_b32_e32 v3, 3, v79
	;; [unrolled: 1-line block ×8, first 2 shown]
	s_barrier
	buffer_gl0_inv
	ds_store_b64 v0, v[29:30]
	ds_store_b64 v1, v[43:44]
	;; [unrolled: 1-line block ×8, first 2 shown]
	s_waitcnt lgkmcnt(0)
	s_barrier
	buffer_gl0_inv
	ds_load_2addr_b64 v[21:24], v72 offset1:32
	ds_load_2addr_b64 v[25:28], v72 offset0:64 offset1:96
	ds_load_2addr_b64 v[33:36], v72 offset0:128 offset1:160
	;; [unrolled: 1-line block ×3, first 2 shown]
	s_waitcnt lgkmcnt(0)
	s_barrier
	buffer_gl0_inv
	ds_store_b64 v0, v[63:64]
	ds_store_b64 v1, v[61:62]
	;; [unrolled: 1-line block ×8, first 2 shown]
	s_waitcnt lgkmcnt(0)
	s_barrier
	buffer_gl0_inv
	ds_load_2addr_b64 v[0:3], v72 offset1:32
	ds_load_2addr_b64 v[4:7], v72 offset0:64 offset1:96
	ds_load_2addr_b64 v[8:11], v72 offset0:128 offset1:160
	;; [unrolled: 1-line block ×3, first 2 shown]
	s_add_u32 s22, s22, 8
	s_addc_u32 s23, s23, 0
	s_waitcnt lgkmcnt(0)
	s_barrier
	s_cbranch_execz .LBB319_1
.LBB319_4:                              ;   Parent Loop BB319_2 Depth=1
                                        ; =>  This Inner Loop Header: Depth=2
	v_dual_mov_b32 v30, v22 :: v_dual_mov_b32 v29, v21
	v_dual_mov_b32 v42, v26 :: v_dual_mov_b32 v41, v25
	;; [unrolled: 1-line block ×3, first 2 shown]
	s_delay_alu instid0(VALU_DEP_3) | instskip(SKIP_2) | instid1(VALU_DEP_3)
	v_lshrrev_b64 v[20:21], s22, v[29:30]
	v_dual_mov_b32 v44, v24 :: v_dual_mov_b32 v43, v23
	v_dual_mov_b32 v40, v28 :: v_dual_mov_b32 v39, v27
	v_dual_mov_b32 v50, v15 :: v_dual_and_b32 v21, 1, v20
	v_dual_mov_b32 v49, v14 :: v_dual_lshlrev_b32 v22, 30, v20
	v_dual_mov_b32 v52, v13 :: v_dual_lshlrev_b32 v23, 29, v20
	s_delay_alu instid0(VALU_DEP_3) | instskip(NEXT) | instid1(VALU_DEP_1)
	v_add_co_u32 v21, s13, v21, -1
	v_cndmask_b32_e64 v25, 0, 1, s13
	s_delay_alu instid0(VALU_DEP_4) | instskip(SKIP_2) | instid1(VALU_DEP_4)
	v_not_b32_e32 v33, v22
	v_dual_mov_b32 v51, v12 :: v_dual_lshlrev_b32 v24, 28, v20
	v_cmp_gt_i32_e64 s13, 0, v22
	v_cmp_ne_u32_e32 vcc_lo, 0, v25
	v_not_b32_e32 v22, v23
	v_ashrrev_i32_e32 v33, 31, v33
	v_lshlrev_b32_e32 v26, 27, v20
	v_dual_mov_b32 v54, v11 :: v_dual_lshlrev_b32 v27, 26, v20
	v_xor_b32_e32 v21, vcc_lo, v21
	v_cmp_gt_i32_e32 vcc_lo, 0, v23
	v_not_b32_e32 v23, v24
	v_ashrrev_i32_e32 v22, 31, v22
	v_xor_b32_e32 v33, s13, v33
	v_dual_mov_b32 v58, v7 :: v_dual_and_b32 v21, exec_lo, v21
	v_cmp_gt_i32_e64 s13, 0, v24
	v_ashrrev_i32_e32 v23, 31, v23
	v_xor_b32_e32 v22, vcc_lo, v22
	s_delay_alu instid0(VALU_DEP_4)
	v_dual_mov_b32 v62, v3 :: v_dual_and_b32 v21, v21, v33
	v_mov_b32_e32 v53, v10
	v_not_b32_e32 v24, v26
	v_lshlrev_b32_e32 v28, 25, v20
	v_cmp_gt_i32_e32 vcc_lo, 0, v26
	v_not_b32_e32 v26, v27
	v_xor_b32_e32 v23, s13, v23
	v_ashrrev_i32_e32 v24, 31, v24
	v_and_b32_e32 v21, v21, v22
	v_dual_mov_b32 v57, v6 :: v_dual_mov_b32 v60, v5
	v_dual_mov_b32 v56, v9 :: v_dual_lshlrev_b32 v25, 24, v20
	v_mov_b32_e32 v59, v4
	v_dual_mov_b32 v61, v2 :: v_dual_mov_b32 v64, v1
	v_mov_b32_e32 v3, s20
	v_cmp_gt_i32_e64 s13, 0, v27
	v_ashrrev_i32_e32 v26, 31, v26
	v_xor_b32_e32 v24, vcc_lo, v24
	v_mov_b32_e32 v55, v8
	v_not_b32_e32 v22, v28
	v_dual_mov_b32 v4, s21 :: v_dual_and_b32 v21, v21, v23
	v_dual_mov_b32 v5, s16 :: v_dual_mov_b32 v6, s17
	v_cmp_gt_i32_e32 vcc_lo, 0, v28
	v_not_b32_e32 v23, v25
	v_ashrrev_i32_e32 v22, 31, v22
	v_xor_b32_e32 v26, s13, v26
	v_and_b32_e32 v21, v21, v24
	v_cmp_gt_i32_e64 s13, 0, v25
	v_ashrrev_i32_e32 v14, 31, v23
	v_xor_b32_e32 v15, vcc_lo, v22
	v_mov_b32_e32 v63, v0
	v_and_b32_e32 v21, v21, v26
	v_and_b32_e32 v0, 0xff, v20
	v_xor_b32_e32 v8, s13, v14
	v_dual_mov_b32 v16, v47 :: v_dual_mov_b32 v17, v48
	s_delay_alu instid0(VALU_DEP_4) | instskip(NEXT) | instid1(VALU_DEP_4)
	v_and_b32_e32 v9, v21, v15
	v_lshl_add_u32 v0, v0, 3, v74
	v_dual_mov_b32 v18, v45 :: v_dual_mov_b32 v19, v46
	v_dual_mov_b32 v31, v35 :: v_dual_mov_b32 v32, v36
	s_delay_alu instid0(VALU_DEP_4) | instskip(NEXT) | instid1(VALU_DEP_4)
	v_and_b32_e32 v2, v9, v8
	v_lshl_add_u32 v9, v0, 2, 32
	buffer_gl0_inv
	ds_store_2addr_b64 v66, v[3:4], v[5:6] offset0:4 offset1:5
	ds_store_2addr_b64 v67, v[3:4], v[5:6] offset0:2 offset1:3
	s_waitcnt lgkmcnt(0)
	v_mbcnt_lo_u32_b32 v8, v2, 0
	v_cmp_ne_u32_e64 s13, 0, v2
	s_barrier
	buffer_gl0_inv
	v_cmp_eq_u32_e32 vcc_lo, 0, v8
	; wave barrier
	s_and_b32 s25, s13, vcc_lo
	s_delay_alu instid0(SALU_CYCLE_1)
	s_and_saveexec_b32 s13, s25
	s_cbranch_execz .LBB319_6
; %bb.5:                                ;   in Loop: Header=BB319_4 Depth=2
	v_bcnt_u32_b32 v0, v2, 0
	ds_store_b32 v9, v0
.LBB319_6:                              ;   in Loop: Header=BB319_4 Depth=2
	s_or_b32 exec_lo, exec_lo, s13
	v_lshrrev_b64 v[0:1], s22, v[43:44]
	; wave barrier
	s_delay_alu instid0(VALU_DEP_1)
	v_and_b32_e32 v2, 1, v0
	v_lshlrev_b32_e32 v3, 30, v0
	v_lshlrev_b32_e32 v4, 29, v0
	;; [unrolled: 1-line block ×4, first 2 shown]
	v_add_co_u32 v2, s13, v2, -1
	s_delay_alu instid0(VALU_DEP_1)
	v_cndmask_b32_e64 v6, 0, 1, s13
	v_not_b32_e32 v12, v3
	v_cmp_gt_i32_e64 s13, 0, v3
	v_not_b32_e32 v3, v4
	v_lshlrev_b32_e32 v10, 26, v0
	v_cmp_ne_u32_e32 vcc_lo, 0, v6
	v_ashrrev_i32_e32 v6, 31, v12
	v_lshlrev_b32_e32 v11, 25, v0
	v_ashrrev_i32_e32 v3, 31, v3
	v_and_b32_e32 v1, 0xff, v0
	v_xor_b32_e32 v2, vcc_lo, v2
	v_cmp_gt_i32_e32 vcc_lo, 0, v4
	v_not_b32_e32 v4, v5
	v_xor_b32_e32 v6, s13, v6
	v_cmp_gt_i32_e64 s13, 0, v5
	v_and_b32_e32 v2, exec_lo, v2
	v_not_b32_e32 v5, v7
	v_ashrrev_i32_e32 v4, 31, v4
	v_xor_b32_e32 v3, vcc_lo, v3
	v_cmp_gt_i32_e32 vcc_lo, 0, v7
	v_and_b32_e32 v2, v2, v6
	v_not_b32_e32 v6, v10
	v_ashrrev_i32_e32 v5, 31, v5
	v_xor_b32_e32 v4, s13, v4
	v_lshlrev_b32_e32 v0, 24, v0
	v_and_b32_e32 v2, v2, v3
	v_cmp_gt_i32_e64 s13, 0, v10
	v_not_b32_e32 v3, v11
	v_ashrrev_i32_e32 v6, 31, v6
	v_xor_b32_e32 v5, vcc_lo, v5
	v_and_b32_e32 v2, v2, v4
	v_cmp_gt_i32_e32 vcc_lo, 0, v11
	v_not_b32_e32 v4, v0
	v_ashrrev_i32_e32 v3, 31, v3
	v_xor_b32_e32 v6, s13, v6
	v_and_b32_e32 v2, v2, v5
	v_lshlrev_b32_e32 v1, 3, v1
	v_cmp_gt_i32_e64 s13, 0, v0
	v_ashrrev_i32_e32 v0, 31, v4
	v_xor_b32_e32 v3, vcc_lo, v3
	v_and_b32_e32 v2, v2, v6
	v_add_lshl_u32 v1, v1, v74, 2
	s_delay_alu instid0(VALU_DEP_4) | instskip(NEXT) | instid1(VALU_DEP_3)
	v_xor_b32_e32 v0, s13, v0
	v_and_b32_e32 v2, v2, v3
	ds_load_b32 v10, v1 offset:32
	v_add_nc_u32_e32 v12, 32, v1
	; wave barrier
	v_and_b32_e32 v0, v2, v0
	s_delay_alu instid0(VALU_DEP_1) | instskip(SKIP_1) | instid1(VALU_DEP_2)
	v_mbcnt_lo_u32_b32 v11, v0, 0
	v_cmp_ne_u32_e64 s13, 0, v0
	v_cmp_eq_u32_e32 vcc_lo, 0, v11
	s_delay_alu instid0(VALU_DEP_2) | instskip(NEXT) | instid1(SALU_CYCLE_1)
	s_and_b32 s25, s13, vcc_lo
	s_and_saveexec_b32 s13, s25
	s_cbranch_execz .LBB319_8
; %bb.7:                                ;   in Loop: Header=BB319_4 Depth=2
	s_waitcnt lgkmcnt(0)
	v_bcnt_u32_b32 v0, v0, v10
	ds_store_b32 v12, v0
.LBB319_8:                              ;   in Loop: Header=BB319_4 Depth=2
	s_or_b32 exec_lo, exec_lo, s13
	v_lshrrev_b64 v[0:1], s22, v[41:42]
	; wave barrier
	s_delay_alu instid0(VALU_DEP_1)
	v_and_b32_e32 v2, 1, v0
	v_lshlrev_b32_e32 v3, 30, v0
	v_lshlrev_b32_e32 v4, 29, v0
	;; [unrolled: 1-line block ×4, first 2 shown]
	v_add_co_u32 v2, s13, v2, -1
	s_delay_alu instid0(VALU_DEP_1)
	v_cndmask_b32_e64 v6, 0, 1, s13
	v_not_b32_e32 v15, v3
	v_cmp_gt_i32_e64 s13, 0, v3
	v_not_b32_e32 v3, v4
	v_lshlrev_b32_e32 v13, 26, v0
	v_cmp_ne_u32_e32 vcc_lo, 0, v6
	v_ashrrev_i32_e32 v6, 31, v15
	v_lshlrev_b32_e32 v14, 25, v0
	v_ashrrev_i32_e32 v3, 31, v3
	v_and_b32_e32 v1, 0xff, v0
	v_xor_b32_e32 v2, vcc_lo, v2
	v_cmp_gt_i32_e32 vcc_lo, 0, v4
	v_not_b32_e32 v4, v5
	v_xor_b32_e32 v6, s13, v6
	v_cmp_gt_i32_e64 s13, 0, v5
	v_and_b32_e32 v2, exec_lo, v2
	v_not_b32_e32 v5, v7
	v_ashrrev_i32_e32 v4, 31, v4
	v_xor_b32_e32 v3, vcc_lo, v3
	v_cmp_gt_i32_e32 vcc_lo, 0, v7
	v_and_b32_e32 v2, v2, v6
	v_not_b32_e32 v6, v13
	v_ashrrev_i32_e32 v5, 31, v5
	v_xor_b32_e32 v4, s13, v4
	v_lshlrev_b32_e32 v0, 24, v0
	v_and_b32_e32 v2, v2, v3
	v_cmp_gt_i32_e64 s13, 0, v13
	v_not_b32_e32 v3, v14
	v_ashrrev_i32_e32 v6, 31, v6
	v_xor_b32_e32 v5, vcc_lo, v5
	v_and_b32_e32 v2, v2, v4
	v_cmp_gt_i32_e32 vcc_lo, 0, v14
	v_not_b32_e32 v4, v0
	v_ashrrev_i32_e32 v3, 31, v3
	v_xor_b32_e32 v6, s13, v6
	v_and_b32_e32 v2, v2, v5
	v_lshlrev_b32_e32 v1, 3, v1
	v_cmp_gt_i32_e64 s13, 0, v0
	v_ashrrev_i32_e32 v0, 31, v4
	v_xor_b32_e32 v3, vcc_lo, v3
	v_and_b32_e32 v2, v2, v6
	v_add_lshl_u32 v1, v1, v74, 2
	s_delay_alu instid0(VALU_DEP_4) | instskip(NEXT) | instid1(VALU_DEP_3)
	v_xor_b32_e32 v0, s13, v0
	v_and_b32_e32 v2, v2, v3
	ds_load_b32 v13, v1 offset:32
	v_add_nc_u32_e32 v15, 32, v1
	; wave barrier
	v_and_b32_e32 v0, v2, v0
	s_delay_alu instid0(VALU_DEP_1) | instskip(SKIP_1) | instid1(VALU_DEP_2)
	v_mbcnt_lo_u32_b32 v14, v0, 0
	v_cmp_ne_u32_e64 s13, 0, v0
	v_cmp_eq_u32_e32 vcc_lo, 0, v14
	s_delay_alu instid0(VALU_DEP_2) | instskip(NEXT) | instid1(SALU_CYCLE_1)
	s_and_b32 s25, s13, vcc_lo
	s_and_saveexec_b32 s13, s25
	s_cbranch_execz .LBB319_10
; %bb.9:                                ;   in Loop: Header=BB319_4 Depth=2
	s_waitcnt lgkmcnt(0)
	v_bcnt_u32_b32 v0, v0, v13
	ds_store_b32 v15, v0
.LBB319_10:                             ;   in Loop: Header=BB319_4 Depth=2
	s_or_b32 exec_lo, exec_lo, s13
	v_lshrrev_b64 v[0:1], s22, v[39:40]
	; wave barrier
	s_delay_alu instid0(VALU_DEP_1)
	v_and_b32_e32 v2, 1, v0
	v_lshlrev_b32_e32 v3, 30, v0
	v_lshlrev_b32_e32 v4, 29, v0
	;; [unrolled: 1-line block ×4, first 2 shown]
	v_add_co_u32 v2, s13, v2, -1
	s_delay_alu instid0(VALU_DEP_1)
	v_cndmask_b32_e64 v6, 0, 1, s13
	v_not_b32_e32 v22, v3
	v_cmp_gt_i32_e64 s13, 0, v3
	v_not_b32_e32 v3, v4
	v_lshlrev_b32_e32 v20, 26, v0
	v_cmp_ne_u32_e32 vcc_lo, 0, v6
	v_ashrrev_i32_e32 v6, 31, v22
	v_lshlrev_b32_e32 v21, 25, v0
	v_ashrrev_i32_e32 v3, 31, v3
	v_and_b32_e32 v1, 0xff, v0
	v_xor_b32_e32 v2, vcc_lo, v2
	v_cmp_gt_i32_e32 vcc_lo, 0, v4
	v_not_b32_e32 v4, v5
	v_xor_b32_e32 v6, s13, v6
	v_cmp_gt_i32_e64 s13, 0, v5
	v_and_b32_e32 v2, exec_lo, v2
	v_not_b32_e32 v5, v7
	v_ashrrev_i32_e32 v4, 31, v4
	v_xor_b32_e32 v3, vcc_lo, v3
	v_cmp_gt_i32_e32 vcc_lo, 0, v7
	v_and_b32_e32 v2, v2, v6
	v_not_b32_e32 v6, v20
	v_ashrrev_i32_e32 v5, 31, v5
	v_xor_b32_e32 v4, s13, v4
	v_lshlrev_b32_e32 v0, 24, v0
	v_and_b32_e32 v2, v2, v3
	v_cmp_gt_i32_e64 s13, 0, v20
	v_not_b32_e32 v3, v21
	v_ashrrev_i32_e32 v6, 31, v6
	v_xor_b32_e32 v5, vcc_lo, v5
	v_and_b32_e32 v2, v2, v4
	v_cmp_gt_i32_e32 vcc_lo, 0, v21
	v_not_b32_e32 v4, v0
	v_ashrrev_i32_e32 v3, 31, v3
	v_xor_b32_e32 v6, s13, v6
	v_and_b32_e32 v2, v2, v5
	v_lshlrev_b32_e32 v1, 3, v1
	v_cmp_gt_i32_e64 s13, 0, v0
	v_ashrrev_i32_e32 v0, 31, v4
	v_xor_b32_e32 v3, vcc_lo, v3
	v_and_b32_e32 v2, v2, v6
	v_add_lshl_u32 v1, v1, v74, 2
	s_delay_alu instid0(VALU_DEP_4) | instskip(NEXT) | instid1(VALU_DEP_3)
	v_xor_b32_e32 v0, s13, v0
	v_and_b32_e32 v2, v2, v3
	ds_load_b32 v20, v1 offset:32
	v_add_nc_u32_e32 v22, 32, v1
	; wave barrier
	v_and_b32_e32 v0, v2, v0
	s_delay_alu instid0(VALU_DEP_1) | instskip(SKIP_1) | instid1(VALU_DEP_2)
	v_mbcnt_lo_u32_b32 v21, v0, 0
	v_cmp_ne_u32_e64 s13, 0, v0
	v_cmp_eq_u32_e32 vcc_lo, 0, v21
	s_delay_alu instid0(VALU_DEP_2) | instskip(NEXT) | instid1(SALU_CYCLE_1)
	s_and_b32 s25, s13, vcc_lo
	s_and_saveexec_b32 s13, s25
	s_cbranch_execz .LBB319_12
; %bb.11:                               ;   in Loop: Header=BB319_4 Depth=2
	s_waitcnt lgkmcnt(0)
	v_bcnt_u32_b32 v0, v0, v20
	ds_store_b32 v22, v0
.LBB319_12:                             ;   in Loop: Header=BB319_4 Depth=2
	s_or_b32 exec_lo, exec_lo, s13
	v_lshrrev_b64 v[0:1], s22, v[37:38]
	; wave barrier
	s_delay_alu instid0(VALU_DEP_1)
	v_and_b32_e32 v2, 1, v0
	v_lshlrev_b32_e32 v3, 30, v0
	v_lshlrev_b32_e32 v4, 29, v0
	;; [unrolled: 1-line block ×4, first 2 shown]
	v_add_co_u32 v2, s13, v2, -1
	s_delay_alu instid0(VALU_DEP_1)
	v_cndmask_b32_e64 v6, 0, 1, s13
	v_not_b32_e32 v25, v3
	v_cmp_gt_i32_e64 s13, 0, v3
	v_not_b32_e32 v3, v4
	v_lshlrev_b32_e32 v23, 26, v0
	v_cmp_ne_u32_e32 vcc_lo, 0, v6
	v_ashrrev_i32_e32 v6, 31, v25
	v_lshlrev_b32_e32 v24, 25, v0
	v_ashrrev_i32_e32 v3, 31, v3
	v_and_b32_e32 v1, 0xff, v0
	v_xor_b32_e32 v2, vcc_lo, v2
	v_cmp_gt_i32_e32 vcc_lo, 0, v4
	v_not_b32_e32 v4, v5
	v_xor_b32_e32 v6, s13, v6
	v_cmp_gt_i32_e64 s13, 0, v5
	v_and_b32_e32 v2, exec_lo, v2
	v_not_b32_e32 v5, v7
	v_ashrrev_i32_e32 v4, 31, v4
	v_xor_b32_e32 v3, vcc_lo, v3
	v_cmp_gt_i32_e32 vcc_lo, 0, v7
	v_and_b32_e32 v2, v2, v6
	v_not_b32_e32 v6, v23
	v_ashrrev_i32_e32 v5, 31, v5
	v_xor_b32_e32 v4, s13, v4
	v_lshlrev_b32_e32 v0, 24, v0
	v_and_b32_e32 v2, v2, v3
	v_cmp_gt_i32_e64 s13, 0, v23
	v_not_b32_e32 v3, v24
	v_ashrrev_i32_e32 v6, 31, v6
	v_xor_b32_e32 v5, vcc_lo, v5
	v_and_b32_e32 v2, v2, v4
	v_cmp_gt_i32_e32 vcc_lo, 0, v24
	v_not_b32_e32 v4, v0
	v_ashrrev_i32_e32 v3, 31, v3
	v_xor_b32_e32 v6, s13, v6
	v_and_b32_e32 v2, v2, v5
	v_lshlrev_b32_e32 v1, 3, v1
	v_cmp_gt_i32_e64 s13, 0, v0
	v_ashrrev_i32_e32 v0, 31, v4
	v_xor_b32_e32 v3, vcc_lo, v3
	v_and_b32_e32 v2, v2, v6
	v_add_lshl_u32 v1, v1, v74, 2
	s_delay_alu instid0(VALU_DEP_4) | instskip(NEXT) | instid1(VALU_DEP_3)
	v_xor_b32_e32 v0, s13, v0
	v_and_b32_e32 v2, v2, v3
	ds_load_b32 v23, v1 offset:32
	v_add_nc_u32_e32 v25, 32, v1
	; wave barrier
	v_and_b32_e32 v0, v2, v0
	s_delay_alu instid0(VALU_DEP_1) | instskip(SKIP_1) | instid1(VALU_DEP_2)
	v_mbcnt_lo_u32_b32 v24, v0, 0
	v_cmp_ne_u32_e64 s13, 0, v0
	v_cmp_eq_u32_e32 vcc_lo, 0, v24
	s_delay_alu instid0(VALU_DEP_2) | instskip(NEXT) | instid1(SALU_CYCLE_1)
	s_and_b32 s25, s13, vcc_lo
	s_and_saveexec_b32 s13, s25
	s_cbranch_execz .LBB319_14
; %bb.13:                               ;   in Loop: Header=BB319_4 Depth=2
	s_waitcnt lgkmcnt(0)
	v_bcnt_u32_b32 v0, v0, v23
	ds_store_b32 v25, v0
.LBB319_14:                             ;   in Loop: Header=BB319_4 Depth=2
	s_or_b32 exec_lo, exec_lo, s13
	v_lshrrev_b64 v[0:1], s22, v[31:32]
	; wave barrier
	s_delay_alu instid0(VALU_DEP_1)
	v_and_b32_e32 v2, 1, v0
	v_lshlrev_b32_e32 v3, 30, v0
	v_lshlrev_b32_e32 v4, 29, v0
	;; [unrolled: 1-line block ×4, first 2 shown]
	v_add_co_u32 v2, s13, v2, -1
	s_delay_alu instid0(VALU_DEP_1)
	v_cndmask_b32_e64 v6, 0, 1, s13
	v_not_b32_e32 v28, v3
	v_cmp_gt_i32_e64 s13, 0, v3
	v_not_b32_e32 v3, v4
	v_lshlrev_b32_e32 v26, 26, v0
	v_cmp_ne_u32_e32 vcc_lo, 0, v6
	v_ashrrev_i32_e32 v6, 31, v28
	v_lshlrev_b32_e32 v27, 25, v0
	v_ashrrev_i32_e32 v3, 31, v3
	v_and_b32_e32 v1, 0xff, v0
	v_xor_b32_e32 v2, vcc_lo, v2
	v_cmp_gt_i32_e32 vcc_lo, 0, v4
	v_not_b32_e32 v4, v5
	v_xor_b32_e32 v6, s13, v6
	v_cmp_gt_i32_e64 s13, 0, v5
	v_and_b32_e32 v2, exec_lo, v2
	v_not_b32_e32 v5, v7
	v_ashrrev_i32_e32 v4, 31, v4
	v_xor_b32_e32 v3, vcc_lo, v3
	v_cmp_gt_i32_e32 vcc_lo, 0, v7
	v_and_b32_e32 v2, v2, v6
	v_not_b32_e32 v6, v26
	v_ashrrev_i32_e32 v5, 31, v5
	v_xor_b32_e32 v4, s13, v4
	v_lshlrev_b32_e32 v0, 24, v0
	v_and_b32_e32 v2, v2, v3
	v_cmp_gt_i32_e64 s13, 0, v26
	v_not_b32_e32 v3, v27
	v_ashrrev_i32_e32 v6, 31, v6
	v_xor_b32_e32 v5, vcc_lo, v5
	v_and_b32_e32 v2, v2, v4
	v_cmp_gt_i32_e32 vcc_lo, 0, v27
	v_not_b32_e32 v4, v0
	v_ashrrev_i32_e32 v3, 31, v3
	v_xor_b32_e32 v6, s13, v6
	v_and_b32_e32 v2, v2, v5
	v_lshlrev_b32_e32 v1, 3, v1
	v_cmp_gt_i32_e64 s13, 0, v0
	v_ashrrev_i32_e32 v0, 31, v4
	v_xor_b32_e32 v3, vcc_lo, v3
	v_and_b32_e32 v2, v2, v6
	v_add_lshl_u32 v1, v1, v74, 2
	s_delay_alu instid0(VALU_DEP_4) | instskip(NEXT) | instid1(VALU_DEP_3)
	v_xor_b32_e32 v0, s13, v0
	v_and_b32_e32 v2, v2, v3
	ds_load_b32 v26, v1 offset:32
	v_add_nc_u32_e32 v28, 32, v1
	; wave barrier
	v_and_b32_e32 v0, v2, v0
	s_delay_alu instid0(VALU_DEP_1) | instskip(SKIP_1) | instid1(VALU_DEP_2)
	v_mbcnt_lo_u32_b32 v27, v0, 0
	v_cmp_ne_u32_e64 s13, 0, v0
	v_cmp_eq_u32_e32 vcc_lo, 0, v27
	s_delay_alu instid0(VALU_DEP_2) | instskip(NEXT) | instid1(SALU_CYCLE_1)
	s_and_b32 s25, s13, vcc_lo
	s_and_saveexec_b32 s13, s25
	s_cbranch_execz .LBB319_16
; %bb.15:                               ;   in Loop: Header=BB319_4 Depth=2
	s_waitcnt lgkmcnt(0)
	v_bcnt_u32_b32 v0, v0, v26
	ds_store_b32 v28, v0
.LBB319_16:                             ;   in Loop: Header=BB319_4 Depth=2
	s_or_b32 exec_lo, exec_lo, s13
	v_lshrrev_b64 v[0:1], s22, v[18:19]
	; wave barrier
	s_delay_alu instid0(VALU_DEP_1)
	v_and_b32_e32 v2, 1, v0
	v_lshlrev_b32_e32 v3, 30, v0
	v_lshlrev_b32_e32 v4, 29, v0
	v_lshlrev_b32_e32 v5, 28, v0
	v_lshlrev_b32_e32 v7, 27, v0
	v_add_co_u32 v2, s13, v2, -1
	s_delay_alu instid0(VALU_DEP_1)
	v_cndmask_b32_e64 v6, 0, 1, s13
	v_not_b32_e32 v35, v3
	v_cmp_gt_i32_e64 s13, 0, v3
	v_not_b32_e32 v3, v4
	v_lshlrev_b32_e32 v33, 26, v0
	v_cmp_ne_u32_e32 vcc_lo, 0, v6
	v_ashrrev_i32_e32 v6, 31, v35
	v_lshlrev_b32_e32 v34, 25, v0
	v_ashrrev_i32_e32 v3, 31, v3
	v_and_b32_e32 v1, 0xff, v0
	v_xor_b32_e32 v2, vcc_lo, v2
	v_cmp_gt_i32_e32 vcc_lo, 0, v4
	v_not_b32_e32 v4, v5
	v_xor_b32_e32 v6, s13, v6
	v_cmp_gt_i32_e64 s13, 0, v5
	v_and_b32_e32 v2, exec_lo, v2
	v_not_b32_e32 v5, v7
	v_ashrrev_i32_e32 v4, 31, v4
	v_xor_b32_e32 v3, vcc_lo, v3
	v_cmp_gt_i32_e32 vcc_lo, 0, v7
	v_and_b32_e32 v2, v2, v6
	v_not_b32_e32 v6, v33
	v_ashrrev_i32_e32 v5, 31, v5
	v_xor_b32_e32 v4, s13, v4
	v_lshlrev_b32_e32 v0, 24, v0
	v_and_b32_e32 v2, v2, v3
	v_cmp_gt_i32_e64 s13, 0, v33
	v_not_b32_e32 v3, v34
	v_ashrrev_i32_e32 v6, 31, v6
	v_xor_b32_e32 v5, vcc_lo, v5
	v_and_b32_e32 v2, v2, v4
	v_cmp_gt_i32_e32 vcc_lo, 0, v34
	v_not_b32_e32 v4, v0
	v_ashrrev_i32_e32 v3, 31, v3
	v_xor_b32_e32 v6, s13, v6
	v_and_b32_e32 v2, v2, v5
	v_lshlrev_b32_e32 v1, 3, v1
	v_cmp_gt_i32_e64 s13, 0, v0
	v_ashrrev_i32_e32 v0, 31, v4
	v_xor_b32_e32 v3, vcc_lo, v3
	v_and_b32_e32 v2, v2, v6
	v_add_lshl_u32 v1, v1, v74, 2
	s_delay_alu instid0(VALU_DEP_4) | instskip(NEXT) | instid1(VALU_DEP_3)
	v_xor_b32_e32 v0, s13, v0
	v_and_b32_e32 v2, v2, v3
	ds_load_b32 v33, v1 offset:32
	v_add_nc_u32_e32 v35, 32, v1
	; wave barrier
	v_and_b32_e32 v0, v2, v0
	s_delay_alu instid0(VALU_DEP_1) | instskip(SKIP_1) | instid1(VALU_DEP_2)
	v_mbcnt_lo_u32_b32 v34, v0, 0
	v_cmp_ne_u32_e64 s13, 0, v0
	v_cmp_eq_u32_e32 vcc_lo, 0, v34
	s_delay_alu instid0(VALU_DEP_2) | instskip(NEXT) | instid1(SALU_CYCLE_1)
	s_and_b32 s25, s13, vcc_lo
	s_and_saveexec_b32 s13, s25
	s_cbranch_execz .LBB319_18
; %bb.17:                               ;   in Loop: Header=BB319_4 Depth=2
	s_waitcnt lgkmcnt(0)
	v_bcnt_u32_b32 v0, v0, v33
	ds_store_b32 v35, v0
.LBB319_18:                             ;   in Loop: Header=BB319_4 Depth=2
	s_or_b32 exec_lo, exec_lo, s13
	v_lshrrev_b64 v[0:1], s22, v[16:17]
	; wave barrier
	s_delay_alu instid0(VALU_DEP_1)
	v_and_b32_e32 v2, 1, v0
	v_lshlrev_b32_e32 v3, 30, v0
	v_lshlrev_b32_e32 v4, 29, v0
	v_lshlrev_b32_e32 v5, 28, v0
	v_lshlrev_b32_e32 v7, 27, v0
	v_add_co_u32 v2, s13, v2, -1
	s_delay_alu instid0(VALU_DEP_1)
	v_cndmask_b32_e64 v6, 0, 1, s13
	v_not_b32_e32 v46, v3
	v_cmp_gt_i32_e64 s13, 0, v3
	v_not_b32_e32 v3, v4
	v_lshlrev_b32_e32 v36, 26, v0
	v_cmp_ne_u32_e32 vcc_lo, 0, v6
	v_ashrrev_i32_e32 v6, 31, v46
	v_lshlrev_b32_e32 v45, 25, v0
	v_ashrrev_i32_e32 v3, 31, v3
	v_and_b32_e32 v1, 0xff, v0
	v_xor_b32_e32 v2, vcc_lo, v2
	v_cmp_gt_i32_e32 vcc_lo, 0, v4
	v_not_b32_e32 v4, v5
	v_xor_b32_e32 v6, s13, v6
	v_cmp_gt_i32_e64 s13, 0, v5
	v_and_b32_e32 v2, exec_lo, v2
	v_not_b32_e32 v5, v7
	v_ashrrev_i32_e32 v4, 31, v4
	v_xor_b32_e32 v3, vcc_lo, v3
	v_cmp_gt_i32_e32 vcc_lo, 0, v7
	v_and_b32_e32 v2, v2, v6
	v_not_b32_e32 v6, v36
	v_ashrrev_i32_e32 v5, 31, v5
	v_xor_b32_e32 v4, s13, v4
	v_lshlrev_b32_e32 v0, 24, v0
	v_and_b32_e32 v2, v2, v3
	v_cmp_gt_i32_e64 s13, 0, v36
	v_not_b32_e32 v3, v45
	v_ashrrev_i32_e32 v6, 31, v6
	v_xor_b32_e32 v5, vcc_lo, v5
	v_and_b32_e32 v2, v2, v4
	v_cmp_gt_i32_e32 vcc_lo, 0, v45
	v_not_b32_e32 v4, v0
	v_ashrrev_i32_e32 v3, 31, v3
	v_xor_b32_e32 v6, s13, v6
	v_and_b32_e32 v2, v2, v5
	v_lshlrev_b32_e32 v1, 3, v1
	v_cmp_gt_i32_e64 s13, 0, v0
	v_ashrrev_i32_e32 v0, 31, v4
	v_xor_b32_e32 v3, vcc_lo, v3
	v_and_b32_e32 v2, v2, v6
	v_add_lshl_u32 v1, v1, v74, 2
	s_delay_alu instid0(VALU_DEP_4) | instskip(NEXT) | instid1(VALU_DEP_3)
	v_xor_b32_e32 v0, s13, v0
	v_and_b32_e32 v2, v2, v3
	ds_load_b32 v36, v1 offset:32
	v_add_nc_u32_e32 v46, 32, v1
	; wave barrier
	v_and_b32_e32 v0, v2, v0
	s_delay_alu instid0(VALU_DEP_1) | instskip(SKIP_1) | instid1(VALU_DEP_2)
	v_mbcnt_lo_u32_b32 v45, v0, 0
	v_cmp_ne_u32_e64 s13, 0, v0
	v_cmp_eq_u32_e32 vcc_lo, 0, v45
	s_delay_alu instid0(VALU_DEP_2) | instskip(NEXT) | instid1(SALU_CYCLE_1)
	s_and_b32 s25, s13, vcc_lo
	s_and_saveexec_b32 s13, s25
	s_cbranch_execz .LBB319_20
; %bb.19:                               ;   in Loop: Header=BB319_4 Depth=2
	s_waitcnt lgkmcnt(0)
	v_bcnt_u32_b32 v0, v0, v36
	ds_store_b32 v46, v0
.LBB319_20:                             ;   in Loop: Header=BB319_4 Depth=2
	s_or_b32 exec_lo, exec_lo, s13
	; wave barrier
	s_waitcnt lgkmcnt(0)
	s_barrier
	buffer_gl0_inv
	ds_load_2addr_b64 v[4:7], v66 offset0:4 offset1:5
	ds_load_2addr_b64 v[0:3], v67 offset0:2 offset1:3
	s_waitcnt lgkmcnt(1)
	v_add_nc_u32_e32 v47, v5, v4
	s_delay_alu instid0(VALU_DEP_1) | instskip(SKIP_1) | instid1(VALU_DEP_1)
	v_add3_u32 v47, v47, v6, v7
	s_waitcnt lgkmcnt(0)
	v_add3_u32 v47, v47, v0, v1
	s_delay_alu instid0(VALU_DEP_1) | instskip(NEXT) | instid1(VALU_DEP_1)
	v_add3_u32 v3, v47, v2, v3
	v_mov_b32_dpp v47, v3 row_shr:1 row_mask:0xf bank_mask:0xf
	s_delay_alu instid0(VALU_DEP_1) | instskip(NEXT) | instid1(VALU_DEP_1)
	v_cndmask_b32_e64 v47, v47, 0, s1
	v_add_nc_u32_e32 v3, v47, v3
	s_delay_alu instid0(VALU_DEP_1) | instskip(NEXT) | instid1(VALU_DEP_1)
	v_mov_b32_dpp v47, v3 row_shr:2 row_mask:0xf bank_mask:0xf
	v_cndmask_b32_e64 v47, 0, v47, s2
	s_delay_alu instid0(VALU_DEP_1) | instskip(NEXT) | instid1(VALU_DEP_1)
	v_add_nc_u32_e32 v3, v3, v47
	v_mov_b32_dpp v47, v3 row_shr:4 row_mask:0xf bank_mask:0xf
	s_delay_alu instid0(VALU_DEP_1) | instskip(NEXT) | instid1(VALU_DEP_1)
	v_cndmask_b32_e64 v47, 0, v47, s3
	v_add_nc_u32_e32 v3, v3, v47
	s_delay_alu instid0(VALU_DEP_1) | instskip(NEXT) | instid1(VALU_DEP_1)
	v_mov_b32_dpp v47, v3 row_shr:8 row_mask:0xf bank_mask:0xf
	v_cndmask_b32_e64 v47, 0, v47, s4
	s_delay_alu instid0(VALU_DEP_1) | instskip(SKIP_3) | instid1(VALU_DEP_1)
	v_add_nc_u32_e32 v3, v3, v47
	ds_swizzle_b32 v47, v3 offset:swizzle(BROADCAST,32,15)
	s_waitcnt lgkmcnt(0)
	v_cndmask_b32_e64 v47, v47, 0, s5
	v_add_nc_u32_e32 v3, v3, v47
	s_and_saveexec_b32 s13, s12
	s_cbranch_execz .LBB319_22
; %bb.21:                               ;   in Loop: Header=BB319_4 Depth=2
	ds_store_b32 v69, v3
.LBB319_22:                             ;   in Loop: Header=BB319_4 Depth=2
	s_or_b32 exec_lo, exec_lo, s13
	s_waitcnt lgkmcnt(0)
	s_barrier
	buffer_gl0_inv
	s_and_saveexec_b32 s13, s6
	s_cbranch_execz .LBB319_24
; %bb.23:                               ;   in Loop: Header=BB319_4 Depth=2
	ds_load_b32 v47, v70
	s_waitcnt lgkmcnt(0)
	v_mov_b32_dpp v48, v47 row_shr:1 row_mask:0xf bank_mask:0xf
	s_delay_alu instid0(VALU_DEP_1) | instskip(NEXT) | instid1(VALU_DEP_1)
	v_cndmask_b32_e64 v48, v48, 0, s9
	v_add_nc_u32_e32 v47, v48, v47
	s_delay_alu instid0(VALU_DEP_1) | instskip(NEXT) | instid1(VALU_DEP_1)
	v_mov_b32_dpp v48, v47 row_shr:2 row_mask:0xf bank_mask:0xf
	v_cndmask_b32_e64 v48, 0, v48, s10
	s_delay_alu instid0(VALU_DEP_1) | instskip(NEXT) | instid1(VALU_DEP_1)
	v_add_nc_u32_e32 v47, v47, v48
	v_mov_b32_dpp v48, v47 row_shr:4 row_mask:0xf bank_mask:0xf
	s_delay_alu instid0(VALU_DEP_1) | instskip(NEXT) | instid1(VALU_DEP_1)
	v_cndmask_b32_e64 v48, 0, v48, s11
	v_add_nc_u32_e32 v47, v47, v48
	ds_store_b32 v70, v47
.LBB319_24:                             ;   in Loop: Header=BB319_4 Depth=2
	s_or_b32 exec_lo, exec_lo, s13
	v_mov_b32_e32 v47, 0
	s_waitcnt lgkmcnt(0)
	s_barrier
	buffer_gl0_inv
	s_and_saveexec_b32 s13, s7
	s_cbranch_execz .LBB319_26
; %bb.25:                               ;   in Loop: Header=BB319_4 Depth=2
	ds_load_b32 v47, v73
.LBB319_26:                             ;   in Loop: Header=BB319_4 Depth=2
	s_or_b32 exec_lo, exec_lo, s13
	s_waitcnt lgkmcnt(0)
	v_add_nc_u32_e32 v3, v47, v3
	s_cmp_gt_u32 s22, 55
	ds_bpermute_b32 v3, v68, v3
	s_waitcnt lgkmcnt(0)
	v_cndmask_b32_e64 v3, v3, v47, s0
	s_delay_alu instid0(VALU_DEP_1) | instskip(NEXT) | instid1(VALU_DEP_1)
	v_cndmask_b32_e64 v3, v3, 0, s8
	v_add_nc_u32_e32 v4, v3, v4
	s_delay_alu instid0(VALU_DEP_1) | instskip(NEXT) | instid1(VALU_DEP_1)
	v_add_nc_u32_e32 v5, v4, v5
	v_add_nc_u32_e32 v6, v5, v6
	s_delay_alu instid0(VALU_DEP_1) | instskip(NEXT) | instid1(VALU_DEP_1)
	v_add_nc_u32_e32 v47, v6, v7
	;; [unrolled: 3-line block ×3, first 2 shown]
	v_add_nc_u32_e32 v1, v0, v2
	ds_store_2addr_b64 v66, v[3:4], v[5:6] offset0:4 offset1:5
	ds_store_2addr_b64 v67, v[47:48], v[0:1] offset0:2 offset1:3
	s_waitcnt lgkmcnt(0)
	s_barrier
	buffer_gl0_inv
	ds_load_b32 v0, v9
	ds_load_b32 v1, v12
	;; [unrolled: 1-line block ×8, first 2 shown]
	s_waitcnt lgkmcnt(7)
	v_add_nc_u32_e32 v82, v0, v8
	s_waitcnt lgkmcnt(6)
	v_add3_u32 v81, v11, v10, v1
	s_waitcnt lgkmcnt(5)
	v_add3_u32 v80, v14, v13, v2
	;; [unrolled: 2-line block ×7, first 2 shown]
	s_cbranch_scc0 .LBB319_3
; %bb.27:                               ;   in Loop: Header=BB319_2 Depth=1
                                        ; implicit-def: $vgpr47_vgpr48
                                        ; implicit-def: $vgpr35_vgpr36
                                        ; implicit-def: $vgpr27_vgpr28
                                        ; implicit-def: $vgpr23_vgpr24
                                        ; implicit-def: $vgpr14_vgpr15
                                        ; implicit-def: $vgpr10_vgpr11
                                        ; implicit-def: $vgpr6_vgpr7
                                        ; implicit-def: $vgpr2_vgpr3
                                        ; implicit-def: $sgpr22_sgpr23
	s_branch .LBB319_1
.LBB319_28:
	s_waitcnt lgkmcnt(3)
	v_add_co_u32 v13, vcc_lo, v13, v41
	v_add_co_ci_u32_e32 v14, vcc_lo, v14, v42, vcc_lo
	v_add_co_u32 v15, vcc_lo, v15, v43
	v_add_co_ci_u32_e32 v16, vcc_lo, v16, v44, vcc_lo
	s_waitcnt lgkmcnt(2)
	v_add_co_u32 v9, vcc_lo, v9, v37
	v_add_co_ci_u32_e32 v10, vcc_lo, v10, v38, vcc_lo
	v_add_co_u32 v11, vcc_lo, v11, v39
	v_add_co_ci_u32_e32 v12, vcc_lo, v12, v40, vcc_lo
	;; [unrolled: 5-line block ×3, first 2 shown]
	s_add_u32 s0, s18, s14
	s_waitcnt lgkmcnt(0)
	v_add_co_u32 v0, vcc_lo, v1, v17
	s_addc_u32 s1, s19, s15
	v_add_co_u32 v23, s2, s0, v65
	v_add_co_ci_u32_e32 v1, vcc_lo, v2, v18, vcc_lo
	v_add_co_ci_u32_e64 v24, null, s1, 0, s2
	v_add_co_u32 v2, vcc_lo, v3, v19
	v_add_co_ci_u32_e32 v3, vcc_lo, v4, v20, vcc_lo
	v_add_co_u32 v17, vcc_lo, 0x1000, v23
	s_delay_alu instid0(VALU_DEP_4)
	v_add_co_ci_u32_e32 v18, vcc_lo, 0, v24, vcc_lo
	v_add_co_u32 v19, vcc_lo, v23, 0x2000
	v_add_co_ci_u32_e32 v20, vcc_lo, 0, v24, vcc_lo
	v_add_co_u32 v21, vcc_lo, 0x2000, v23
	;; [unrolled: 2-line block ×3, first 2 shown]
	global_store_b64 v[19:20], v[5:6], off
	v_add_co_ci_u32_e32 v5, vcc_lo, 0, v24, vcc_lo
	s_clause 0x6
	global_store_b64 v65, v[13:14], s[0:1]
	global_store_b64 v65, v[15:16], s[0:1] offset:2048
	global_store_b64 v[17:18], v[11:12], off offset:2048
	global_store_b64 v[21:22], v[7:8], off offset:2048
	global_store_b64 v[4:5], v[0:1], off
	global_store_b64 v[19:20], v[9:10], off offset:-4096
	global_store_b64 v[4:5], v[2:3], off offset:2048
	s_nop 0
	s_sendmsg sendmsg(MSG_DEALLOC_VGPRS)
	s_endpgm
	.section	.rodata,"a",@progbits
	.p2align	6, 0x0
	.amdhsa_kernel _Z17sort_pairs_kernelI22helper_blocked_stripedxLj256ELj8ELj10EEvPKT0_PS1_
		.amdhsa_group_segment_fixed_size 16384
		.amdhsa_private_segment_fixed_size 0
		.amdhsa_kernarg_size 272
		.amdhsa_user_sgpr_count 15
		.amdhsa_user_sgpr_dispatch_ptr 0
		.amdhsa_user_sgpr_queue_ptr 0
		.amdhsa_user_sgpr_kernarg_segment_ptr 1
		.amdhsa_user_sgpr_dispatch_id 0
		.amdhsa_user_sgpr_private_segment_size 0
		.amdhsa_wavefront_size32 1
		.amdhsa_uses_dynamic_stack 0
		.amdhsa_enable_private_segment 0
		.amdhsa_system_sgpr_workgroup_id_x 1
		.amdhsa_system_sgpr_workgroup_id_y 0
		.amdhsa_system_sgpr_workgroup_id_z 0
		.amdhsa_system_sgpr_workgroup_info 0
		.amdhsa_system_vgpr_workitem_id 2
		.amdhsa_next_free_vgpr 83
		.amdhsa_next_free_sgpr 26
		.amdhsa_reserve_vcc 1
		.amdhsa_float_round_mode_32 0
		.amdhsa_float_round_mode_16_64 0
		.amdhsa_float_denorm_mode_32 3
		.amdhsa_float_denorm_mode_16_64 3
		.amdhsa_dx10_clamp 1
		.amdhsa_ieee_mode 1
		.amdhsa_fp16_overflow 0
		.amdhsa_workgroup_processor_mode 1
		.amdhsa_memory_ordered 1
		.amdhsa_forward_progress 0
		.amdhsa_shared_vgpr_count 0
		.amdhsa_exception_fp_ieee_invalid_op 0
		.amdhsa_exception_fp_denorm_src 0
		.amdhsa_exception_fp_ieee_div_zero 0
		.amdhsa_exception_fp_ieee_overflow 0
		.amdhsa_exception_fp_ieee_underflow 0
		.amdhsa_exception_fp_ieee_inexact 0
		.amdhsa_exception_int_div_zero 0
	.end_amdhsa_kernel
	.section	.text._Z17sort_pairs_kernelI22helper_blocked_stripedxLj256ELj8ELj10EEvPKT0_PS1_,"axG",@progbits,_Z17sort_pairs_kernelI22helper_blocked_stripedxLj256ELj8ELj10EEvPKT0_PS1_,comdat
.Lfunc_end319:
	.size	_Z17sort_pairs_kernelI22helper_blocked_stripedxLj256ELj8ELj10EEvPKT0_PS1_, .Lfunc_end319-_Z17sort_pairs_kernelI22helper_blocked_stripedxLj256ELj8ELj10EEvPKT0_PS1_
                                        ; -- End function
	.section	.AMDGPU.csdata,"",@progbits
; Kernel info:
; codeLenInByte = 5172
; NumSgprs: 28
; NumVgprs: 83
; ScratchSize: 0
; MemoryBound: 0
; FloatMode: 240
; IeeeMode: 1
; LDSByteSize: 16384 bytes/workgroup (compile time only)
; SGPRBlocks: 3
; VGPRBlocks: 10
; NumSGPRsForWavesPerEU: 28
; NumVGPRsForWavesPerEU: 83
; Occupancy: 16
; WaveLimiterHint : 1
; COMPUTE_PGM_RSRC2:SCRATCH_EN: 0
; COMPUTE_PGM_RSRC2:USER_SGPR: 15
; COMPUTE_PGM_RSRC2:TRAP_HANDLER: 0
; COMPUTE_PGM_RSRC2:TGID_X_EN: 1
; COMPUTE_PGM_RSRC2:TGID_Y_EN: 0
; COMPUTE_PGM_RSRC2:TGID_Z_EN: 0
; COMPUTE_PGM_RSRC2:TIDIG_COMP_CNT: 2
	.section	.text._Z16sort_keys_kernelI22helper_blocked_stripedxLj320ELj1ELj10EEvPKT0_PS1_,"axG",@progbits,_Z16sort_keys_kernelI22helper_blocked_stripedxLj320ELj1ELj10EEvPKT0_PS1_,comdat
	.protected	_Z16sort_keys_kernelI22helper_blocked_stripedxLj320ELj1ELj10EEvPKT0_PS1_ ; -- Begin function _Z16sort_keys_kernelI22helper_blocked_stripedxLj320ELj1ELj10EEvPKT0_PS1_
	.globl	_Z16sort_keys_kernelI22helper_blocked_stripedxLj320ELj1ELj10EEvPKT0_PS1_
	.p2align	8
	.type	_Z16sort_keys_kernelI22helper_blocked_stripedxLj320ELj1ELj10EEvPKT0_PS1_,@function
_Z16sort_keys_kernelI22helper_blocked_stripedxLj320ELj1ELj10EEvPKT0_PS1_: ; @_Z16sort_keys_kernelI22helper_blocked_stripedxLj320ELj1ELj10EEvPKT0_PS1_
; %bb.0:
	s_clause 0x1
	s_load_b128 s[16:19], s[0:1], 0x0
	s_load_b32 s9, s[0:1], 0x1c
	v_and_b32_e32 v8, 0x3ff, v0
	s_mov_b32 s11, 0
	s_mul_i32 s10, s15, 0x140
	v_mbcnt_lo_u32_b32 v5, -1, 0
	s_lshl_b64 s[12:13], s[10:11], 3
	v_lshlrev_b32_e32 v1, 3, v8
	s_mov_b32 s10, s11
	v_bfe_u32 v3, v0, 10, 10
	v_and_b32_e32 v6, 16, v5
	v_dual_mov_b32 v12, s11 :: v_dual_add_nc_u32 v7, -1, v5
	v_bfe_u32 v0, v0, 20, 10
	v_dual_mov_b32 v11, s10 :: v_dual_and_b32 v4, 15, v5
	s_delay_alu instid0(VALU_DEP_4) | instskip(NEXT) | instid1(VALU_DEP_4)
	v_cmp_eq_u32_e64 s5, 0, v6
	v_cmp_gt_i32_e32 vcc_lo, 0, v7
	s_delay_alu instid0(VALU_DEP_3)
	v_cmp_lt_u32_e64 s2, 1, v4
	s_waitcnt lgkmcnt(0)
	s_add_u32 s0, s16, s12
	s_addc_u32 s1, s17, s13
	s_lshr_b32 s10, s9, 16
	global_load_b64 v[1:2], v1, s[0:1]
	s_mov_b32 s1, s11
	s_mov_b32 s0, s11
	s_delay_alu instid0(SALU_CYCLE_1)
	v_dual_mov_b32 v10, s1 :: v_dual_mov_b32 v9, s0
	v_dual_cndmask_b32 v7, v7, v5 :: v_dual_and_b32 v6, 0x1e0, v8
	v_cmp_eq_u32_e64 s1, 0, v4
	v_cmp_lt_u32_e64 s3, 3, v4
	v_cmp_lt_u32_e64 s4, 7, v4
	v_lshrrev_b32_e32 v4, 3, v8
	v_mad_u32_u24 v0, v0, s10, v3
	v_lshlrev_b32_e32 v15, 5, v8
	v_min_u32_e32 v14, 0x120, v6
	s_and_b32 s9, s9, 0xffff
	v_and_b32_e32 v17, 60, v4
	v_mad_u64_u32 v[3:4], null, v0, s9, v[8:9]
	v_lshlrev_b32_e32 v13, 2, v8
	v_or_b32_e32 v0, v5, v6
	v_or_b32_e32 v4, 31, v14
	v_mad_i32_i24 v19, 0xffffffe4, v8, v15
	v_cmp_eq_u32_e64 s0, 0, v5
	v_cmp_gt_u32_e64 s6, 10, v8
	v_cmp_lt_u32_e64 s7, 31, v8
	v_cmp_eq_u32_e64 s8, 0, v8
	v_add_nc_u32_e32 v16, 40, v15
	v_lshlrev_b32_e32 v18, 2, v7
	v_add_nc_u32_e32 v20, -4, v17
	v_lshlrev_b32_e32 v21, 3, v0
	v_cmp_eq_u32_e64 s9, v4, v8
	v_lshrrev_b32_e32 v22, 5, v3
	v_add_nc_u32_e32 v23, v19, v13
	s_waitcnt vmcnt(0)
	v_xor_b32_e32 v2, 0x80000000, v2
	s_branch .LBB320_2
.LBB320_1:                              ;   in Loop: Header=BB320_2 Depth=1
	s_delay_alu instid0(VALU_DEP_1)
	v_lshlrev_b32_e32 v0, 3, v0
	s_barrier
	buffer_gl0_inv
	s_add_i32 s11, s11, 1
	ds_store_b64 v0, v[13:14]
	s_waitcnt lgkmcnt(0)
	s_barrier
	buffer_gl0_inv
	ds_load_b64 v[1:2], v23
	s_cmp_eq_u32 s11, 10
	s_cbranch_scc1 .LBB320_14
.LBB320_2:                              ; =>This Loop Header: Depth=1
                                        ;     Child Loop BB320_4 Depth 2
	s_mov_b64 s[14:15], 0
	s_branch .LBB320_4
.LBB320_3:                              ;   in Loop: Header=BB320_4 Depth=2
	s_delay_alu instid0(VALU_DEP_1)
	v_lshlrev_b32_e32 v1, 3, v0
	s_barrier
	buffer_gl0_inv
	s_add_u32 s14, s14, 8
	ds_store_b64 v1, v[13:14]
	s_waitcnt lgkmcnt(0)
	s_barrier
	buffer_gl0_inv
	ds_load_b64 v[1:2], v21
	s_addc_u32 s15, s15, 0
	s_waitcnt lgkmcnt(0)
	s_barrier
	buffer_gl0_inv
	s_cbranch_execz .LBB320_1
.LBB320_4:                              ;   Parent Loop BB320_2 Depth=1
                                        ; =>  This Inner Loop Header: Depth=2
	s_waitcnt lgkmcnt(0)
	v_dual_mov_b32 v14, v2 :: v_dual_mov_b32 v13, v1
	ds_store_2addr_b64 v15, v[11:12], v[9:10] offset0:5 offset1:6
	ds_store_2addr_b64 v16, v[11:12], v[9:10] offset0:2 offset1:3
	s_waitcnt lgkmcnt(0)
	s_barrier
	buffer_gl0_inv
	v_lshrrev_b64 v[1:2], s14, v[13:14]
	; wave barrier
	s_delay_alu instid0(VALU_DEP_1)
	v_and_b32_e32 v0, 1, v1
	v_lshlrev_b32_e32 v2, 30, v1
	v_lshlrev_b32_e32 v3, 29, v1
	;; [unrolled: 1-line block ×4, first 2 shown]
	v_add_co_u32 v0, s10, v0, -1
	s_delay_alu instid0(VALU_DEP_1)
	v_cndmask_b32_e64 v5, 0, 1, s10
	v_not_b32_e32 v25, v2
	v_cmp_gt_i32_e64 s10, 0, v2
	v_not_b32_e32 v2, v3
	v_lshlrev_b32_e32 v7, 26, v1
	v_cmp_ne_u32_e32 vcc_lo, 0, v5
	v_ashrrev_i32_e32 v25, 31, v25
	v_lshlrev_b32_e32 v24, 25, v1
	v_ashrrev_i32_e32 v2, 31, v2
	v_lshlrev_b32_e32 v5, 24, v1
	v_xor_b32_e32 v0, vcc_lo, v0
	v_cmp_gt_i32_e32 vcc_lo, 0, v3
	v_not_b32_e32 v3, v4
	v_xor_b32_e32 v25, s10, v25
	v_cmp_gt_i32_e64 s10, 0, v4
	v_and_b32_e32 v0, exec_lo, v0
	v_not_b32_e32 v4, v6
	v_ashrrev_i32_e32 v3, 31, v3
	v_xor_b32_e32 v2, vcc_lo, v2
	v_cmp_gt_i32_e32 vcc_lo, 0, v6
	v_and_b32_e32 v0, v0, v25
	v_not_b32_e32 v6, v7
	v_ashrrev_i32_e32 v4, 31, v4
	v_xor_b32_e32 v3, s10, v3
	v_cmp_gt_i32_e64 s10, 0, v7
	v_and_b32_e32 v0, v0, v2
	v_not_b32_e32 v2, v24
	v_ashrrev_i32_e32 v6, 31, v6
	v_xor_b32_e32 v4, vcc_lo, v4
	v_cmp_gt_i32_e32 vcc_lo, 0, v24
	v_and_b32_e32 v0, v0, v3
	v_not_b32_e32 v3, v5
	v_ashrrev_i32_e32 v2, 31, v2
	v_xor_b32_e32 v6, s10, v6
	v_cmp_gt_i32_e64 s10, 0, v5
	v_and_b32_e32 v0, v0, v4
	v_ashrrev_i32_e32 v3, 31, v3
	v_xor_b32_e32 v2, vcc_lo, v2
	v_and_b32_e32 v1, 0xff, v1
	s_delay_alu instid0(VALU_DEP_4) | instskip(NEXT) | instid1(VALU_DEP_4)
	v_and_b32_e32 v0, v0, v6
	v_xor_b32_e32 v3, s10, v3
	s_delay_alu instid0(VALU_DEP_3) | instskip(NEXT) | instid1(VALU_DEP_3)
	v_mad_u32_u24 v1, v1, 10, v22
	v_and_b32_e32 v0, v0, v2
	s_delay_alu instid0(VALU_DEP_2) | instskip(NEXT) | instid1(VALU_DEP_2)
	v_lshl_add_u32 v25, v1, 2, 40
	v_and_b32_e32 v0, v0, v3
	s_delay_alu instid0(VALU_DEP_1) | instskip(SKIP_1) | instid1(VALU_DEP_2)
	v_mbcnt_lo_u32_b32 v24, v0, 0
	v_cmp_ne_u32_e64 s10, 0, v0
	v_cmp_eq_u32_e32 vcc_lo, 0, v24
	s_delay_alu instid0(VALU_DEP_2) | instskip(NEXT) | instid1(SALU_CYCLE_1)
	s_and_b32 s16, s10, vcc_lo
	s_and_saveexec_b32 s10, s16
	s_cbranch_execz .LBB320_6
; %bb.5:                                ;   in Loop: Header=BB320_4 Depth=2
	v_bcnt_u32_b32 v0, v0, 0
	ds_store_b32 v25, v0
.LBB320_6:                              ;   in Loop: Header=BB320_4 Depth=2
	s_or_b32 exec_lo, exec_lo, s10
	; wave barrier
	s_waitcnt lgkmcnt(0)
	s_barrier
	buffer_gl0_inv
	ds_load_2addr_b64 v[4:7], v15 offset0:5 offset1:6
	ds_load_2addr_b64 v[0:3], v16 offset0:2 offset1:3
	s_waitcnt lgkmcnt(1)
	v_add_nc_u32_e32 v26, v5, v4
	s_delay_alu instid0(VALU_DEP_1) | instskip(SKIP_1) | instid1(VALU_DEP_1)
	v_add3_u32 v26, v26, v6, v7
	s_waitcnt lgkmcnt(0)
	v_add3_u32 v26, v26, v0, v1
	s_delay_alu instid0(VALU_DEP_1) | instskip(NEXT) | instid1(VALU_DEP_1)
	v_add3_u32 v3, v26, v2, v3
	v_mov_b32_dpp v26, v3 row_shr:1 row_mask:0xf bank_mask:0xf
	s_delay_alu instid0(VALU_DEP_1) | instskip(NEXT) | instid1(VALU_DEP_1)
	v_cndmask_b32_e64 v26, v26, 0, s1
	v_add_nc_u32_e32 v3, v26, v3
	s_delay_alu instid0(VALU_DEP_1) | instskip(NEXT) | instid1(VALU_DEP_1)
	v_mov_b32_dpp v26, v3 row_shr:2 row_mask:0xf bank_mask:0xf
	v_cndmask_b32_e64 v26, 0, v26, s2
	s_delay_alu instid0(VALU_DEP_1) | instskip(NEXT) | instid1(VALU_DEP_1)
	v_add_nc_u32_e32 v3, v3, v26
	v_mov_b32_dpp v26, v3 row_shr:4 row_mask:0xf bank_mask:0xf
	s_delay_alu instid0(VALU_DEP_1) | instskip(NEXT) | instid1(VALU_DEP_1)
	v_cndmask_b32_e64 v26, 0, v26, s3
	v_add_nc_u32_e32 v3, v3, v26
	s_delay_alu instid0(VALU_DEP_1) | instskip(NEXT) | instid1(VALU_DEP_1)
	v_mov_b32_dpp v26, v3 row_shr:8 row_mask:0xf bank_mask:0xf
	v_cndmask_b32_e64 v26, 0, v26, s4
	s_delay_alu instid0(VALU_DEP_1) | instskip(SKIP_3) | instid1(VALU_DEP_1)
	v_add_nc_u32_e32 v3, v3, v26
	ds_swizzle_b32 v26, v3 offset:swizzle(BROADCAST,32,15)
	s_waitcnt lgkmcnt(0)
	v_cndmask_b32_e64 v26, v26, 0, s5
	v_add_nc_u32_e32 v3, v3, v26
	s_and_saveexec_b32 s10, s9
	s_cbranch_execz .LBB320_8
; %bb.7:                                ;   in Loop: Header=BB320_4 Depth=2
	ds_store_b32 v17, v3
.LBB320_8:                              ;   in Loop: Header=BB320_4 Depth=2
	s_or_b32 exec_lo, exec_lo, s10
	s_waitcnt lgkmcnt(0)
	s_barrier
	buffer_gl0_inv
	s_and_saveexec_b32 s10, s6
	s_cbranch_execz .LBB320_10
; %bb.9:                                ;   in Loop: Header=BB320_4 Depth=2
	ds_load_b32 v26, v19
	s_waitcnt lgkmcnt(0)
	v_mov_b32_dpp v27, v26 row_shr:1 row_mask:0xf bank_mask:0xf
	s_delay_alu instid0(VALU_DEP_1) | instskip(NEXT) | instid1(VALU_DEP_1)
	v_cndmask_b32_e64 v27, v27, 0, s1
	v_add_nc_u32_e32 v26, v27, v26
	s_delay_alu instid0(VALU_DEP_1) | instskip(NEXT) | instid1(VALU_DEP_1)
	v_mov_b32_dpp v27, v26 row_shr:2 row_mask:0xf bank_mask:0xf
	v_cndmask_b32_e64 v27, 0, v27, s2
	s_delay_alu instid0(VALU_DEP_1) | instskip(NEXT) | instid1(VALU_DEP_1)
	v_add_nc_u32_e32 v26, v26, v27
	v_mov_b32_dpp v27, v26 row_shr:4 row_mask:0xf bank_mask:0xf
	s_delay_alu instid0(VALU_DEP_1) | instskip(NEXT) | instid1(VALU_DEP_1)
	v_cndmask_b32_e64 v27, 0, v27, s3
	v_add_nc_u32_e32 v26, v26, v27
	s_delay_alu instid0(VALU_DEP_1) | instskip(NEXT) | instid1(VALU_DEP_1)
	v_mov_b32_dpp v27, v26 row_shr:8 row_mask:0xf bank_mask:0xf
	v_cndmask_b32_e64 v27, 0, v27, s4
	s_delay_alu instid0(VALU_DEP_1)
	v_add_nc_u32_e32 v26, v26, v27
	ds_store_b32 v19, v26
.LBB320_10:                             ;   in Loop: Header=BB320_4 Depth=2
	s_or_b32 exec_lo, exec_lo, s10
	v_mov_b32_e32 v26, 0
	s_waitcnt lgkmcnt(0)
	s_barrier
	buffer_gl0_inv
	s_and_saveexec_b32 s10, s7
	s_cbranch_execz .LBB320_12
; %bb.11:                               ;   in Loop: Header=BB320_4 Depth=2
	ds_load_b32 v26, v20
.LBB320_12:                             ;   in Loop: Header=BB320_4 Depth=2
	s_or_b32 exec_lo, exec_lo, s10
	s_waitcnt lgkmcnt(0)
	v_add_nc_u32_e32 v3, v26, v3
	s_cmp_gt_u32 s14, 55
	ds_bpermute_b32 v3, v18, v3
	s_waitcnt lgkmcnt(0)
	v_cndmask_b32_e64 v3, v3, v26, s0
	s_delay_alu instid0(VALU_DEP_1) | instskip(NEXT) | instid1(VALU_DEP_1)
	v_cndmask_b32_e64 v3, v3, 0, s8
	v_add_nc_u32_e32 v4, v3, v4
	s_delay_alu instid0(VALU_DEP_1) | instskip(NEXT) | instid1(VALU_DEP_1)
	v_add_nc_u32_e32 v5, v4, v5
	v_add_nc_u32_e32 v6, v5, v6
	s_delay_alu instid0(VALU_DEP_1) | instskip(NEXT) | instid1(VALU_DEP_1)
	v_add_nc_u32_e32 v26, v6, v7
	;; [unrolled: 3-line block ×3, first 2 shown]
	v_add_nc_u32_e32 v1, v0, v2
	ds_store_2addr_b64 v15, v[3:4], v[5:6] offset0:5 offset1:6
	ds_store_2addr_b64 v16, v[26:27], v[0:1] offset0:2 offset1:3
	s_waitcnt lgkmcnt(0)
	s_barrier
	buffer_gl0_inv
	ds_load_b32 v0, v25
	s_waitcnt lgkmcnt(0)
	v_add_nc_u32_e32 v0, v0, v24
	s_cbranch_scc0 .LBB320_3
; %bb.13:                               ;   in Loop: Header=BB320_2 Depth=1
                                        ; implicit-def: $vgpr1_vgpr2
                                        ; implicit-def: $sgpr14_sgpr15
	s_branch .LBB320_1
.LBB320_14:
	s_waitcnt lgkmcnt(0)
	v_xor_b32_e32 v2, 0x80000000, v2
	v_lshlrev_b32_e32 v0, 3, v8
	s_add_u32 s0, s18, s12
	s_addc_u32 s1, s19, s13
	global_store_b64 v0, v[1:2], s[0:1]
	s_nop 0
	s_sendmsg sendmsg(MSG_DEALLOC_VGPRS)
	s_endpgm
	.section	.rodata,"a",@progbits
	.p2align	6, 0x0
	.amdhsa_kernel _Z16sort_keys_kernelI22helper_blocked_stripedxLj320ELj1ELj10EEvPKT0_PS1_
		.amdhsa_group_segment_fixed_size 10288
		.amdhsa_private_segment_fixed_size 0
		.amdhsa_kernarg_size 272
		.amdhsa_user_sgpr_count 15
		.amdhsa_user_sgpr_dispatch_ptr 0
		.amdhsa_user_sgpr_queue_ptr 0
		.amdhsa_user_sgpr_kernarg_segment_ptr 1
		.amdhsa_user_sgpr_dispatch_id 0
		.amdhsa_user_sgpr_private_segment_size 0
		.amdhsa_wavefront_size32 1
		.amdhsa_uses_dynamic_stack 0
		.amdhsa_enable_private_segment 0
		.amdhsa_system_sgpr_workgroup_id_x 1
		.amdhsa_system_sgpr_workgroup_id_y 0
		.amdhsa_system_sgpr_workgroup_id_z 0
		.amdhsa_system_sgpr_workgroup_info 0
		.amdhsa_system_vgpr_workitem_id 2
		.amdhsa_next_free_vgpr 28
		.amdhsa_next_free_sgpr 20
		.amdhsa_reserve_vcc 1
		.amdhsa_float_round_mode_32 0
		.amdhsa_float_round_mode_16_64 0
		.amdhsa_float_denorm_mode_32 3
		.amdhsa_float_denorm_mode_16_64 3
		.amdhsa_dx10_clamp 1
		.amdhsa_ieee_mode 1
		.amdhsa_fp16_overflow 0
		.amdhsa_workgroup_processor_mode 1
		.amdhsa_memory_ordered 1
		.amdhsa_forward_progress 0
		.amdhsa_shared_vgpr_count 0
		.amdhsa_exception_fp_ieee_invalid_op 0
		.amdhsa_exception_fp_denorm_src 0
		.amdhsa_exception_fp_ieee_div_zero 0
		.amdhsa_exception_fp_ieee_overflow 0
		.amdhsa_exception_fp_ieee_underflow 0
		.amdhsa_exception_fp_ieee_inexact 0
		.amdhsa_exception_int_div_zero 0
	.end_amdhsa_kernel
	.section	.text._Z16sort_keys_kernelI22helper_blocked_stripedxLj320ELj1ELj10EEvPKT0_PS1_,"axG",@progbits,_Z16sort_keys_kernelI22helper_blocked_stripedxLj320ELj1ELj10EEvPKT0_PS1_,comdat
.Lfunc_end320:
	.size	_Z16sort_keys_kernelI22helper_blocked_stripedxLj320ELj1ELj10EEvPKT0_PS1_, .Lfunc_end320-_Z16sort_keys_kernelI22helper_blocked_stripedxLj320ELj1ELj10EEvPKT0_PS1_
                                        ; -- End function
	.section	.AMDGPU.csdata,"",@progbits
; Kernel info:
; codeLenInByte = 1476
; NumSgprs: 22
; NumVgprs: 28
; ScratchSize: 0
; MemoryBound: 0
; FloatMode: 240
; IeeeMode: 1
; LDSByteSize: 10288 bytes/workgroup (compile time only)
; SGPRBlocks: 2
; VGPRBlocks: 3
; NumSGPRsForWavesPerEU: 22
; NumVGPRsForWavesPerEU: 28
; Occupancy: 15
; WaveLimiterHint : 0
; COMPUTE_PGM_RSRC2:SCRATCH_EN: 0
; COMPUTE_PGM_RSRC2:USER_SGPR: 15
; COMPUTE_PGM_RSRC2:TRAP_HANDLER: 0
; COMPUTE_PGM_RSRC2:TGID_X_EN: 1
; COMPUTE_PGM_RSRC2:TGID_Y_EN: 0
; COMPUTE_PGM_RSRC2:TGID_Z_EN: 0
; COMPUTE_PGM_RSRC2:TIDIG_COMP_CNT: 2
	.section	.text._Z17sort_pairs_kernelI22helper_blocked_stripedxLj320ELj1ELj10EEvPKT0_PS1_,"axG",@progbits,_Z17sort_pairs_kernelI22helper_blocked_stripedxLj320ELj1ELj10EEvPKT0_PS1_,comdat
	.protected	_Z17sort_pairs_kernelI22helper_blocked_stripedxLj320ELj1ELj10EEvPKT0_PS1_ ; -- Begin function _Z17sort_pairs_kernelI22helper_blocked_stripedxLj320ELj1ELj10EEvPKT0_PS1_
	.globl	_Z17sort_pairs_kernelI22helper_blocked_stripedxLj320ELj1ELj10EEvPKT0_PS1_
	.p2align	8
	.type	_Z17sort_pairs_kernelI22helper_blocked_stripedxLj320ELj1ELj10EEvPKT0_PS1_,@function
_Z17sort_pairs_kernelI22helper_blocked_stripedxLj320ELj1ELj10EEvPKT0_PS1_: ; @_Z17sort_pairs_kernelI22helper_blocked_stripedxLj320ELj1ELj10EEvPKT0_PS1_
; %bb.0:
	s_clause 0x1
	s_load_b128 s[16:19], s[0:1], 0x0
	s_load_b32 s9, s[0:1], 0x1c
	v_and_b32_e32 v8, 0x3ff, v0
	s_mov_b32 s11, 0
	s_mul_i32 s10, s15, 0x140
	v_mbcnt_lo_u32_b32 v5, -1, 0
	s_lshl_b64 s[12:13], s[10:11], 3
	v_lshlrev_b32_e32 v1, 3, v8
	s_mov_b32 s10, s11
	v_bfe_u32 v3, v0, 10, 10
	v_bfe_u32 v0, v0, 20, 10
	v_and_b32_e32 v4, 15, v5
	v_and_b32_e32 v6, 16, v5
	v_dual_mov_b32 v12, s11 :: v_dual_add_nc_u32 v7, -1, v5
	v_mov_b32_e32 v11, s10
	s_delay_alu instid0(VALU_DEP_4)
	v_cmp_lt_u32_e64 s2, 1, v4
	v_cmp_lt_u32_e64 s3, 3, v4
	;; [unrolled: 1-line block ×3, first 2 shown]
	v_cmp_eq_u32_e64 s5, 0, v6
	s_waitcnt lgkmcnt(0)
	s_add_u32 s0, s16, s12
	s_addc_u32 s1, s17, s13
	s_lshr_b32 s10, s9, 16
	global_load_b64 v[1:2], v1, s[0:1]
	s_mov_b32 s1, s11
	s_mov_b32 s0, s11
	s_delay_alu instid0(SALU_CYCLE_1)
	v_dual_mov_b32 v10, s1 :: v_dual_mov_b32 v9, s0
	v_cmp_eq_u32_e64 s1, 0, v4
	v_cmp_gt_i32_e32 vcc_lo, 0, v7
	v_and_b32_e32 v6, 0x1e0, v8
	v_lshrrev_b32_e32 v4, 3, v8
	v_mad_u32_u24 v0, v0, s10, v3
	s_and_b32 s9, s9, 0xffff
	v_cndmask_b32_e32 v7, v7, v5, vcc_lo
	v_lshlrev_b32_e32 v17, 5, v8
	v_min_u32_e32 v14, 0x120, v6
	v_and_b32_e32 v19, 60, v4
	v_mad_u64_u32 v[3:4], null, v0, s9, v[8:9]
	v_lshlrev_b32_e32 v13, 2, v8
	v_or_b32_e32 v0, v5, v6
	v_or_b32_e32 v4, 31, v14
	v_mad_i32_i24 v21, 0xffffffe4, v8, v17
	v_cmp_eq_u32_e64 s0, 0, v5
	v_cmp_gt_u32_e64 s6, 10, v8
	v_lshrrev_b32_e32 v24, 5, v3
	v_cmp_lt_u32_e64 s7, 31, v8
	v_cmp_eq_u32_e64 s8, 0, v8
	v_add_nc_u32_e32 v18, 40, v17
	v_lshlrev_b32_e32 v20, 2, v7
	v_add_nc_u32_e32 v22, -4, v19
	v_lshlrev_b32_e32 v23, 3, v0
	v_cmp_eq_u32_e64 s9, v4, v8
	v_add_nc_u32_e32 v25, v21, v13
	s_waitcnt vmcnt(0)
	v_add_co_u32 v3, vcc_lo, v1, 1
	v_add_co_ci_u32_e32 v4, vcc_lo, 0, v2, vcc_lo
	v_xor_b32_e32 v2, 0x80000000, v2
	s_branch .LBB321_2
.LBB321_1:                              ;   in Loop: Header=BB321_2 Depth=1
	s_delay_alu instid0(VALU_DEP_1)
	v_lshlrev_b32_e32 v0, 3, v0
	s_barrier
	buffer_gl0_inv
	s_add_i32 s11, s11, 1
	ds_store_b64 v0, v[13:14]
	s_waitcnt lgkmcnt(0)
	s_barrier
	buffer_gl0_inv
	ds_load_b64 v[1:2], v25
	s_waitcnt lgkmcnt(0)
	s_barrier
	buffer_gl0_inv
	ds_store_b64 v0, v[15:16]
	s_waitcnt lgkmcnt(0)
	s_barrier
	buffer_gl0_inv
	ds_load_b64 v[3:4], v25
	s_cmp_lg_u32 s11, 10
	s_cbranch_scc0 .LBB321_14
.LBB321_2:                              ; =>This Loop Header: Depth=1
                                        ;     Child Loop BB321_4 Depth 2
	s_mov_b64 s[14:15], 0
	s_branch .LBB321_4
.LBB321_3:                              ;   in Loop: Header=BB321_4 Depth=2
	s_delay_alu instid0(VALU_DEP_1)
	v_lshlrev_b32_e32 v3, 3, v0
	s_barrier
	buffer_gl0_inv
	s_add_u32 s14, s14, 8
	ds_store_b64 v3, v[13:14]
	s_waitcnt lgkmcnt(0)
	s_barrier
	buffer_gl0_inv
	ds_load_b64 v[1:2], v23
	s_waitcnt lgkmcnt(0)
	s_barrier
	buffer_gl0_inv
	ds_store_b64 v3, v[15:16]
	s_waitcnt lgkmcnt(0)
	s_barrier
	buffer_gl0_inv
	ds_load_b64 v[3:4], v23
	s_addc_u32 s15, s15, 0
	s_waitcnt lgkmcnt(0)
	s_barrier
	buffer_gl0_inv
	s_cbranch_execz .LBB321_1
.LBB321_4:                              ;   Parent Loop BB321_2 Depth=1
                                        ; =>  This Inner Loop Header: Depth=2
	s_delay_alu instid0(VALU_DEP_1)
	v_dual_mov_b32 v14, v2 :: v_dual_mov_b32 v13, v1
	ds_store_2addr_b64 v17, v[11:12], v[9:10] offset0:5 offset1:6
	ds_store_2addr_b64 v18, v[11:12], v[9:10] offset0:2 offset1:3
	s_waitcnt lgkmcnt(0)
	s_barrier
	buffer_gl0_inv
	v_lshrrev_b64 v[1:2], s14, v[13:14]
	; wave barrier
	s_delay_alu instid0(VALU_DEP_1)
	v_and_b32_e32 v0, 1, v1
	v_lshlrev_b32_e32 v2, 30, v1
	v_lshlrev_b32_e32 v5, 29, v1
	;; [unrolled: 1-line block ×4, first 2 shown]
	v_add_co_u32 v0, s10, v0, -1
	s_delay_alu instid0(VALU_DEP_1)
	v_cndmask_b32_e64 v7, 0, 1, s10
	v_not_b32_e32 v27, v2
	v_cmp_gt_i32_e64 s10, 0, v2
	v_not_b32_e32 v2, v5
	v_lshlrev_b32_e32 v16, 26, v1
	v_cmp_ne_u32_e32 vcc_lo, 0, v7
	v_ashrrev_i32_e32 v27, 31, v27
	v_lshlrev_b32_e32 v26, 25, v1
	v_ashrrev_i32_e32 v2, 31, v2
	v_lshlrev_b32_e32 v7, 24, v1
	v_xor_b32_e32 v0, vcc_lo, v0
	v_cmp_gt_i32_e32 vcc_lo, 0, v5
	v_not_b32_e32 v5, v6
	v_xor_b32_e32 v27, s10, v27
	v_cmp_gt_i32_e64 s10, 0, v6
	v_and_b32_e32 v0, exec_lo, v0
	v_not_b32_e32 v6, v15
	v_ashrrev_i32_e32 v5, 31, v5
	v_xor_b32_e32 v2, vcc_lo, v2
	v_cmp_gt_i32_e32 vcc_lo, 0, v15
	v_and_b32_e32 v0, v0, v27
	v_not_b32_e32 v15, v16
	v_ashrrev_i32_e32 v6, 31, v6
	v_xor_b32_e32 v5, s10, v5
	v_cmp_gt_i32_e64 s10, 0, v16
	v_and_b32_e32 v0, v0, v2
	v_not_b32_e32 v2, v26
	v_ashrrev_i32_e32 v15, 31, v15
	v_xor_b32_e32 v6, vcc_lo, v6
	v_cmp_gt_i32_e32 vcc_lo, 0, v26
	v_and_b32_e32 v0, v0, v5
	v_not_b32_e32 v5, v7
	v_ashrrev_i32_e32 v2, 31, v2
	v_xor_b32_e32 v15, s10, v15
	v_cmp_gt_i32_e64 s10, 0, v7
	v_and_b32_e32 v0, v0, v6
	v_ashrrev_i32_e32 v5, 31, v5
	v_xor_b32_e32 v2, vcc_lo, v2
	v_and_b32_e32 v1, 0xff, v1
	s_delay_alu instid0(VALU_DEP_4) | instskip(SKIP_2) | instid1(VALU_DEP_4)
	v_and_b32_e32 v0, v0, v15
	v_mov_b32_e32 v16, v4
	v_xor_b32_e32 v5, s10, v5
	v_mad_u32_u24 v1, v1, 10, v24
	s_delay_alu instid0(VALU_DEP_4) | instskip(NEXT) | instid1(VALU_DEP_2)
	v_dual_mov_b32 v15, v3 :: v_dual_and_b32 v0, v0, v2
	v_lshl_add_u32 v27, v1, 2, 40
	s_delay_alu instid0(VALU_DEP_2) | instskip(NEXT) | instid1(VALU_DEP_1)
	v_and_b32_e32 v0, v0, v5
	v_mbcnt_lo_u32_b32 v26, v0, 0
	v_cmp_ne_u32_e64 s10, 0, v0
	s_delay_alu instid0(VALU_DEP_2) | instskip(NEXT) | instid1(VALU_DEP_2)
	v_cmp_eq_u32_e32 vcc_lo, 0, v26
	s_and_b32 s16, s10, vcc_lo
	s_delay_alu instid0(SALU_CYCLE_1)
	s_and_saveexec_b32 s10, s16
	s_cbranch_execz .LBB321_6
; %bb.5:                                ;   in Loop: Header=BB321_4 Depth=2
	v_bcnt_u32_b32 v0, v0, 0
	ds_store_b32 v27, v0
.LBB321_6:                              ;   in Loop: Header=BB321_4 Depth=2
	s_or_b32 exec_lo, exec_lo, s10
	; wave barrier
	s_waitcnt lgkmcnt(0)
	s_barrier
	buffer_gl0_inv
	ds_load_2addr_b64 v[4:7], v17 offset0:5 offset1:6
	ds_load_2addr_b64 v[0:3], v18 offset0:2 offset1:3
	s_waitcnt lgkmcnt(1)
	v_add_nc_u32_e32 v28, v5, v4
	s_delay_alu instid0(VALU_DEP_1) | instskip(SKIP_1) | instid1(VALU_DEP_1)
	v_add3_u32 v28, v28, v6, v7
	s_waitcnt lgkmcnt(0)
	v_add3_u32 v28, v28, v0, v1
	s_delay_alu instid0(VALU_DEP_1) | instskip(NEXT) | instid1(VALU_DEP_1)
	v_add3_u32 v3, v28, v2, v3
	v_mov_b32_dpp v28, v3 row_shr:1 row_mask:0xf bank_mask:0xf
	s_delay_alu instid0(VALU_DEP_1) | instskip(NEXT) | instid1(VALU_DEP_1)
	v_cndmask_b32_e64 v28, v28, 0, s1
	v_add_nc_u32_e32 v3, v28, v3
	s_delay_alu instid0(VALU_DEP_1) | instskip(NEXT) | instid1(VALU_DEP_1)
	v_mov_b32_dpp v28, v3 row_shr:2 row_mask:0xf bank_mask:0xf
	v_cndmask_b32_e64 v28, 0, v28, s2
	s_delay_alu instid0(VALU_DEP_1) | instskip(NEXT) | instid1(VALU_DEP_1)
	v_add_nc_u32_e32 v3, v3, v28
	v_mov_b32_dpp v28, v3 row_shr:4 row_mask:0xf bank_mask:0xf
	s_delay_alu instid0(VALU_DEP_1) | instskip(NEXT) | instid1(VALU_DEP_1)
	v_cndmask_b32_e64 v28, 0, v28, s3
	v_add_nc_u32_e32 v3, v3, v28
	s_delay_alu instid0(VALU_DEP_1) | instskip(NEXT) | instid1(VALU_DEP_1)
	v_mov_b32_dpp v28, v3 row_shr:8 row_mask:0xf bank_mask:0xf
	v_cndmask_b32_e64 v28, 0, v28, s4
	s_delay_alu instid0(VALU_DEP_1) | instskip(SKIP_3) | instid1(VALU_DEP_1)
	v_add_nc_u32_e32 v3, v3, v28
	ds_swizzle_b32 v28, v3 offset:swizzle(BROADCAST,32,15)
	s_waitcnt lgkmcnt(0)
	v_cndmask_b32_e64 v28, v28, 0, s5
	v_add_nc_u32_e32 v3, v3, v28
	s_and_saveexec_b32 s10, s9
	s_cbranch_execz .LBB321_8
; %bb.7:                                ;   in Loop: Header=BB321_4 Depth=2
	ds_store_b32 v19, v3
.LBB321_8:                              ;   in Loop: Header=BB321_4 Depth=2
	s_or_b32 exec_lo, exec_lo, s10
	s_waitcnt lgkmcnt(0)
	s_barrier
	buffer_gl0_inv
	s_and_saveexec_b32 s10, s6
	s_cbranch_execz .LBB321_10
; %bb.9:                                ;   in Loop: Header=BB321_4 Depth=2
	ds_load_b32 v28, v21
	s_waitcnt lgkmcnt(0)
	v_mov_b32_dpp v29, v28 row_shr:1 row_mask:0xf bank_mask:0xf
	s_delay_alu instid0(VALU_DEP_1) | instskip(NEXT) | instid1(VALU_DEP_1)
	v_cndmask_b32_e64 v29, v29, 0, s1
	v_add_nc_u32_e32 v28, v29, v28
	s_delay_alu instid0(VALU_DEP_1) | instskip(NEXT) | instid1(VALU_DEP_1)
	v_mov_b32_dpp v29, v28 row_shr:2 row_mask:0xf bank_mask:0xf
	v_cndmask_b32_e64 v29, 0, v29, s2
	s_delay_alu instid0(VALU_DEP_1) | instskip(NEXT) | instid1(VALU_DEP_1)
	v_add_nc_u32_e32 v28, v28, v29
	v_mov_b32_dpp v29, v28 row_shr:4 row_mask:0xf bank_mask:0xf
	s_delay_alu instid0(VALU_DEP_1) | instskip(NEXT) | instid1(VALU_DEP_1)
	v_cndmask_b32_e64 v29, 0, v29, s3
	v_add_nc_u32_e32 v28, v28, v29
	s_delay_alu instid0(VALU_DEP_1) | instskip(NEXT) | instid1(VALU_DEP_1)
	v_mov_b32_dpp v29, v28 row_shr:8 row_mask:0xf bank_mask:0xf
	v_cndmask_b32_e64 v29, 0, v29, s4
	s_delay_alu instid0(VALU_DEP_1)
	v_add_nc_u32_e32 v28, v28, v29
	ds_store_b32 v21, v28
.LBB321_10:                             ;   in Loop: Header=BB321_4 Depth=2
	s_or_b32 exec_lo, exec_lo, s10
	v_mov_b32_e32 v28, 0
	s_waitcnt lgkmcnt(0)
	s_barrier
	buffer_gl0_inv
	s_and_saveexec_b32 s10, s7
	s_cbranch_execz .LBB321_12
; %bb.11:                               ;   in Loop: Header=BB321_4 Depth=2
	ds_load_b32 v28, v22
.LBB321_12:                             ;   in Loop: Header=BB321_4 Depth=2
	s_or_b32 exec_lo, exec_lo, s10
	s_waitcnt lgkmcnt(0)
	v_add_nc_u32_e32 v3, v28, v3
	s_cmp_gt_u32 s14, 55
	ds_bpermute_b32 v3, v20, v3
	s_waitcnt lgkmcnt(0)
	v_cndmask_b32_e64 v3, v3, v28, s0
	s_delay_alu instid0(VALU_DEP_1) | instskip(NEXT) | instid1(VALU_DEP_1)
	v_cndmask_b32_e64 v3, v3, 0, s8
	v_add_nc_u32_e32 v4, v3, v4
	s_delay_alu instid0(VALU_DEP_1) | instskip(NEXT) | instid1(VALU_DEP_1)
	v_add_nc_u32_e32 v5, v4, v5
	v_add_nc_u32_e32 v6, v5, v6
	s_delay_alu instid0(VALU_DEP_1) | instskip(NEXT) | instid1(VALU_DEP_1)
	v_add_nc_u32_e32 v28, v6, v7
	;; [unrolled: 3-line block ×3, first 2 shown]
	v_add_nc_u32_e32 v1, v0, v2
	ds_store_2addr_b64 v17, v[3:4], v[5:6] offset0:5 offset1:6
	ds_store_2addr_b64 v18, v[28:29], v[0:1] offset0:2 offset1:3
	s_waitcnt lgkmcnt(0)
	s_barrier
	buffer_gl0_inv
	ds_load_b32 v0, v27
	s_waitcnt lgkmcnt(0)
	v_add_nc_u32_e32 v0, v0, v26
	s_cbranch_scc0 .LBB321_3
; %bb.13:                               ;   in Loop: Header=BB321_2 Depth=1
                                        ; implicit-def: $vgpr3_vgpr4
                                        ; implicit-def: $vgpr1_vgpr2
                                        ; implicit-def: $sgpr14_sgpr15
	s_branch .LBB321_1
.LBB321_14:
	s_waitcnt lgkmcnt(0)
	v_add_co_u32 v0, vcc_lo, v3, v1
	v_add_co_ci_u32_e32 v1, vcc_lo, v4, v2, vcc_lo
	v_lshlrev_b32_e32 v2, 3, v8
	s_delay_alu instid0(VALU_DEP_3) | instskip(NEXT) | instid1(VALU_DEP_3)
	v_add_co_u32 v0, vcc_lo, v0, 0
	v_add_co_ci_u32_e32 v1, vcc_lo, 0x80000000, v1, vcc_lo
	s_add_u32 s0, s18, s12
	s_addc_u32 s1, s19, s13
	global_store_b64 v2, v[0:1], s[0:1]
	s_nop 0
	s_sendmsg sendmsg(MSG_DEALLOC_VGPRS)
	s_endpgm
	.section	.rodata,"a",@progbits
	.p2align	6, 0x0
	.amdhsa_kernel _Z17sort_pairs_kernelI22helper_blocked_stripedxLj320ELj1ELj10EEvPKT0_PS1_
		.amdhsa_group_segment_fixed_size 10288
		.amdhsa_private_segment_fixed_size 0
		.amdhsa_kernarg_size 272
		.amdhsa_user_sgpr_count 15
		.amdhsa_user_sgpr_dispatch_ptr 0
		.amdhsa_user_sgpr_queue_ptr 0
		.amdhsa_user_sgpr_kernarg_segment_ptr 1
		.amdhsa_user_sgpr_dispatch_id 0
		.amdhsa_user_sgpr_private_segment_size 0
		.amdhsa_wavefront_size32 1
		.amdhsa_uses_dynamic_stack 0
		.amdhsa_enable_private_segment 0
		.amdhsa_system_sgpr_workgroup_id_x 1
		.amdhsa_system_sgpr_workgroup_id_y 0
		.amdhsa_system_sgpr_workgroup_id_z 0
		.amdhsa_system_sgpr_workgroup_info 0
		.amdhsa_system_vgpr_workitem_id 2
		.amdhsa_next_free_vgpr 30
		.amdhsa_next_free_sgpr 20
		.amdhsa_reserve_vcc 1
		.amdhsa_float_round_mode_32 0
		.amdhsa_float_round_mode_16_64 0
		.amdhsa_float_denorm_mode_32 3
		.amdhsa_float_denorm_mode_16_64 3
		.amdhsa_dx10_clamp 1
		.amdhsa_ieee_mode 1
		.amdhsa_fp16_overflow 0
		.amdhsa_workgroup_processor_mode 1
		.amdhsa_memory_ordered 1
		.amdhsa_forward_progress 0
		.amdhsa_shared_vgpr_count 0
		.amdhsa_exception_fp_ieee_invalid_op 0
		.amdhsa_exception_fp_denorm_src 0
		.amdhsa_exception_fp_ieee_div_zero 0
		.amdhsa_exception_fp_ieee_overflow 0
		.amdhsa_exception_fp_ieee_underflow 0
		.amdhsa_exception_fp_ieee_inexact 0
		.amdhsa_exception_int_div_zero 0
	.end_amdhsa_kernel
	.section	.text._Z17sort_pairs_kernelI22helper_blocked_stripedxLj320ELj1ELj10EEvPKT0_PS1_,"axG",@progbits,_Z17sort_pairs_kernelI22helper_blocked_stripedxLj320ELj1ELj10EEvPKT0_PS1_,comdat
.Lfunc_end321:
	.size	_Z17sort_pairs_kernelI22helper_blocked_stripedxLj320ELj1ELj10EEvPKT0_PS1_, .Lfunc_end321-_Z17sort_pairs_kernelI22helper_blocked_stripedxLj320ELj1ELj10EEvPKT0_PS1_
                                        ; -- End function
	.section	.AMDGPU.csdata,"",@progbits
; Kernel info:
; codeLenInByte = 1612
; NumSgprs: 22
; NumVgprs: 30
; ScratchSize: 0
; MemoryBound: 0
; FloatMode: 240
; IeeeMode: 1
; LDSByteSize: 10288 bytes/workgroup (compile time only)
; SGPRBlocks: 2
; VGPRBlocks: 3
; NumSGPRsForWavesPerEU: 22
; NumVGPRsForWavesPerEU: 30
; Occupancy: 15
; WaveLimiterHint : 0
; COMPUTE_PGM_RSRC2:SCRATCH_EN: 0
; COMPUTE_PGM_RSRC2:USER_SGPR: 15
; COMPUTE_PGM_RSRC2:TRAP_HANDLER: 0
; COMPUTE_PGM_RSRC2:TGID_X_EN: 1
; COMPUTE_PGM_RSRC2:TGID_Y_EN: 0
; COMPUTE_PGM_RSRC2:TGID_Z_EN: 0
; COMPUTE_PGM_RSRC2:TIDIG_COMP_CNT: 2
	.section	.text._Z16sort_keys_kernelI22helper_blocked_stripedxLj320ELj3ELj10EEvPKT0_PS1_,"axG",@progbits,_Z16sort_keys_kernelI22helper_blocked_stripedxLj320ELj3ELj10EEvPKT0_PS1_,comdat
	.protected	_Z16sort_keys_kernelI22helper_blocked_stripedxLj320ELj3ELj10EEvPKT0_PS1_ ; -- Begin function _Z16sort_keys_kernelI22helper_blocked_stripedxLj320ELj3ELj10EEvPKT0_PS1_
	.globl	_Z16sort_keys_kernelI22helper_blocked_stripedxLj320ELj3ELj10EEvPKT0_PS1_
	.p2align	8
	.type	_Z16sort_keys_kernelI22helper_blocked_stripedxLj320ELj3ELj10EEvPKT0_PS1_,@function
_Z16sort_keys_kernelI22helper_blocked_stripedxLj320ELj3ELj10EEvPKT0_PS1_: ; @_Z16sort_keys_kernelI22helper_blocked_stripedxLj320ELj3ELj10EEvPKT0_PS1_
; %bb.0:
	s_clause 0x1
	s_load_b128 s[16:19], s[0:1], 0x0
	s_load_b32 s2, s[0:1], 0x1c
	s_mov_b32 s11, 0
	s_mul_i32 s10, s15, 0x3c0
	v_bfe_u32 v9, v0, 10, 10
	s_lshl_b64 s[12:13], s[10:11], 3
	s_mov_b32 s10, s11
	v_and_b32_e32 v8, 0x3ff, v0
	v_bfe_u32 v0, v0, 20, 10
	v_mbcnt_lo_u32_b32 v12, -1, 0
	s_mov_b32 s14, s11
	s_mov_b32 s15, s11
	v_mul_u32_u24_e32 v1, 3, v8
	v_lshrrev_b32_e32 v7, 5, v8
	v_cmp_eq_u32_e64 s8, 0, v12
	s_delay_alu instid0(VALU_DEP_3) | instskip(NEXT) | instid1(VALU_DEP_3)
	v_lshlrev_b32_e32 v1, 3, v1
	v_mul_u32_u24_e32 v11, 0x60, v7
	v_lshlrev_b32_e32 v25, 2, v7
	s_waitcnt lgkmcnt(0)
	s_add_u32 s0, s16, s12
	s_addc_u32 s1, s17, s13
	s_clause 0x1
	global_load_b64 v[5:6], v1, s[0:1] offset:16
	global_load_b128 v[1:4], v1, s[0:1]
	s_lshr_b32 s0, s2, 16
	v_lshlrev_b32_e32 v13, 3, v11
	v_mad_u32_u24 v0, v0, s0, v9
	s_and_b32 s0, s2, 0xffff
	v_add_nc_u32_e32 v27, -4, v25
	s_delay_alu instid0(VALU_DEP_3) | instskip(NEXT) | instid1(VALU_DEP_3)
	v_mad_u32_u24 v20, v12, 24, v13
	v_mad_u64_u32 v[9:10], null, v0, s0, v[8:9]
	v_add_nc_u32_e32 v13, -1, v12
	v_and_b32_e32 v10, 15, v12
	v_or_b32_e32 v0, v12, v11
	s_delay_alu instid0(VALU_DEP_3)
	v_cmp_gt_i32_e32 vcc_lo, 0, v13
	v_lshrrev_b32_e32 v23, 5, v9
	v_and_b32_e32 v9, 16, v12
	v_cmp_eq_u32_e64 s0, 0, v10
	v_cmp_lt_u32_e64 s1, 1, v10
	v_cmp_lt_u32_e64 s2, 3, v10
	;; [unrolled: 1-line block ×3, first 2 shown]
	v_cmp_eq_u32_e64 s4, 0, v9
	v_cndmask_b32_e32 v9, v13, v12, vcc_lo
	v_lshlrev_b32_e32 v21, 3, v0
	s_delay_alu instid0(VALU_DEP_2)
	v_dual_mov_b32 v9, s10 :: v_dual_lshlrev_b32 v24, 2, v9
	v_and_b32_e32 v11, 0x1e0, v8
	v_lshlrev_b32_e32 v19, 5, v8
	v_cmp_gt_u32_e64 s6, 10, v8
	v_cmp_lt_u32_e64 s7, 31, v8
	v_cmp_eq_u32_e64 s9, 0, v8
	v_min_u32_e32 v0, 0x120, v11
	v_mad_i32_i24 v26, 0xffffffe4, v8, v19
	v_add_nc_u32_e32 v22, 40, v19
	v_mov_b32_e32 v10, s11
	s_delay_alu instid0(VALU_DEP_4) | instskip(NEXT) | instid1(VALU_DEP_1)
	v_or_b32_e32 v0, 31, v0
	v_cmp_eq_u32_e64 s5, v0, v8
	v_mul_u32_u24_e32 v0, 3, v11
	s_delay_alu instid0(VALU_DEP_1) | instskip(SKIP_1) | instid1(VALU_DEP_2)
	v_or_b32_e32 v0, v12, v0
	v_dual_mov_b32 v11, s14 :: v_dual_mov_b32 v12, s15
	v_lshlrev_b32_e32 v28, 3, v0
	v_lshlrev_b32_e32 v0, 2, v8
	s_delay_alu instid0(VALU_DEP_1)
	v_add_nc_u32_e32 v29, v26, v0
	s_branch .LBB322_2
.LBB322_1:                              ;   in Loop: Header=BB322_2 Depth=1
	v_lshlrev_b32_e32 v0, 3, v30
	v_lshlrev_b32_e32 v1, 3, v7
	;; [unrolled: 1-line block ×3, first 2 shown]
	s_barrier
	buffer_gl0_inv
	ds_store_b64 v0, v[13:14]
	ds_store_b64 v1, v[17:18]
	;; [unrolled: 1-line block ×3, first 2 shown]
	s_waitcnt lgkmcnt(0)
	s_barrier
	buffer_gl0_inv
	ds_load_2addr_stride64_b64 v[1:4], v29 offset1:5
	ds_load_b64 v[5:6], v29 offset:5120
	s_add_i32 s11, s11, 1
	s_delay_alu instid0(SALU_CYCLE_1)
	s_cmp_eq_u32 s11, 10
	s_waitcnt lgkmcnt(1)
	v_xor_b32_e32 v2, 0x80000000, v2
	v_xor_b32_e32 v4, 0x80000000, v4
	s_waitcnt lgkmcnt(0)
	v_xor_b32_e32 v6, 0x80000000, v6
	s_cbranch_scc1 .LBB322_18
.LBB322_2:                              ; =>This Loop Header: Depth=1
                                        ;     Child Loop BB322_4 Depth 2
	s_waitcnt vmcnt(0)
	v_xor_b32_e32 v2, 0x80000000, v2
	v_xor_b32_e32 v4, 0x80000000, v4
	;; [unrolled: 1-line block ×3, first 2 shown]
	s_mov_b64 s[14:15], 0
	ds_store_2addr_b64 v20, v[1:2], v[3:4] offset1:1
	ds_store_b64 v20, v[5:6] offset:16
	; wave barrier
	ds_load_2addr_b64 v[0:3], v21 offset1:32
	ds_load_b64 v[4:5], v21 offset:512
	s_waitcnt lgkmcnt(0)
	s_barrier
	buffer_gl0_inv
	; wave barrier
	s_barrier
	s_branch .LBB322_4
.LBB322_3:                              ;   in Loop: Header=BB322_4 Depth=2
	v_lshlrev_b32_e32 v0, 3, v30
	v_lshlrev_b32_e32 v1, 3, v7
	s_delay_alu instid0(VALU_DEP_3)
	v_lshlrev_b32_e32 v2, 3, v6
	s_barrier
	buffer_gl0_inv
	ds_store_b64 v0, v[13:14]
	ds_store_b64 v1, v[17:18]
	;; [unrolled: 1-line block ×3, first 2 shown]
	s_waitcnt lgkmcnt(0)
	s_barrier
	buffer_gl0_inv
	ds_load_2addr_b64 v[0:3], v28 offset1:32
	ds_load_b64 v[4:5], v28 offset:512
	s_add_u32 s14, s14, 8
	s_addc_u32 s15, s15, 0
	s_waitcnt lgkmcnt(0)
	s_barrier
	s_cbranch_execz .LBB322_1
.LBB322_4:                              ;   Parent Loop BB322_2 Depth=1
                                        ; =>  This Inner Loop Header: Depth=2
	v_dual_mov_b32 v14, v1 :: v_dual_mov_b32 v13, v0
	buffer_gl0_inv
	ds_store_2addr_b64 v19, v[9:10], v[11:12] offset0:5 offset1:6
	ds_store_2addr_b64 v22, v[9:10], v[11:12] offset0:2 offset1:3
	s_waitcnt lgkmcnt(0)
	s_barrier
	v_lshrrev_b64 v[6:7], s14, v[13:14]
	buffer_gl0_inv
	; wave barrier
	v_and_b32_e32 v0, 1, v6
	v_lshlrev_b32_e32 v1, 30, v6
	v_lshlrev_b32_e32 v7, 29, v6
	;; [unrolled: 1-line block ×4, first 2 shown]
	v_add_co_u32 v0, s10, v0, -1
	s_delay_alu instid0(VALU_DEP_1)
	v_cndmask_b32_e64 v16, 0, 1, s10
	v_not_b32_e32 v31, v1
	v_cmp_gt_i32_e64 s10, 0, v1
	v_not_b32_e32 v1, v7
	v_lshlrev_b32_e32 v18, 26, v6
	v_cmp_ne_u32_e32 vcc_lo, 0, v16
	v_ashrrev_i32_e32 v31, 31, v31
	v_lshlrev_b32_e32 v30, 25, v6
	v_ashrrev_i32_e32 v1, 31, v1
	v_lshlrev_b32_e32 v16, 24, v6
	v_xor_b32_e32 v0, vcc_lo, v0
	v_cmp_gt_i32_e32 vcc_lo, 0, v7
	v_not_b32_e32 v7, v15
	v_xor_b32_e32 v31, s10, v31
	v_cmp_gt_i32_e64 s10, 0, v15
	v_and_b32_e32 v0, exec_lo, v0
	v_not_b32_e32 v15, v17
	v_ashrrev_i32_e32 v7, 31, v7
	v_xor_b32_e32 v1, vcc_lo, v1
	v_cmp_gt_i32_e32 vcc_lo, 0, v17
	v_and_b32_e32 v0, v0, v31
	v_not_b32_e32 v17, v18
	v_ashrrev_i32_e32 v15, 31, v15
	v_xor_b32_e32 v7, s10, v7
	v_cmp_gt_i32_e64 s10, 0, v18
	v_and_b32_e32 v0, v0, v1
	v_not_b32_e32 v1, v30
	v_ashrrev_i32_e32 v17, 31, v17
	v_xor_b32_e32 v15, vcc_lo, v15
	v_cmp_gt_i32_e32 vcc_lo, 0, v30
	v_and_b32_e32 v0, v0, v7
	v_not_b32_e32 v7, v16
	v_ashrrev_i32_e32 v1, 31, v1
	v_xor_b32_e32 v17, s10, v17
	v_cmp_gt_i32_e64 s10, 0, v16
	v_and_b32_e32 v0, v0, v15
	v_ashrrev_i32_e32 v7, 31, v7
	v_xor_b32_e32 v1, vcc_lo, v1
	v_dual_mov_b32 v16, v5 :: v_dual_mov_b32 v15, v4
	s_delay_alu instid0(VALU_DEP_4) | instskip(NEXT) | instid1(VALU_DEP_4)
	v_and_b32_e32 v0, v0, v17
	v_xor_b32_e32 v7, s10, v7
	v_dual_mov_b32 v18, v3 :: v_dual_mov_b32 v17, v2
	s_delay_alu instid0(VALU_DEP_3) | instskip(SKIP_1) | instid1(VALU_DEP_2)
	v_and_b32_e32 v0, v0, v1
	v_and_b32_e32 v1, 0xff, v6
	;; [unrolled: 1-line block ×3, first 2 shown]
	s_delay_alu instid0(VALU_DEP_2) | instskip(NEXT) | instid1(VALU_DEP_2)
	v_mad_u32_u24 v1, v1, 10, v23
	v_mbcnt_lo_u32_b32 v30, v0, 0
	v_cmp_ne_u32_e64 s10, 0, v0
	s_delay_alu instid0(VALU_DEP_3) | instskip(NEXT) | instid1(VALU_DEP_3)
	v_lshl_add_u32 v31, v1, 2, 40
	v_cmp_eq_u32_e32 vcc_lo, 0, v30
	s_delay_alu instid0(VALU_DEP_3) | instskip(NEXT) | instid1(SALU_CYCLE_1)
	s_and_b32 s16, s10, vcc_lo
	s_and_saveexec_b32 s10, s16
	s_cbranch_execz .LBB322_6
; %bb.5:                                ;   in Loop: Header=BB322_4 Depth=2
	v_bcnt_u32_b32 v0, v0, 0
	ds_store_b32 v31, v0
.LBB322_6:                              ;   in Loop: Header=BB322_4 Depth=2
	s_or_b32 exec_lo, exec_lo, s10
	v_lshrrev_b64 v[0:1], s14, v[17:18]
	; wave barrier
	s_delay_alu instid0(VALU_DEP_1)
	v_and_b32_e32 v2, 1, v0
	v_lshlrev_b32_e32 v3, 30, v0
	v_lshlrev_b32_e32 v4, 29, v0
	;; [unrolled: 1-line block ×4, first 2 shown]
	v_add_co_u32 v2, s10, v2, -1
	s_delay_alu instid0(VALU_DEP_1)
	v_cndmask_b32_e64 v6, 0, 1, s10
	v_not_b32_e32 v34, v3
	v_cmp_gt_i32_e64 s10, 0, v3
	v_not_b32_e32 v3, v4
	v_lshlrev_b32_e32 v32, 26, v0
	v_cmp_ne_u32_e32 vcc_lo, 0, v6
	v_ashrrev_i32_e32 v6, 31, v34
	v_lshlrev_b32_e32 v33, 25, v0
	v_ashrrev_i32_e32 v3, 31, v3
	v_and_b32_e32 v1, 0xff, v0
	v_xor_b32_e32 v2, vcc_lo, v2
	v_cmp_gt_i32_e32 vcc_lo, 0, v4
	v_not_b32_e32 v4, v5
	v_xor_b32_e32 v6, s10, v6
	v_cmp_gt_i32_e64 s10, 0, v5
	v_and_b32_e32 v2, exec_lo, v2
	v_not_b32_e32 v5, v7
	v_ashrrev_i32_e32 v4, 31, v4
	v_xor_b32_e32 v3, vcc_lo, v3
	v_cmp_gt_i32_e32 vcc_lo, 0, v7
	v_and_b32_e32 v2, v2, v6
	v_not_b32_e32 v6, v32
	v_ashrrev_i32_e32 v5, 31, v5
	v_xor_b32_e32 v4, s10, v4
	v_lshlrev_b32_e32 v0, 24, v0
	v_and_b32_e32 v2, v2, v3
	v_cmp_gt_i32_e64 s10, 0, v32
	v_not_b32_e32 v3, v33
	v_ashrrev_i32_e32 v6, 31, v6
	v_xor_b32_e32 v5, vcc_lo, v5
	v_and_b32_e32 v2, v2, v4
	v_cmp_gt_i32_e32 vcc_lo, 0, v33
	v_not_b32_e32 v4, v0
	v_ashrrev_i32_e32 v3, 31, v3
	v_xor_b32_e32 v6, s10, v6
	v_and_b32_e32 v2, v2, v5
	v_mul_u32_u24_e32 v1, 10, v1
	v_cmp_gt_i32_e64 s10, 0, v0
	v_ashrrev_i32_e32 v0, 31, v4
	v_xor_b32_e32 v3, vcc_lo, v3
	v_and_b32_e32 v2, v2, v6
	v_add_lshl_u32 v1, v1, v23, 2
	s_delay_alu instid0(VALU_DEP_4) | instskip(NEXT) | instid1(VALU_DEP_3)
	v_xor_b32_e32 v0, s10, v0
	v_and_b32_e32 v2, v2, v3
	ds_load_b32 v32, v1 offset:40
	v_add_nc_u32_e32 v34, 40, v1
	; wave barrier
	v_and_b32_e32 v0, v2, v0
	s_delay_alu instid0(VALU_DEP_1) | instskip(SKIP_1) | instid1(VALU_DEP_2)
	v_mbcnt_lo_u32_b32 v33, v0, 0
	v_cmp_ne_u32_e64 s10, 0, v0
	v_cmp_eq_u32_e32 vcc_lo, 0, v33
	s_delay_alu instid0(VALU_DEP_2) | instskip(NEXT) | instid1(SALU_CYCLE_1)
	s_and_b32 s16, s10, vcc_lo
	s_and_saveexec_b32 s10, s16
	s_cbranch_execz .LBB322_8
; %bb.7:                                ;   in Loop: Header=BB322_4 Depth=2
	s_waitcnt lgkmcnt(0)
	v_bcnt_u32_b32 v0, v0, v32
	ds_store_b32 v34, v0
.LBB322_8:                              ;   in Loop: Header=BB322_4 Depth=2
	s_or_b32 exec_lo, exec_lo, s10
	v_lshrrev_b64 v[0:1], s14, v[15:16]
	; wave barrier
	s_delay_alu instid0(VALU_DEP_1)
	v_and_b32_e32 v2, 1, v0
	v_lshlrev_b32_e32 v3, 30, v0
	v_lshlrev_b32_e32 v4, 29, v0
	;; [unrolled: 1-line block ×4, first 2 shown]
	v_add_co_u32 v2, s10, v2, -1
	s_delay_alu instid0(VALU_DEP_1)
	v_cndmask_b32_e64 v6, 0, 1, s10
	v_not_b32_e32 v37, v3
	v_cmp_gt_i32_e64 s10, 0, v3
	v_not_b32_e32 v3, v4
	v_lshlrev_b32_e32 v35, 26, v0
	v_cmp_ne_u32_e32 vcc_lo, 0, v6
	v_ashrrev_i32_e32 v6, 31, v37
	v_lshlrev_b32_e32 v36, 25, v0
	v_ashrrev_i32_e32 v3, 31, v3
	v_and_b32_e32 v1, 0xff, v0
	v_xor_b32_e32 v2, vcc_lo, v2
	v_cmp_gt_i32_e32 vcc_lo, 0, v4
	v_not_b32_e32 v4, v5
	v_xor_b32_e32 v6, s10, v6
	v_cmp_gt_i32_e64 s10, 0, v5
	v_and_b32_e32 v2, exec_lo, v2
	v_not_b32_e32 v5, v7
	v_ashrrev_i32_e32 v4, 31, v4
	v_xor_b32_e32 v3, vcc_lo, v3
	v_cmp_gt_i32_e32 vcc_lo, 0, v7
	v_and_b32_e32 v2, v2, v6
	v_not_b32_e32 v6, v35
	v_ashrrev_i32_e32 v5, 31, v5
	v_xor_b32_e32 v4, s10, v4
	v_lshlrev_b32_e32 v0, 24, v0
	v_and_b32_e32 v2, v2, v3
	v_cmp_gt_i32_e64 s10, 0, v35
	v_not_b32_e32 v3, v36
	v_ashrrev_i32_e32 v6, 31, v6
	v_xor_b32_e32 v5, vcc_lo, v5
	v_and_b32_e32 v2, v2, v4
	v_cmp_gt_i32_e32 vcc_lo, 0, v36
	v_not_b32_e32 v4, v0
	v_ashrrev_i32_e32 v3, 31, v3
	v_xor_b32_e32 v6, s10, v6
	v_and_b32_e32 v2, v2, v5
	v_mul_u32_u24_e32 v1, 10, v1
	v_cmp_gt_i32_e64 s10, 0, v0
	v_ashrrev_i32_e32 v0, 31, v4
	v_xor_b32_e32 v3, vcc_lo, v3
	v_and_b32_e32 v2, v2, v6
	v_add_lshl_u32 v1, v1, v23, 2
	s_delay_alu instid0(VALU_DEP_4) | instskip(NEXT) | instid1(VALU_DEP_3)
	v_xor_b32_e32 v0, s10, v0
	v_and_b32_e32 v2, v2, v3
	ds_load_b32 v35, v1 offset:40
	v_add_nc_u32_e32 v37, 40, v1
	; wave barrier
	v_and_b32_e32 v0, v2, v0
	s_delay_alu instid0(VALU_DEP_1) | instskip(SKIP_1) | instid1(VALU_DEP_2)
	v_mbcnt_lo_u32_b32 v36, v0, 0
	v_cmp_ne_u32_e64 s10, 0, v0
	v_cmp_eq_u32_e32 vcc_lo, 0, v36
	s_delay_alu instid0(VALU_DEP_2) | instskip(NEXT) | instid1(SALU_CYCLE_1)
	s_and_b32 s16, s10, vcc_lo
	s_and_saveexec_b32 s10, s16
	s_cbranch_execz .LBB322_10
; %bb.9:                                ;   in Loop: Header=BB322_4 Depth=2
	s_waitcnt lgkmcnt(0)
	v_bcnt_u32_b32 v0, v0, v35
	ds_store_b32 v37, v0
.LBB322_10:                             ;   in Loop: Header=BB322_4 Depth=2
	s_or_b32 exec_lo, exec_lo, s10
	; wave barrier
	s_waitcnt lgkmcnt(0)
	s_barrier
	buffer_gl0_inv
	ds_load_2addr_b64 v[4:7], v19 offset0:5 offset1:6
	ds_load_2addr_b64 v[0:3], v22 offset0:2 offset1:3
	s_waitcnt lgkmcnt(1)
	v_add_nc_u32_e32 v38, v5, v4
	s_delay_alu instid0(VALU_DEP_1) | instskip(SKIP_1) | instid1(VALU_DEP_1)
	v_add3_u32 v38, v38, v6, v7
	s_waitcnt lgkmcnt(0)
	v_add3_u32 v38, v38, v0, v1
	s_delay_alu instid0(VALU_DEP_1) | instskip(NEXT) | instid1(VALU_DEP_1)
	v_add3_u32 v3, v38, v2, v3
	v_mov_b32_dpp v38, v3 row_shr:1 row_mask:0xf bank_mask:0xf
	s_delay_alu instid0(VALU_DEP_1) | instskip(NEXT) | instid1(VALU_DEP_1)
	v_cndmask_b32_e64 v38, v38, 0, s0
	v_add_nc_u32_e32 v3, v38, v3
	s_delay_alu instid0(VALU_DEP_1) | instskip(NEXT) | instid1(VALU_DEP_1)
	v_mov_b32_dpp v38, v3 row_shr:2 row_mask:0xf bank_mask:0xf
	v_cndmask_b32_e64 v38, 0, v38, s1
	s_delay_alu instid0(VALU_DEP_1) | instskip(NEXT) | instid1(VALU_DEP_1)
	v_add_nc_u32_e32 v3, v3, v38
	v_mov_b32_dpp v38, v3 row_shr:4 row_mask:0xf bank_mask:0xf
	s_delay_alu instid0(VALU_DEP_1) | instskip(NEXT) | instid1(VALU_DEP_1)
	v_cndmask_b32_e64 v38, 0, v38, s2
	v_add_nc_u32_e32 v3, v3, v38
	s_delay_alu instid0(VALU_DEP_1) | instskip(NEXT) | instid1(VALU_DEP_1)
	v_mov_b32_dpp v38, v3 row_shr:8 row_mask:0xf bank_mask:0xf
	v_cndmask_b32_e64 v38, 0, v38, s3
	s_delay_alu instid0(VALU_DEP_1) | instskip(SKIP_3) | instid1(VALU_DEP_1)
	v_add_nc_u32_e32 v3, v3, v38
	ds_swizzle_b32 v38, v3 offset:swizzle(BROADCAST,32,15)
	s_waitcnt lgkmcnt(0)
	v_cndmask_b32_e64 v38, v38, 0, s4
	v_add_nc_u32_e32 v3, v3, v38
	s_and_saveexec_b32 s10, s5
	s_cbranch_execz .LBB322_12
; %bb.11:                               ;   in Loop: Header=BB322_4 Depth=2
	ds_store_b32 v25, v3
.LBB322_12:                             ;   in Loop: Header=BB322_4 Depth=2
	s_or_b32 exec_lo, exec_lo, s10
	s_waitcnt lgkmcnt(0)
	s_barrier
	buffer_gl0_inv
	s_and_saveexec_b32 s10, s6
	s_cbranch_execz .LBB322_14
; %bb.13:                               ;   in Loop: Header=BB322_4 Depth=2
	ds_load_b32 v38, v26
	s_waitcnt lgkmcnt(0)
	v_mov_b32_dpp v39, v38 row_shr:1 row_mask:0xf bank_mask:0xf
	s_delay_alu instid0(VALU_DEP_1) | instskip(NEXT) | instid1(VALU_DEP_1)
	v_cndmask_b32_e64 v39, v39, 0, s0
	v_add_nc_u32_e32 v38, v39, v38
	s_delay_alu instid0(VALU_DEP_1) | instskip(NEXT) | instid1(VALU_DEP_1)
	v_mov_b32_dpp v39, v38 row_shr:2 row_mask:0xf bank_mask:0xf
	v_cndmask_b32_e64 v39, 0, v39, s1
	s_delay_alu instid0(VALU_DEP_1) | instskip(NEXT) | instid1(VALU_DEP_1)
	v_add_nc_u32_e32 v38, v38, v39
	v_mov_b32_dpp v39, v38 row_shr:4 row_mask:0xf bank_mask:0xf
	s_delay_alu instid0(VALU_DEP_1) | instskip(NEXT) | instid1(VALU_DEP_1)
	v_cndmask_b32_e64 v39, 0, v39, s2
	v_add_nc_u32_e32 v38, v38, v39
	s_delay_alu instid0(VALU_DEP_1) | instskip(NEXT) | instid1(VALU_DEP_1)
	v_mov_b32_dpp v39, v38 row_shr:8 row_mask:0xf bank_mask:0xf
	v_cndmask_b32_e64 v39, 0, v39, s3
	s_delay_alu instid0(VALU_DEP_1)
	v_add_nc_u32_e32 v38, v38, v39
	ds_store_b32 v26, v38
.LBB322_14:                             ;   in Loop: Header=BB322_4 Depth=2
	s_or_b32 exec_lo, exec_lo, s10
	v_mov_b32_e32 v38, 0
	s_waitcnt lgkmcnt(0)
	s_barrier
	buffer_gl0_inv
	s_and_saveexec_b32 s10, s7
	s_cbranch_execz .LBB322_16
; %bb.15:                               ;   in Loop: Header=BB322_4 Depth=2
	ds_load_b32 v38, v27
.LBB322_16:                             ;   in Loop: Header=BB322_4 Depth=2
	s_or_b32 exec_lo, exec_lo, s10
	s_waitcnt lgkmcnt(0)
	v_add_nc_u32_e32 v3, v38, v3
	s_cmp_gt_u32 s14, 55
	ds_bpermute_b32 v3, v24, v3
	s_waitcnt lgkmcnt(0)
	v_cndmask_b32_e64 v3, v3, v38, s8
	s_delay_alu instid0(VALU_DEP_1) | instskip(NEXT) | instid1(VALU_DEP_1)
	v_cndmask_b32_e64 v3, v3, 0, s9
	v_add_nc_u32_e32 v4, v3, v4
	s_delay_alu instid0(VALU_DEP_1) | instskip(NEXT) | instid1(VALU_DEP_1)
	v_add_nc_u32_e32 v5, v4, v5
	v_add_nc_u32_e32 v6, v5, v6
	s_delay_alu instid0(VALU_DEP_1) | instskip(NEXT) | instid1(VALU_DEP_1)
	v_add_nc_u32_e32 v38, v6, v7
	;; [unrolled: 3-line block ×3, first 2 shown]
	v_add_nc_u32_e32 v1, v0, v2
	ds_store_2addr_b64 v19, v[3:4], v[5:6] offset0:5 offset1:6
	ds_store_2addr_b64 v22, v[38:39], v[0:1] offset0:2 offset1:3
	s_waitcnt lgkmcnt(0)
	s_barrier
	buffer_gl0_inv
	ds_load_b32 v0, v31
	ds_load_b32 v1, v34
	;; [unrolled: 1-line block ×3, first 2 shown]
	s_waitcnt lgkmcnt(2)
	v_add_nc_u32_e32 v30, v0, v30
	s_waitcnt lgkmcnt(1)
	v_add3_u32 v7, v33, v32, v1
	s_waitcnt lgkmcnt(0)
	v_add3_u32 v6, v36, v35, v2
	s_cbranch_scc0 .LBB322_3
; %bb.17:                               ;   in Loop: Header=BB322_2 Depth=1
                                        ; implicit-def: $vgpr4_vgpr5
                                        ; implicit-def: $vgpr2_vgpr3
                                        ; implicit-def: $sgpr14_sgpr15
	s_branch .LBB322_1
.LBB322_18:
	v_lshlrev_b32_e32 v0, 3, v8
	s_add_u32 s0, s18, s12
	s_addc_u32 s1, s19, s13
	s_delay_alu instid0(VALU_DEP_1) | instskip(NEXT) | instid1(VALU_DEP_1)
	v_add_co_u32 v7, s2, s0, v0
	v_add_co_ci_u32_e64 v8, null, s1, 0, s2
	s_delay_alu instid0(VALU_DEP_2) | instskip(NEXT) | instid1(VALU_DEP_2)
	v_add_co_u32 v7, vcc_lo, 0x1000, v7
	v_add_co_ci_u32_e32 v8, vcc_lo, 0, v8, vcc_lo
	s_clause 0x2
	global_store_b64 v0, v[1:2], s[0:1]
	global_store_b64 v0, v[3:4], s[0:1] offset:2560
	global_store_b64 v[7:8], v[5:6], off offset:1024
	s_nop 0
	s_sendmsg sendmsg(MSG_DEALLOC_VGPRS)
	s_endpgm
	.section	.rodata,"a",@progbits
	.p2align	6, 0x0
	.amdhsa_kernel _Z16sort_keys_kernelI22helper_blocked_stripedxLj320ELj3ELj10EEvPKT0_PS1_
		.amdhsa_group_segment_fixed_size 10288
		.amdhsa_private_segment_fixed_size 0
		.amdhsa_kernarg_size 272
		.amdhsa_user_sgpr_count 15
		.amdhsa_user_sgpr_dispatch_ptr 0
		.amdhsa_user_sgpr_queue_ptr 0
		.amdhsa_user_sgpr_kernarg_segment_ptr 1
		.amdhsa_user_sgpr_dispatch_id 0
		.amdhsa_user_sgpr_private_segment_size 0
		.amdhsa_wavefront_size32 1
		.amdhsa_uses_dynamic_stack 0
		.amdhsa_enable_private_segment 0
		.amdhsa_system_sgpr_workgroup_id_x 1
		.amdhsa_system_sgpr_workgroup_id_y 0
		.amdhsa_system_sgpr_workgroup_id_z 0
		.amdhsa_system_sgpr_workgroup_info 0
		.amdhsa_system_vgpr_workitem_id 2
		.amdhsa_next_free_vgpr 40
		.amdhsa_next_free_sgpr 20
		.amdhsa_reserve_vcc 1
		.amdhsa_float_round_mode_32 0
		.amdhsa_float_round_mode_16_64 0
		.amdhsa_float_denorm_mode_32 3
		.amdhsa_float_denorm_mode_16_64 3
		.amdhsa_dx10_clamp 1
		.amdhsa_ieee_mode 1
		.amdhsa_fp16_overflow 0
		.amdhsa_workgroup_processor_mode 1
		.amdhsa_memory_ordered 1
		.amdhsa_forward_progress 0
		.amdhsa_shared_vgpr_count 0
		.amdhsa_exception_fp_ieee_invalid_op 0
		.amdhsa_exception_fp_denorm_src 0
		.amdhsa_exception_fp_ieee_div_zero 0
		.amdhsa_exception_fp_ieee_overflow 0
		.amdhsa_exception_fp_ieee_underflow 0
		.amdhsa_exception_fp_ieee_inexact 0
		.amdhsa_exception_int_div_zero 0
	.end_amdhsa_kernel
	.section	.text._Z16sort_keys_kernelI22helper_blocked_stripedxLj320ELj3ELj10EEvPKT0_PS1_,"axG",@progbits,_Z16sort_keys_kernelI22helper_blocked_stripedxLj320ELj3ELj10EEvPKT0_PS1_,comdat
.Lfunc_end322:
	.size	_Z16sort_keys_kernelI22helper_blocked_stripedxLj320ELj3ELj10EEvPKT0_PS1_, .Lfunc_end322-_Z16sort_keys_kernelI22helper_blocked_stripedxLj320ELj3ELj10EEvPKT0_PS1_
                                        ; -- End function
	.section	.AMDGPU.csdata,"",@progbits
; Kernel info:
; codeLenInByte = 2464
; NumSgprs: 22
; NumVgprs: 40
; ScratchSize: 0
; MemoryBound: 0
; FloatMode: 240
; IeeeMode: 1
; LDSByteSize: 10288 bytes/workgroup (compile time only)
; SGPRBlocks: 2
; VGPRBlocks: 4
; NumSGPRsForWavesPerEU: 22
; NumVGPRsForWavesPerEU: 40
; Occupancy: 15
; WaveLimiterHint : 1
; COMPUTE_PGM_RSRC2:SCRATCH_EN: 0
; COMPUTE_PGM_RSRC2:USER_SGPR: 15
; COMPUTE_PGM_RSRC2:TRAP_HANDLER: 0
; COMPUTE_PGM_RSRC2:TGID_X_EN: 1
; COMPUTE_PGM_RSRC2:TGID_Y_EN: 0
; COMPUTE_PGM_RSRC2:TGID_Z_EN: 0
; COMPUTE_PGM_RSRC2:TIDIG_COMP_CNT: 2
	.section	.text._Z17sort_pairs_kernelI22helper_blocked_stripedxLj320ELj3ELj10EEvPKT0_PS1_,"axG",@progbits,_Z17sort_pairs_kernelI22helper_blocked_stripedxLj320ELj3ELj10EEvPKT0_PS1_,comdat
	.protected	_Z17sort_pairs_kernelI22helper_blocked_stripedxLj320ELj3ELj10EEvPKT0_PS1_ ; -- Begin function _Z17sort_pairs_kernelI22helper_blocked_stripedxLj320ELj3ELj10EEvPKT0_PS1_
	.globl	_Z17sort_pairs_kernelI22helper_blocked_stripedxLj320ELj3ELj10EEvPKT0_PS1_
	.p2align	8
	.type	_Z17sort_pairs_kernelI22helper_blocked_stripedxLj320ELj3ELj10EEvPKT0_PS1_,@function
_Z17sort_pairs_kernelI22helper_blocked_stripedxLj320ELj3ELj10EEvPKT0_PS1_: ; @_Z17sort_pairs_kernelI22helper_blocked_stripedxLj320ELj3ELj10EEvPKT0_PS1_
; %bb.0:
	s_clause 0x1
	s_load_b128 s[16:19], s[0:1], 0x0
	s_load_b32 s9, s[0:1], 0x1c
	v_and_b32_e32 v9, 0x3ff, v0
	s_mov_b32 s11, 0
	s_mul_i32 s10, s15, 0x3c0
	v_mbcnt_lo_u32_b32 v7, -1, 0
	s_lshl_b64 s[12:13], s[10:11], 3
	v_mul_u32_u24_e32 v1, 3, v9
	s_mov_b32 s10, s11
	s_delay_alu instid0(VALU_DEP_2) | instskip(NEXT) | instid1(VALU_DEP_2)
	v_dual_mov_b32 v13, s11 :: v_dual_and_b32 v8, 16, v7
	v_dual_mov_b32 v12, s10 :: v_dual_lshlrev_b32 v5, 3, v1
	v_add_nc_u32_e32 v16, -1, v7
	v_and_b32_e32 v6, 15, v7
	s_delay_alu instid0(VALU_DEP_4) | instskip(NEXT) | instid1(VALU_DEP_3)
	v_cmp_eq_u32_e64 s5, 0, v8
	v_cmp_gt_i32_e32 vcc_lo, 0, v16
	s_delay_alu instid0(VALU_DEP_3)
	v_cmp_lt_u32_e64 s2, 1, v6
	s_waitcnt lgkmcnt(0)
	s_add_u32 s0, s16, s12
	s_addc_u32 s1, s17, s13
	s_clause 0x1
	global_load_b128 v[1:4], v5, s[0:1]
	global_load_b64 v[14:15], v5, s[0:1] offset:16
	s_mov_b32 s1, s11
	s_mov_b32 s0, s11
	v_mov_b32_e32 v11, s1
	v_bfe_u32 v5, v0, 10, 10
	v_bfe_u32 v0, v0, 20, 10
	s_lshr_b32 s10, s9, 16
	v_mov_b32_e32 v10, s0
	v_lshlrev_b32_e32 v30, 5, v9
	v_cmp_eq_u32_e64 s1, 0, v6
	v_cmp_lt_u32_e64 s3, 3, v6
	v_cmp_lt_u32_e64 s4, 7, v6
	v_and_b32_e32 v6, 0x1e0, v9
	v_dual_cndmask_b32 v8, v16, v7 :: v_dual_add_nc_u32 v31, 40, v30
	v_mad_u32_u24 v0, v0, s10, v5
	v_lshrrev_b32_e32 v17, 5, v9
	s_and_b32 s9, s9, 0xffff
	v_min_u32_e32 v19, 0x120, v6
	v_lshlrev_b32_e32 v32, 2, v8
	v_mul_u32_u24_e32 v8, 3, v6
	v_mad_u64_u32 v[5:6], null, v0, s9, v[9:10]
	v_mul_u32_u24_e32 v16, 0x60, v17
	v_lshlrev_b32_e32 v33, 2, v17
	s_delay_alu instid0(VALU_DEP_4)
	v_or_b32_e32 v6, v7, v8
	v_cmp_eq_u32_e64 s0, 0, v7
	v_lshlrev_b32_e32 v18, 2, v9
	v_lshlrev_b32_e32 v17, 3, v16
	v_lshrrev_b32_e32 v39, 5, v5
	v_or_b32_e32 v16, v7, v16
	v_lshlrev_b32_e32 v38, 3, v6
	v_mad_i32_i24 v34, 0xffffffe4, v9, v30
	v_or_b32_e32 v0, 31, v19
	v_mad_u32_u24 v36, v7, 24, v17
	v_lshlrev_b32_e32 v37, 3, v16
	v_cmp_gt_u32_e64 s6, 10, v9
	v_cmp_lt_u32_e64 s7, 31, v9
	v_cmp_eq_u32_e64 s8, 0, v9
	v_add_nc_u32_e32 v35, -4, v33
	v_cmp_eq_u32_e64 s9, v0, v9
	v_add_nc_u32_e32 v40, v34, v18
	s_waitcnt vmcnt(1)
	v_add_co_u32 v5, vcc_lo, v1, 1
	v_add_co_ci_u32_e32 v6, vcc_lo, 0, v2, vcc_lo
	v_add_co_u32 v7, vcc_lo, v3, 1
	v_add_co_ci_u32_e32 v8, vcc_lo, 0, v4, vcc_lo
	s_waitcnt vmcnt(0)
	v_add_co_u32 v16, vcc_lo, v14, 1
	v_add_co_ci_u32_e32 v17, vcc_lo, 0, v15, vcc_lo
	s_branch .LBB323_2
.LBB323_1:                              ;   in Loop: Header=BB323_2 Depth=1
	v_lshlrev_b32_e32 v0, 3, v44
	v_lshlrev_b32_e32 v5, 3, v43
	;; [unrolled: 1-line block ×3, first 2 shown]
	s_barrier
	buffer_gl0_inv
	ds_store_b64 v0, v[14:15]
	ds_store_b64 v5, v[24:25]
	;; [unrolled: 1-line block ×3, first 2 shown]
	s_waitcnt lgkmcnt(0)
	s_barrier
	buffer_gl0_inv
	ds_load_2addr_stride64_b64 v[1:4], v40 offset1:5
	ds_load_b64 v[14:15], v40 offset:5120
	s_waitcnt lgkmcnt(0)
	s_barrier
	buffer_gl0_inv
	ds_store_b64 v0, v[20:21]
	ds_store_b64 v5, v[18:19]
	;; [unrolled: 1-line block ×3, first 2 shown]
	s_waitcnt lgkmcnt(0)
	s_barrier
	buffer_gl0_inv
	ds_load_2addr_stride64_b64 v[5:8], v40 offset1:5
	ds_load_b64 v[16:17], v40 offset:5120
	s_add_i32 s11, s11, 1
	s_delay_alu instid0(SALU_CYCLE_1)
	s_cmp_eq_u32 s11, 10
	v_xor_b32_e32 v2, 0x80000000, v2
	v_xor_b32_e32 v4, 0x80000000, v4
	;; [unrolled: 1-line block ×3, first 2 shown]
	s_cbranch_scc1 .LBB323_18
.LBB323_2:                              ; =>This Loop Header: Depth=1
                                        ;     Child Loop BB323_4 Depth 2
	s_delay_alu instid0(VALU_DEP_3) | instskip(NEXT) | instid1(VALU_DEP_3)
	v_xor_b32_e32 v2, 0x80000000, v2
	v_xor_b32_e32 v4, 0x80000000, v4
	s_delay_alu instid0(VALU_DEP_3)
	v_xor_b32_e32 v15, 0x80000000, v15
	s_mov_b64 s[14:15], 0
	ds_store_2addr_b64 v36, v[1:2], v[3:4] offset1:1
	ds_store_b64 v36, v[14:15] offset:16
	; wave barrier
	ds_load_2addr_b64 v[0:3], v37 offset1:32
	ds_load_b64 v[26:27], v37 offset:512
	; wave barrier
	s_waitcnt lgkmcnt(5)
	ds_store_2addr_b64 v36, v[5:6], v[7:8] offset1:1
	s_waitcnt lgkmcnt(5)
	ds_store_b64 v36, v[16:17] offset:16
	; wave barrier
	ds_load_2addr_b64 v[4:7], v37 offset1:32
	ds_load_b64 v[28:29], v37 offset:512
	s_waitcnt lgkmcnt(0)
	s_barrier
	s_branch .LBB323_4
.LBB323_3:                              ;   in Loop: Header=BB323_4 Depth=2
	v_lshlrev_b32_e32 v4, 3, v44
	v_lshlrev_b32_e32 v5, 3, v43
	s_delay_alu instid0(VALU_DEP_3)
	v_lshlrev_b32_e32 v6, 3, v8
	s_barrier
	buffer_gl0_inv
	ds_store_b64 v4, v[14:15]
	ds_store_b64 v5, v[24:25]
	;; [unrolled: 1-line block ×3, first 2 shown]
	s_waitcnt lgkmcnt(0)
	s_barrier
	buffer_gl0_inv
	ds_load_2addr_b64 v[0:3], v38 offset1:32
	ds_load_b64 v[26:27], v38 offset:512
	s_waitcnt lgkmcnt(0)
	s_barrier
	buffer_gl0_inv
	ds_store_b64 v4, v[20:21]
	ds_store_b64 v5, v[18:19]
	;; [unrolled: 1-line block ×3, first 2 shown]
	s_waitcnt lgkmcnt(0)
	s_barrier
	buffer_gl0_inv
	ds_load_2addr_b64 v[4:7], v38 offset1:32
	ds_load_b64 v[28:29], v38 offset:512
	s_add_u32 s14, s14, 8
	s_addc_u32 s15, s15, 0
	s_waitcnt lgkmcnt(0)
	s_barrier
	s_cbranch_execz .LBB323_1
.LBB323_4:                              ;   Parent Loop BB323_2 Depth=1
                                        ; =>  This Inner Loop Header: Depth=2
	v_dual_mov_b32 v15, v1 :: v_dual_mov_b32 v14, v0
	buffer_gl0_inv
	ds_store_2addr_b64 v30, v[12:13], v[10:11] offset0:5 offset1:6
	ds_store_2addr_b64 v31, v[12:13], v[10:11] offset0:2 offset1:3
	s_waitcnt lgkmcnt(0)
	s_barrier
	v_lshrrev_b64 v[41:42], s14, v[14:15]
	buffer_gl0_inv
	; wave barrier
	v_dual_mov_b32 v22, v26 :: v_dual_mov_b32 v25, v3
	v_dual_mov_b32 v23, v27 :: v_dual_and_b32 v0, 1, v41
	v_lshlrev_b32_e32 v1, 30, v41
	v_lshlrev_b32_e32 v8, 29, v41
	;; [unrolled: 1-line block ×3, first 2 shown]
	s_delay_alu instid0(VALU_DEP_4) | instskip(NEXT) | instid1(VALU_DEP_1)
	v_add_co_u32 v0, s10, v0, -1
	v_cndmask_b32_e64 v17, 0, 1, s10
	v_not_b32_e32 v21, v1
	v_cmp_gt_i32_e64 s10, 0, v1
	v_not_b32_e32 v1, v8
	v_lshlrev_b32_e32 v18, 27, v41
	v_cmp_ne_u32_e32 vcc_lo, 0, v17
	v_ashrrev_i32_e32 v21, 31, v21
	v_dual_mov_b32 v24, v2 :: v_dual_lshlrev_b32 v19, 26, v41
	v_ashrrev_i32_e32 v1, 31, v1
	v_xor_b32_e32 v0, vcc_lo, v0
	v_cmp_gt_i32_e32 vcc_lo, 0, v8
	v_not_b32_e32 v8, v16
	v_xor_b32_e32 v21, s10, v21
	v_cmp_gt_i32_e64 s10, 0, v16
	v_and_b32_e32 v0, exec_lo, v0
	v_not_b32_e32 v16, v18
	v_ashrrev_i32_e32 v8, 31, v8
	v_xor_b32_e32 v1, vcc_lo, v1
	v_cmp_gt_i32_e32 vcc_lo, 0, v18
	v_and_b32_e32 v0, v0, v21
	v_not_b32_e32 v18, v19
	v_ashrrev_i32_e32 v16, 31, v16
	v_xor_b32_e32 v8, s10, v8
	v_cmp_gt_i32_e64 s10, 0, v19
	v_and_b32_e32 v0, v0, v1
	v_ashrrev_i32_e32 v18, 31, v18
	v_xor_b32_e32 v16, vcc_lo, v16
	v_lshlrev_b32_e32 v20, 25, v41
	v_lshlrev_b32_e32 v17, 24, v41
	v_and_b32_e32 v0, v0, v8
	v_xor_b32_e32 v18, s10, v18
	s_delay_alu instid0(VALU_DEP_2) | instskip(NEXT) | instid1(VALU_DEP_1)
	v_and_b32_e32 v0, v0, v16
	v_dual_mov_b32 v19, v7 :: v_dual_and_b32 v0, v0, v18
	v_mov_b32_e32 v18, v6
	v_not_b32_e32 v1, v20
	v_cmp_gt_i32_e32 vcc_lo, 0, v20
	v_not_b32_e32 v8, v17
	v_cmp_gt_i32_e64 s10, 0, v17
	v_mov_b32_e32 v16, v28
	v_ashrrev_i32_e32 v1, 31, v1
	v_mov_b32_e32 v21, v5
	v_ashrrev_i32_e32 v8, 31, v8
	v_dual_mov_b32 v17, v29 :: v_dual_mov_b32 v20, v4
	s_delay_alu instid0(VALU_DEP_4) | instskip(NEXT) | instid1(VALU_DEP_3)
	v_xor_b32_e32 v1, vcc_lo, v1
	v_xor_b32_e32 v8, s10, v8
	s_delay_alu instid0(VALU_DEP_2) | instskip(SKIP_1) | instid1(VALU_DEP_2)
	v_and_b32_e32 v0, v0, v1
	v_and_b32_e32 v1, 0xff, v41
	;; [unrolled: 1-line block ×3, first 2 shown]
	s_delay_alu instid0(VALU_DEP_2) | instskip(NEXT) | instid1(VALU_DEP_2)
	v_mad_u32_u24 v1, v1, 10, v39
	v_mbcnt_lo_u32_b32 v8, v0, 0
	v_cmp_ne_u32_e64 s10, 0, v0
	s_delay_alu instid0(VALU_DEP_3) | instskip(NEXT) | instid1(VALU_DEP_3)
	v_lshl_add_u32 v26, v1, 2, 40
	v_cmp_eq_u32_e32 vcc_lo, 0, v8
	s_delay_alu instid0(VALU_DEP_3) | instskip(NEXT) | instid1(SALU_CYCLE_1)
	s_and_b32 s16, s10, vcc_lo
	s_and_saveexec_b32 s10, s16
	s_cbranch_execz .LBB323_6
; %bb.5:                                ;   in Loop: Header=BB323_4 Depth=2
	v_bcnt_u32_b32 v0, v0, 0
	ds_store_b32 v26, v0
.LBB323_6:                              ;   in Loop: Header=BB323_4 Depth=2
	s_or_b32 exec_lo, exec_lo, s10
	v_lshrrev_b64 v[0:1], s14, v[24:25]
	; wave barrier
	s_delay_alu instid0(VALU_DEP_1)
	v_and_b32_e32 v2, 1, v0
	v_lshlrev_b32_e32 v3, 30, v0
	v_lshlrev_b32_e32 v4, 29, v0
	;; [unrolled: 1-line block ×4, first 2 shown]
	v_add_co_u32 v2, s10, v2, -1
	s_delay_alu instid0(VALU_DEP_1)
	v_cndmask_b32_e64 v6, 0, 1, s10
	v_not_b32_e32 v29, v3
	v_cmp_gt_i32_e64 s10, 0, v3
	v_not_b32_e32 v3, v4
	v_lshlrev_b32_e32 v27, 26, v0
	v_cmp_ne_u32_e32 vcc_lo, 0, v6
	v_ashrrev_i32_e32 v6, 31, v29
	v_lshlrev_b32_e32 v28, 25, v0
	v_ashrrev_i32_e32 v3, 31, v3
	v_and_b32_e32 v1, 0xff, v0
	v_xor_b32_e32 v2, vcc_lo, v2
	v_cmp_gt_i32_e32 vcc_lo, 0, v4
	v_not_b32_e32 v4, v5
	v_xor_b32_e32 v6, s10, v6
	v_cmp_gt_i32_e64 s10, 0, v5
	v_and_b32_e32 v2, exec_lo, v2
	v_not_b32_e32 v5, v7
	v_ashrrev_i32_e32 v4, 31, v4
	v_xor_b32_e32 v3, vcc_lo, v3
	v_cmp_gt_i32_e32 vcc_lo, 0, v7
	v_and_b32_e32 v2, v2, v6
	v_not_b32_e32 v6, v27
	v_ashrrev_i32_e32 v5, 31, v5
	v_xor_b32_e32 v4, s10, v4
	v_lshlrev_b32_e32 v0, 24, v0
	v_and_b32_e32 v2, v2, v3
	v_cmp_gt_i32_e64 s10, 0, v27
	v_not_b32_e32 v3, v28
	v_ashrrev_i32_e32 v6, 31, v6
	v_xor_b32_e32 v5, vcc_lo, v5
	v_and_b32_e32 v2, v2, v4
	v_cmp_gt_i32_e32 vcc_lo, 0, v28
	v_not_b32_e32 v4, v0
	v_ashrrev_i32_e32 v3, 31, v3
	v_xor_b32_e32 v6, s10, v6
	v_and_b32_e32 v2, v2, v5
	v_mul_u32_u24_e32 v1, 10, v1
	v_cmp_gt_i32_e64 s10, 0, v0
	v_ashrrev_i32_e32 v0, 31, v4
	v_xor_b32_e32 v3, vcc_lo, v3
	v_and_b32_e32 v2, v2, v6
	v_add_lshl_u32 v1, v1, v39, 2
	s_delay_alu instid0(VALU_DEP_4) | instskip(NEXT) | instid1(VALU_DEP_3)
	v_xor_b32_e32 v0, s10, v0
	v_and_b32_e32 v2, v2, v3
	ds_load_b32 v27, v1 offset:40
	v_add_nc_u32_e32 v29, 40, v1
	; wave barrier
	v_and_b32_e32 v0, v2, v0
	s_delay_alu instid0(VALU_DEP_1) | instskip(SKIP_1) | instid1(VALU_DEP_2)
	v_mbcnt_lo_u32_b32 v28, v0, 0
	v_cmp_ne_u32_e64 s10, 0, v0
	v_cmp_eq_u32_e32 vcc_lo, 0, v28
	s_delay_alu instid0(VALU_DEP_2) | instskip(NEXT) | instid1(SALU_CYCLE_1)
	s_and_b32 s16, s10, vcc_lo
	s_and_saveexec_b32 s10, s16
	s_cbranch_execz .LBB323_8
; %bb.7:                                ;   in Loop: Header=BB323_4 Depth=2
	s_waitcnt lgkmcnt(0)
	v_bcnt_u32_b32 v0, v0, v27
	ds_store_b32 v29, v0
.LBB323_8:                              ;   in Loop: Header=BB323_4 Depth=2
	s_or_b32 exec_lo, exec_lo, s10
	v_lshrrev_b64 v[0:1], s14, v[22:23]
	; wave barrier
	s_delay_alu instid0(VALU_DEP_1)
	v_and_b32_e32 v2, 1, v0
	v_lshlrev_b32_e32 v3, 30, v0
	v_lshlrev_b32_e32 v4, 29, v0
	;; [unrolled: 1-line block ×4, first 2 shown]
	v_add_co_u32 v2, s10, v2, -1
	s_delay_alu instid0(VALU_DEP_1)
	v_cndmask_b32_e64 v6, 0, 1, s10
	v_not_b32_e32 v43, v3
	v_cmp_gt_i32_e64 s10, 0, v3
	v_not_b32_e32 v3, v4
	v_lshlrev_b32_e32 v41, 26, v0
	v_cmp_ne_u32_e32 vcc_lo, 0, v6
	v_ashrrev_i32_e32 v6, 31, v43
	v_lshlrev_b32_e32 v42, 25, v0
	v_ashrrev_i32_e32 v3, 31, v3
	v_and_b32_e32 v1, 0xff, v0
	v_xor_b32_e32 v2, vcc_lo, v2
	v_cmp_gt_i32_e32 vcc_lo, 0, v4
	v_not_b32_e32 v4, v5
	v_xor_b32_e32 v6, s10, v6
	v_cmp_gt_i32_e64 s10, 0, v5
	v_and_b32_e32 v2, exec_lo, v2
	v_not_b32_e32 v5, v7
	v_ashrrev_i32_e32 v4, 31, v4
	v_xor_b32_e32 v3, vcc_lo, v3
	v_cmp_gt_i32_e32 vcc_lo, 0, v7
	v_and_b32_e32 v2, v2, v6
	v_not_b32_e32 v6, v41
	v_ashrrev_i32_e32 v5, 31, v5
	v_xor_b32_e32 v4, s10, v4
	v_lshlrev_b32_e32 v0, 24, v0
	v_and_b32_e32 v2, v2, v3
	v_cmp_gt_i32_e64 s10, 0, v41
	v_not_b32_e32 v3, v42
	v_ashrrev_i32_e32 v6, 31, v6
	v_xor_b32_e32 v5, vcc_lo, v5
	v_and_b32_e32 v2, v2, v4
	v_cmp_gt_i32_e32 vcc_lo, 0, v42
	v_not_b32_e32 v4, v0
	v_ashrrev_i32_e32 v3, 31, v3
	v_xor_b32_e32 v6, s10, v6
	v_and_b32_e32 v2, v2, v5
	v_mul_u32_u24_e32 v1, 10, v1
	v_cmp_gt_i32_e64 s10, 0, v0
	v_ashrrev_i32_e32 v0, 31, v4
	v_xor_b32_e32 v3, vcc_lo, v3
	v_and_b32_e32 v2, v2, v6
	v_add_lshl_u32 v1, v1, v39, 2
	s_delay_alu instid0(VALU_DEP_4) | instskip(NEXT) | instid1(VALU_DEP_3)
	v_xor_b32_e32 v0, s10, v0
	v_and_b32_e32 v2, v2, v3
	ds_load_b32 v41, v1 offset:40
	v_add_nc_u32_e32 v43, 40, v1
	; wave barrier
	v_and_b32_e32 v0, v2, v0
	s_delay_alu instid0(VALU_DEP_1) | instskip(SKIP_1) | instid1(VALU_DEP_2)
	v_mbcnt_lo_u32_b32 v42, v0, 0
	v_cmp_ne_u32_e64 s10, 0, v0
	v_cmp_eq_u32_e32 vcc_lo, 0, v42
	s_delay_alu instid0(VALU_DEP_2) | instskip(NEXT) | instid1(SALU_CYCLE_1)
	s_and_b32 s16, s10, vcc_lo
	s_and_saveexec_b32 s10, s16
	s_cbranch_execz .LBB323_10
; %bb.9:                                ;   in Loop: Header=BB323_4 Depth=2
	s_waitcnt lgkmcnt(0)
	v_bcnt_u32_b32 v0, v0, v41
	ds_store_b32 v43, v0
.LBB323_10:                             ;   in Loop: Header=BB323_4 Depth=2
	s_or_b32 exec_lo, exec_lo, s10
	; wave barrier
	s_waitcnt lgkmcnt(0)
	s_barrier
	buffer_gl0_inv
	ds_load_2addr_b64 v[4:7], v30 offset0:5 offset1:6
	ds_load_2addr_b64 v[0:3], v31 offset0:2 offset1:3
	s_waitcnt lgkmcnt(1)
	v_add_nc_u32_e32 v44, v5, v4
	s_delay_alu instid0(VALU_DEP_1) | instskip(SKIP_1) | instid1(VALU_DEP_1)
	v_add3_u32 v44, v44, v6, v7
	s_waitcnt lgkmcnt(0)
	v_add3_u32 v44, v44, v0, v1
	s_delay_alu instid0(VALU_DEP_1) | instskip(NEXT) | instid1(VALU_DEP_1)
	v_add3_u32 v3, v44, v2, v3
	v_mov_b32_dpp v44, v3 row_shr:1 row_mask:0xf bank_mask:0xf
	s_delay_alu instid0(VALU_DEP_1) | instskip(NEXT) | instid1(VALU_DEP_1)
	v_cndmask_b32_e64 v44, v44, 0, s1
	v_add_nc_u32_e32 v3, v44, v3
	s_delay_alu instid0(VALU_DEP_1) | instskip(NEXT) | instid1(VALU_DEP_1)
	v_mov_b32_dpp v44, v3 row_shr:2 row_mask:0xf bank_mask:0xf
	v_cndmask_b32_e64 v44, 0, v44, s2
	s_delay_alu instid0(VALU_DEP_1) | instskip(NEXT) | instid1(VALU_DEP_1)
	v_add_nc_u32_e32 v3, v3, v44
	v_mov_b32_dpp v44, v3 row_shr:4 row_mask:0xf bank_mask:0xf
	s_delay_alu instid0(VALU_DEP_1) | instskip(NEXT) | instid1(VALU_DEP_1)
	v_cndmask_b32_e64 v44, 0, v44, s3
	v_add_nc_u32_e32 v3, v3, v44
	s_delay_alu instid0(VALU_DEP_1) | instskip(NEXT) | instid1(VALU_DEP_1)
	v_mov_b32_dpp v44, v3 row_shr:8 row_mask:0xf bank_mask:0xf
	v_cndmask_b32_e64 v44, 0, v44, s4
	s_delay_alu instid0(VALU_DEP_1) | instskip(SKIP_3) | instid1(VALU_DEP_1)
	v_add_nc_u32_e32 v3, v3, v44
	ds_swizzle_b32 v44, v3 offset:swizzle(BROADCAST,32,15)
	s_waitcnt lgkmcnt(0)
	v_cndmask_b32_e64 v44, v44, 0, s5
	v_add_nc_u32_e32 v3, v3, v44
	s_and_saveexec_b32 s10, s9
	s_cbranch_execz .LBB323_12
; %bb.11:                               ;   in Loop: Header=BB323_4 Depth=2
	ds_store_b32 v33, v3
.LBB323_12:                             ;   in Loop: Header=BB323_4 Depth=2
	s_or_b32 exec_lo, exec_lo, s10
	s_waitcnt lgkmcnt(0)
	s_barrier
	buffer_gl0_inv
	s_and_saveexec_b32 s10, s6
	s_cbranch_execz .LBB323_14
; %bb.13:                               ;   in Loop: Header=BB323_4 Depth=2
	ds_load_b32 v44, v34
	s_waitcnt lgkmcnt(0)
	v_mov_b32_dpp v45, v44 row_shr:1 row_mask:0xf bank_mask:0xf
	s_delay_alu instid0(VALU_DEP_1) | instskip(NEXT) | instid1(VALU_DEP_1)
	v_cndmask_b32_e64 v45, v45, 0, s1
	v_add_nc_u32_e32 v44, v45, v44
	s_delay_alu instid0(VALU_DEP_1) | instskip(NEXT) | instid1(VALU_DEP_1)
	v_mov_b32_dpp v45, v44 row_shr:2 row_mask:0xf bank_mask:0xf
	v_cndmask_b32_e64 v45, 0, v45, s2
	s_delay_alu instid0(VALU_DEP_1) | instskip(NEXT) | instid1(VALU_DEP_1)
	v_add_nc_u32_e32 v44, v44, v45
	v_mov_b32_dpp v45, v44 row_shr:4 row_mask:0xf bank_mask:0xf
	s_delay_alu instid0(VALU_DEP_1) | instskip(NEXT) | instid1(VALU_DEP_1)
	v_cndmask_b32_e64 v45, 0, v45, s3
	v_add_nc_u32_e32 v44, v44, v45
	s_delay_alu instid0(VALU_DEP_1) | instskip(NEXT) | instid1(VALU_DEP_1)
	v_mov_b32_dpp v45, v44 row_shr:8 row_mask:0xf bank_mask:0xf
	v_cndmask_b32_e64 v45, 0, v45, s4
	s_delay_alu instid0(VALU_DEP_1)
	v_add_nc_u32_e32 v44, v44, v45
	ds_store_b32 v34, v44
.LBB323_14:                             ;   in Loop: Header=BB323_4 Depth=2
	s_or_b32 exec_lo, exec_lo, s10
	v_mov_b32_e32 v44, 0
	s_waitcnt lgkmcnt(0)
	s_barrier
	buffer_gl0_inv
	s_and_saveexec_b32 s10, s7
	s_cbranch_execz .LBB323_16
; %bb.15:                               ;   in Loop: Header=BB323_4 Depth=2
	ds_load_b32 v44, v35
.LBB323_16:                             ;   in Loop: Header=BB323_4 Depth=2
	s_or_b32 exec_lo, exec_lo, s10
	s_waitcnt lgkmcnt(0)
	v_add_nc_u32_e32 v3, v44, v3
	s_cmp_gt_u32 s14, 55
	ds_bpermute_b32 v3, v32, v3
	s_waitcnt lgkmcnt(0)
	v_cndmask_b32_e64 v3, v3, v44, s0
	s_delay_alu instid0(VALU_DEP_1) | instskip(NEXT) | instid1(VALU_DEP_1)
	v_cndmask_b32_e64 v3, v3, 0, s8
	v_add_nc_u32_e32 v4, v3, v4
	s_delay_alu instid0(VALU_DEP_1) | instskip(NEXT) | instid1(VALU_DEP_1)
	v_add_nc_u32_e32 v5, v4, v5
	v_add_nc_u32_e32 v6, v5, v6
	s_delay_alu instid0(VALU_DEP_1) | instskip(NEXT) | instid1(VALU_DEP_1)
	v_add_nc_u32_e32 v44, v6, v7
	;; [unrolled: 3-line block ×3, first 2 shown]
	v_add_nc_u32_e32 v1, v0, v2
	ds_store_2addr_b64 v30, v[3:4], v[5:6] offset0:5 offset1:6
	ds_store_2addr_b64 v31, v[44:45], v[0:1] offset0:2 offset1:3
	s_waitcnt lgkmcnt(0)
	s_barrier
	buffer_gl0_inv
	ds_load_b32 v0, v26
	ds_load_b32 v1, v29
	ds_load_b32 v2, v43
	s_waitcnt lgkmcnt(2)
	v_add_nc_u32_e32 v44, v0, v8
	s_waitcnt lgkmcnt(1)
	v_add3_u32 v43, v28, v27, v1
	s_waitcnt lgkmcnt(0)
	v_add3_u32 v8, v42, v41, v2
	s_cbranch_scc0 .LBB323_3
; %bb.17:                               ;   in Loop: Header=BB323_2 Depth=1
                                        ; implicit-def: $vgpr26_vgpr27
                                        ; implicit-def: $vgpr2_vgpr3
                                        ; implicit-def: $vgpr28_vgpr29
                                        ; implicit-def: $vgpr6_vgpr7
                                        ; implicit-def: $sgpr14_sgpr15
	s_branch .LBB323_1
.LBB323_18:
	v_lshlrev_b32_e32 v9, 3, v9
	s_waitcnt lgkmcnt(1)
	v_add_co_u32 v0, vcc_lo, v1, v5
	v_add_co_ci_u32_e32 v1, vcc_lo, v2, v6, vcc_lo
	s_add_u32 s0, s18, s12
	v_add_co_u32 v2, vcc_lo, v3, v7
	s_addc_u32 s1, s19, s13
	v_add_co_u32 v6, s2, s0, v9
	v_add_co_ci_u32_e32 v3, vcc_lo, v4, v8, vcc_lo
	v_add_co_ci_u32_e64 v7, null, s1, 0, s2
	s_waitcnt lgkmcnt(0)
	v_add_co_u32 v4, vcc_lo, v14, v16
	v_add_co_ci_u32_e32 v5, vcc_lo, v15, v17, vcc_lo
	v_add_co_u32 v6, vcc_lo, 0x1000, v6
	v_add_co_ci_u32_e32 v7, vcc_lo, 0, v7, vcc_lo
	s_clause 0x2
	global_store_b64 v9, v[0:1], s[0:1]
	global_store_b64 v9, v[2:3], s[0:1] offset:2560
	global_store_b64 v[6:7], v[4:5], off offset:1024
	s_nop 0
	s_sendmsg sendmsg(MSG_DEALLOC_VGPRS)
	s_endpgm
	.section	.rodata,"a",@progbits
	.p2align	6, 0x0
	.amdhsa_kernel _Z17sort_pairs_kernelI22helper_blocked_stripedxLj320ELj3ELj10EEvPKT0_PS1_
		.amdhsa_group_segment_fixed_size 10288
		.amdhsa_private_segment_fixed_size 0
		.amdhsa_kernarg_size 272
		.amdhsa_user_sgpr_count 15
		.amdhsa_user_sgpr_dispatch_ptr 0
		.amdhsa_user_sgpr_queue_ptr 0
		.amdhsa_user_sgpr_kernarg_segment_ptr 1
		.amdhsa_user_sgpr_dispatch_id 0
		.amdhsa_user_sgpr_private_segment_size 0
		.amdhsa_wavefront_size32 1
		.amdhsa_uses_dynamic_stack 0
		.amdhsa_enable_private_segment 0
		.amdhsa_system_sgpr_workgroup_id_x 1
		.amdhsa_system_sgpr_workgroup_id_y 0
		.amdhsa_system_sgpr_workgroup_id_z 0
		.amdhsa_system_sgpr_workgroup_info 0
		.amdhsa_system_vgpr_workitem_id 2
		.amdhsa_next_free_vgpr 46
		.amdhsa_next_free_sgpr 20
		.amdhsa_reserve_vcc 1
		.amdhsa_float_round_mode_32 0
		.amdhsa_float_round_mode_16_64 0
		.amdhsa_float_denorm_mode_32 3
		.amdhsa_float_denorm_mode_16_64 3
		.amdhsa_dx10_clamp 1
		.amdhsa_ieee_mode 1
		.amdhsa_fp16_overflow 0
		.amdhsa_workgroup_processor_mode 1
		.amdhsa_memory_ordered 1
		.amdhsa_forward_progress 0
		.amdhsa_shared_vgpr_count 0
		.amdhsa_exception_fp_ieee_invalid_op 0
		.amdhsa_exception_fp_denorm_src 0
		.amdhsa_exception_fp_ieee_div_zero 0
		.amdhsa_exception_fp_ieee_overflow 0
		.amdhsa_exception_fp_ieee_underflow 0
		.amdhsa_exception_fp_ieee_inexact 0
		.amdhsa_exception_int_div_zero 0
	.end_amdhsa_kernel
	.section	.text._Z17sort_pairs_kernelI22helper_blocked_stripedxLj320ELj3ELj10EEvPKT0_PS1_,"axG",@progbits,_Z17sort_pairs_kernelI22helper_blocked_stripedxLj320ELj3ELj10EEvPKT0_PS1_,comdat
.Lfunc_end323:
	.size	_Z17sort_pairs_kernelI22helper_blocked_stripedxLj320ELj3ELj10EEvPKT0_PS1_, .Lfunc_end323-_Z17sort_pairs_kernelI22helper_blocked_stripedxLj320ELj3ELj10EEvPKT0_PS1_
                                        ; -- End function
	.section	.AMDGPU.csdata,"",@progbits
; Kernel info:
; codeLenInByte = 2728
; NumSgprs: 22
; NumVgprs: 46
; ScratchSize: 0
; MemoryBound: 0
; FloatMode: 240
; IeeeMode: 1
; LDSByteSize: 10288 bytes/workgroup (compile time only)
; SGPRBlocks: 2
; VGPRBlocks: 5
; NumSGPRsForWavesPerEU: 22
; NumVGPRsForWavesPerEU: 46
; Occupancy: 15
; WaveLimiterHint : 1
; COMPUTE_PGM_RSRC2:SCRATCH_EN: 0
; COMPUTE_PGM_RSRC2:USER_SGPR: 15
; COMPUTE_PGM_RSRC2:TRAP_HANDLER: 0
; COMPUTE_PGM_RSRC2:TGID_X_EN: 1
; COMPUTE_PGM_RSRC2:TGID_Y_EN: 0
; COMPUTE_PGM_RSRC2:TGID_Z_EN: 0
; COMPUTE_PGM_RSRC2:TIDIG_COMP_CNT: 2
	.section	.text._Z16sort_keys_kernelI22helper_blocked_stripedxLj320ELj4ELj10EEvPKT0_PS1_,"axG",@progbits,_Z16sort_keys_kernelI22helper_blocked_stripedxLj320ELj4ELj10EEvPKT0_PS1_,comdat
	.protected	_Z16sort_keys_kernelI22helper_blocked_stripedxLj320ELj4ELj10EEvPKT0_PS1_ ; -- Begin function _Z16sort_keys_kernelI22helper_blocked_stripedxLj320ELj4ELj10EEvPKT0_PS1_
	.globl	_Z16sort_keys_kernelI22helper_blocked_stripedxLj320ELj4ELj10EEvPKT0_PS1_
	.p2align	8
	.type	_Z16sort_keys_kernelI22helper_blocked_stripedxLj320ELj4ELj10EEvPKT0_PS1_,@function
_Z16sort_keys_kernelI22helper_blocked_stripedxLj320ELj4ELj10EEvPKT0_PS1_: ; @_Z16sort_keys_kernelI22helper_blocked_stripedxLj320ELj4ELj10EEvPKT0_PS1_
; %bb.0:
	s_clause 0x1
	s_load_b128 s[16:19], s[0:1], 0x0
	s_load_b32 s2, s[0:1], 0x1c
	s_mov_b32 s21, 0
	s_mul_i32 s20, s15, 0x500
	v_bfe_u32 v10, v0, 10, 10
	s_lshl_b64 s[14:15], s[20:21], 3
	s_mov_b32 s20, s21
	v_and_b32_e32 v9, 0x3ff, v0
	v_bfe_u32 v0, v0, 20, 10
	v_mbcnt_lo_u32_b32 v12, -1, 0
	s_delay_alu instid0(VALU_DEP_3) | instskip(NEXT) | instid1(VALU_DEP_2)
	v_lshlrev_b32_e32 v22, 5, v9
	v_and_b32_e32 v13, 3, v12
	v_cmp_eq_u32_e64 s11, 0, v12
	s_waitcnt lgkmcnt(0)
	s_add_u32 s0, s16, s14
	s_addc_u32 s1, s17, s15
	s_mov_b32 s16, s21
	s_clause 0x1
	global_load_b128 v[1:4], v22, s[0:1] offset:16
	global_load_b128 v[5:8], v22, s[0:1]
	s_lshr_b32 s1, s2, 16
	s_and_b32 s2, s2, 0xffff
	v_mad_u32_u24 v0, v0, s1, v10
	v_cmp_eq_u32_e64 s0, 3, v13
	v_cmp_eq_u32_e64 s1, 2, v13
	s_mov_b32 s17, s21
	v_and_b32_e32 v24, 28, v12
	v_mad_u64_u32 v[10:11], null, v0, s2, v[9:10]
	v_cmp_eq_u32_e64 s2, 1, v13
	v_and_b32_e32 v11, 0x1e0, v9
	v_add_nc_u32_e32 v13, -1, v12
	v_and_b32_e32 v0, 15, v12
	v_lshrrev_b32_e32 v29, 5, v10
	s_delay_alu instid0(VALU_DEP_4) | instskip(NEXT) | instid1(VALU_DEP_4)
	v_min_u32_e32 v10, 0x120, v11
	v_cmp_gt_i32_e32 vcc_lo, 0, v13
	v_lshlrev_b32_e32 v23, 2, v9
	v_cmp_eq_u32_e64 s3, 0, v0
	v_cmp_lt_u32_e64 s4, 1, v0
	v_cmp_lt_u32_e64 s5, 3, v0
	v_or_b32_e32 v10, 31, v10
	v_cmp_lt_u32_e64 s6, 7, v0
	v_cndmask_b32_e32 v0, v13, v12, vcc_lo
	v_and_b32_e32 v11, 16, v12
	s_delay_alu instid0(VALU_DEP_4) | instskip(SKIP_1) | instid1(VALU_DEP_4)
	v_cmp_eq_u32_e64 s8, v10, v9
	v_lshrrev_b32_e32 v10, 3, v9
	v_lshlrev_b32_e32 v30, 2, v0
	v_and_b32_e32 v0, 0x780, v23
	v_cmp_eq_u32_e64 s7, 0, v11
	s_delay_alu instid0(VALU_DEP_4) | instskip(NEXT) | instid1(VALU_DEP_3)
	v_and_b32_e32 v31, 60, v10
	v_or_b32_e32 v10, 32, v0
	v_or_b32_e32 v11, 64, v0
	;; [unrolled: 1-line block ×4, first 2 shown]
	v_lshrrev_b32_e32 v0, 5, v0
	v_lshrrev_b32_e32 v10, 5, v10
	;; [unrolled: 1-line block ×4, first 2 shown]
	v_add_nc_u32_e32 v33, -4, v31
	v_add_lshl_u32 v34, v0, v12, 3
	v_add_lshl_u32 v35, v10, v12, 3
	;; [unrolled: 1-line block ×4, first 2 shown]
	v_mov_b32_e32 v10, s20
	v_mov_b32_e32 v12, s16
	v_cmp_gt_u32_e64 s9, 10, v9
	v_cmp_lt_u32_e64 s10, 31, v9
	v_cmp_eq_u32_e64 s12, 0, v9
	v_dual_mov_b32 v11, s21 :: v_dual_add_nc_u32 v28, 40, v22
	v_mad_i32_i24 v32, 0xffffffe4, v9, v22
	v_mov_b32_e32 v13, s17
	v_or_b32_e32 v25, 32, v24
	v_or_b32_e32 v26, 64, v24
	;; [unrolled: 1-line block ×3, first 2 shown]
	s_branch .LBB324_2
.LBB324_1:                              ;   in Loop: Header=BB324_2 Depth=1
	v_lshlrev_b32_e32 v0, 3, v41
	v_lshlrev_b32_e32 v1, 3, v39
	;; [unrolled: 1-line block ×3, first 2 shown]
	s_barrier
	buffer_gl0_inv
	v_lshlrev_b32_e32 v3, 3, v8
	ds_store_b64 v0, v[14:15]
	ds_store_b64 v1, v[20:21]
	;; [unrolled: 1-line block ×3, first 2 shown]
	v_add_nc_u32_e32 v0, v32, v23
	s_add_i32 s21, s21, 1
	ds_store_b64 v3, v[16:17]
	s_waitcnt lgkmcnt(0)
	s_barrier
	buffer_gl0_inv
	ds_load_2addr_stride64_b64 v[5:8], v0 offset1:5
	ds_load_2addr_stride64_b64 v[1:4], v0 offset0:10 offset1:15
	s_cmp_eq_u32 s21, 10
	s_waitcnt lgkmcnt(1)
	v_xor_b32_e32 v6, 0x80000000, v6
	v_xor_b32_e32 v8, 0x80000000, v8
	s_waitcnt lgkmcnt(0)
	v_xor_b32_e32 v2, 0x80000000, v2
	v_xor_b32_e32 v4, 0x80000000, v4
	s_cbranch_scc1 .LBB324_20
.LBB324_2:                              ; =>This Loop Header: Depth=1
                                        ;     Child Loop BB324_4 Depth 2
	s_waitcnt vmcnt(0)
	v_xor_b32_e32 v0, 0x80000000, v6
	v_xor_b32_e32 v6, 0x80000000, v8
	ds_bpermute_b32 v8, v24, v5
	ds_bpermute_b32 v14, v24, v7
	v_xor_b32_e32 v2, 0x80000000, v2
	ds_bpermute_b32 v15, v24, v0
	ds_bpermute_b32 v16, v24, v6
	ds_bpermute_b32 v17, v24, v1
	ds_bpermute_b32 v18, v25, v0
	ds_bpermute_b32 v19, v25, v6
	ds_bpermute_b32 v20, v24, v2
	v_xor_b32_e32 v4, 0x80000000, v4
	ds_bpermute_b32 v38, v25, v5
	ds_bpermute_b32 v39, v25, v7
	ds_bpermute_b32 v40, v25, v1
	ds_bpermute_b32 v41, v26, v5
	ds_bpermute_b32 v42, v26, v7
	ds_bpermute_b32 v5, v27, v5
	ds_bpermute_b32 v43, v27, v7
	ds_bpermute_b32 v7, v24, v4
	ds_bpermute_b32 v44, v25, v2
	ds_bpermute_b32 v45, v26, v0
	ds_bpermute_b32 v0, v27, v0
	s_waitcnt lgkmcnt(17)
	v_cndmask_b32_e64 v8, v8, v14, s2
	ds_bpermute_b32 v14, v26, v6
	ds_bpermute_b32 v21, v24, v3
	s_waitcnt lgkmcnt(17)
	v_cndmask_b32_e64 v15, v15, v16, s2
	ds_bpermute_b32 v16, v27, v6
	s_waitcnt lgkmcnt(17)
	v_cndmask_b32_e64 v6, v8, v17, s1
	s_waitcnt lgkmcnt(15)
	v_cndmask_b32_e64 v8, v18, v19, s2
	ds_bpermute_b32 v17, v25, v3
	ds_bpermute_b32 v18, v26, v1
	;; [unrolled: 1-line block ×5, first 2 shown]
	s_waitcnt lgkmcnt(19)
	v_cndmask_b32_e64 v15, v15, v20, s1
	ds_bpermute_b32 v20, v25, v4
	ds_bpermute_b32 v46, v26, v3
	;; [unrolled: 1-line block ×5, first 2 shown]
	s_waitcnt lgkmcnt(22)
	v_cndmask_b32_e64 v3, v38, v39, s2
	s_waitcnt lgkmcnt(16)
	v_cndmask_b32_e64 v7, v15, v7, s0
	;; [unrolled: 2-line block ×3, first 2 shown]
	v_cndmask_b32_e64 v8, v41, v42, s2
	s_waitcnt lgkmcnt(12)
	v_cndmask_b32_e64 v14, v45, v14, s2
	v_cndmask_b32_e64 v3, v3, v40, s1
	;; [unrolled: 1-line block ×3, first 2 shown]
	s_waitcnt lgkmcnt(10)
	v_cndmask_b32_e64 v15, v0, v16, s2
	v_cndmask_b32_e64 v6, v6, v21, s0
	s_mov_b64 s[16:17], 0
	s_waitcnt lgkmcnt(9)
	v_cndmask_b32_e64 v0, v3, v17, s0
	s_waitcnt lgkmcnt(8)
	v_cndmask_b32_e64 v3, v8, v18, s1
	;; [unrolled: 2-line block ×10, first 2 shown]
	s_barrier
	s_branch .LBB324_4
.LBB324_3:                              ;   in Loop: Header=BB324_4 Depth=2
	v_lshrrev_b32_e32 v0, 2, v41
	v_lshrrev_b32_e32 v1, 2, v39
	;; [unrolled: 1-line block ×4, first 2 shown]
	s_delay_alu instid0(VALU_DEP_4) | instskip(NEXT) | instid1(VALU_DEP_4)
	v_and_b32_e32 v0, 0x3ffffff8, v0
	v_and_b32_e32 v1, 0x3ffffff8, v1
	s_delay_alu instid0(VALU_DEP_4) | instskip(NEXT) | instid1(VALU_DEP_4)
	v_and_b32_e32 v2, 0x3ffffff8, v2
	v_and_b32_e32 v3, 0x3ffffff8, v3
	s_barrier
	v_lshl_add_u32 v0, v41, 3, v0
	v_lshl_add_u32 v1, v39, 3, v1
	;; [unrolled: 1-line block ×4, first 2 shown]
	buffer_gl0_inv
	ds_store_b64 v0, v[14:15]
	ds_store_b64 v1, v[20:21]
	;; [unrolled: 1-line block ×4, first 2 shown]
	s_waitcnt lgkmcnt(0)
	s_barrier
	buffer_gl0_inv
	ds_load_b64 v[6:7], v34
	ds_load_b64 v[0:1], v35 offset:256
	ds_load_b64 v[2:3], v36 offset:512
	;; [unrolled: 1-line block ×3, first 2 shown]
	s_add_u32 s16, s16, 8
	s_addc_u32 s17, s17, 0
	s_waitcnt lgkmcnt(0)
	s_barrier
	s_cbranch_execz .LBB324_1
.LBB324_4:                              ;   Parent Loop BB324_2 Depth=1
                                        ; =>  This Inner Loop Header: Depth=2
	v_dual_mov_b32 v15, v7 :: v_dual_mov_b32 v14, v6
	buffer_gl0_inv
	ds_store_2addr_b64 v22, v[10:11], v[12:13] offset0:5 offset1:6
	ds_store_2addr_b64 v28, v[10:11], v[12:13] offset0:2 offset1:3
	s_waitcnt lgkmcnt(0)
	s_barrier
	v_lshrrev_b64 v[6:7], s16, v[14:15]
	buffer_gl0_inv
	; wave barrier
	v_and_b32_e32 v7, 1, v6
	v_lshlrev_b32_e32 v8, 30, v6
	v_lshlrev_b32_e32 v16, 29, v6
	;; [unrolled: 1-line block ×4, first 2 shown]
	v_add_co_u32 v7, s13, v7, -1
	s_delay_alu instid0(VALU_DEP_1)
	v_cndmask_b32_e64 v18, 0, 1, s13
	v_not_b32_e32 v38, v8
	v_cmp_gt_i32_e64 s13, 0, v8
	v_not_b32_e32 v8, v16
	v_lshlrev_b32_e32 v20, 26, v6
	v_cmp_ne_u32_e32 vcc_lo, 0, v18
	v_ashrrev_i32_e32 v38, 31, v38
	v_lshlrev_b32_e32 v21, 25, v6
	v_ashrrev_i32_e32 v8, 31, v8
	v_lshlrev_b32_e32 v18, 24, v6
	v_xor_b32_e32 v7, vcc_lo, v7
	v_cmp_gt_i32_e32 vcc_lo, 0, v16
	v_not_b32_e32 v16, v17
	v_xor_b32_e32 v38, s13, v38
	v_cmp_gt_i32_e64 s13, 0, v17
	v_and_b32_e32 v7, exec_lo, v7
	v_not_b32_e32 v17, v19
	v_ashrrev_i32_e32 v16, 31, v16
	v_xor_b32_e32 v8, vcc_lo, v8
	v_cmp_gt_i32_e32 vcc_lo, 0, v19
	v_and_b32_e32 v7, v7, v38
	v_not_b32_e32 v19, v20
	v_ashrrev_i32_e32 v17, 31, v17
	v_xor_b32_e32 v16, s13, v16
	v_cmp_gt_i32_e64 s13, 0, v20
	v_and_b32_e32 v7, v7, v8
	v_not_b32_e32 v8, v21
	v_ashrrev_i32_e32 v19, 31, v19
	v_xor_b32_e32 v17, vcc_lo, v17
	v_cmp_gt_i32_e32 vcc_lo, 0, v21
	v_mov_b32_e32 v21, v1
	v_and_b32_e32 v7, v7, v16
	v_not_b32_e32 v16, v18
	v_ashrrev_i32_e32 v8, 31, v8
	v_xor_b32_e32 v19, s13, v19
	v_cmp_gt_i32_e64 s13, 0, v18
	v_and_b32_e32 v7, v7, v17
	v_ashrrev_i32_e32 v16, 31, v16
	v_xor_b32_e32 v8, vcc_lo, v8
	v_mov_b32_e32 v20, v0
	v_and_b32_e32 v0, 0xff, v6
	v_and_b32_e32 v7, v7, v19
	v_xor_b32_e32 v18, s13, v16
	v_dual_mov_b32 v17, v5 :: v_dual_mov_b32 v16, v4
	s_delay_alu instid0(VALU_DEP_4) | instskip(NEXT) | instid1(VALU_DEP_4)
	v_mad_u32_u24 v0, v0, 10, v29
	v_and_b32_e32 v7, v7, v8
	s_delay_alu instid0(VALU_DEP_2) | instskip(NEXT) | instid1(VALU_DEP_2)
	v_lshl_add_u32 v38, v0, 2, 40
	v_and_b32_e32 v4, v7, v18
	v_dual_mov_b32 v19, v3 :: v_dual_mov_b32 v18, v2
	s_delay_alu instid0(VALU_DEP_2) | instskip(SKIP_1) | instid1(VALU_DEP_2)
	v_mbcnt_lo_u32_b32 v8, v4, 0
	v_cmp_ne_u32_e64 s13, 0, v4
	v_cmp_eq_u32_e32 vcc_lo, 0, v8
	s_delay_alu instid0(VALU_DEP_2) | instskip(NEXT) | instid1(SALU_CYCLE_1)
	s_and_b32 s20, s13, vcc_lo
	s_and_saveexec_b32 s13, s20
	s_cbranch_execz .LBB324_6
; %bb.5:                                ;   in Loop: Header=BB324_4 Depth=2
	v_bcnt_u32_b32 v0, v4, 0
	ds_store_b32 v38, v0
.LBB324_6:                              ;   in Loop: Header=BB324_4 Depth=2
	s_or_b32 exec_lo, exec_lo, s13
	v_lshrrev_b64 v[0:1], s16, v[20:21]
	; wave barrier
	s_delay_alu instid0(VALU_DEP_1)
	v_and_b32_e32 v2, 1, v0
	v_lshlrev_b32_e32 v3, 30, v0
	v_lshlrev_b32_e32 v4, 29, v0
	;; [unrolled: 1-line block ×4, first 2 shown]
	v_add_co_u32 v2, s13, v2, -1
	s_delay_alu instid0(VALU_DEP_1)
	v_cndmask_b32_e64 v6, 0, 1, s13
	v_not_b32_e32 v41, v3
	v_cmp_gt_i32_e64 s13, 0, v3
	v_not_b32_e32 v3, v4
	v_lshlrev_b32_e32 v39, 26, v0
	v_cmp_ne_u32_e32 vcc_lo, 0, v6
	v_ashrrev_i32_e32 v6, 31, v41
	v_lshlrev_b32_e32 v40, 25, v0
	v_ashrrev_i32_e32 v3, 31, v3
	v_and_b32_e32 v1, 0xff, v0
	v_xor_b32_e32 v2, vcc_lo, v2
	v_cmp_gt_i32_e32 vcc_lo, 0, v4
	v_not_b32_e32 v4, v5
	v_xor_b32_e32 v6, s13, v6
	v_cmp_gt_i32_e64 s13, 0, v5
	v_and_b32_e32 v2, exec_lo, v2
	v_not_b32_e32 v5, v7
	v_ashrrev_i32_e32 v4, 31, v4
	v_xor_b32_e32 v3, vcc_lo, v3
	v_cmp_gt_i32_e32 vcc_lo, 0, v7
	v_and_b32_e32 v2, v2, v6
	v_not_b32_e32 v6, v39
	v_ashrrev_i32_e32 v5, 31, v5
	v_xor_b32_e32 v4, s13, v4
	v_lshlrev_b32_e32 v0, 24, v0
	v_and_b32_e32 v2, v2, v3
	v_cmp_gt_i32_e64 s13, 0, v39
	v_not_b32_e32 v3, v40
	v_ashrrev_i32_e32 v6, 31, v6
	v_xor_b32_e32 v5, vcc_lo, v5
	v_and_b32_e32 v2, v2, v4
	v_cmp_gt_i32_e32 vcc_lo, 0, v40
	v_not_b32_e32 v4, v0
	v_ashrrev_i32_e32 v3, 31, v3
	v_xor_b32_e32 v6, s13, v6
	v_and_b32_e32 v2, v2, v5
	v_mul_u32_u24_e32 v1, 10, v1
	v_cmp_gt_i32_e64 s13, 0, v0
	v_ashrrev_i32_e32 v0, 31, v4
	v_xor_b32_e32 v3, vcc_lo, v3
	v_and_b32_e32 v2, v2, v6
	v_add_lshl_u32 v1, v1, v29, 2
	s_delay_alu instid0(VALU_DEP_4) | instskip(NEXT) | instid1(VALU_DEP_3)
	v_xor_b32_e32 v0, s13, v0
	v_and_b32_e32 v2, v2, v3
	ds_load_b32 v39, v1 offset:40
	v_add_nc_u32_e32 v41, 40, v1
	; wave barrier
	v_and_b32_e32 v0, v2, v0
	s_delay_alu instid0(VALU_DEP_1) | instskip(SKIP_1) | instid1(VALU_DEP_2)
	v_mbcnt_lo_u32_b32 v40, v0, 0
	v_cmp_ne_u32_e64 s13, 0, v0
	v_cmp_eq_u32_e32 vcc_lo, 0, v40
	s_delay_alu instid0(VALU_DEP_2) | instskip(NEXT) | instid1(SALU_CYCLE_1)
	s_and_b32 s20, s13, vcc_lo
	s_and_saveexec_b32 s13, s20
	s_cbranch_execz .LBB324_8
; %bb.7:                                ;   in Loop: Header=BB324_4 Depth=2
	s_waitcnt lgkmcnt(0)
	v_bcnt_u32_b32 v0, v0, v39
	ds_store_b32 v41, v0
.LBB324_8:                              ;   in Loop: Header=BB324_4 Depth=2
	s_or_b32 exec_lo, exec_lo, s13
	v_lshrrev_b64 v[0:1], s16, v[18:19]
	; wave barrier
	s_delay_alu instid0(VALU_DEP_1)
	v_and_b32_e32 v2, 1, v0
	v_lshlrev_b32_e32 v3, 30, v0
	v_lshlrev_b32_e32 v4, 29, v0
	;; [unrolled: 1-line block ×4, first 2 shown]
	v_add_co_u32 v2, s13, v2, -1
	s_delay_alu instid0(VALU_DEP_1)
	v_cndmask_b32_e64 v6, 0, 1, s13
	v_not_b32_e32 v44, v3
	v_cmp_gt_i32_e64 s13, 0, v3
	v_not_b32_e32 v3, v4
	v_lshlrev_b32_e32 v42, 26, v0
	v_cmp_ne_u32_e32 vcc_lo, 0, v6
	v_ashrrev_i32_e32 v6, 31, v44
	v_lshlrev_b32_e32 v43, 25, v0
	v_ashrrev_i32_e32 v3, 31, v3
	v_and_b32_e32 v1, 0xff, v0
	v_xor_b32_e32 v2, vcc_lo, v2
	v_cmp_gt_i32_e32 vcc_lo, 0, v4
	v_not_b32_e32 v4, v5
	v_xor_b32_e32 v6, s13, v6
	v_cmp_gt_i32_e64 s13, 0, v5
	v_and_b32_e32 v2, exec_lo, v2
	v_not_b32_e32 v5, v7
	v_ashrrev_i32_e32 v4, 31, v4
	v_xor_b32_e32 v3, vcc_lo, v3
	v_cmp_gt_i32_e32 vcc_lo, 0, v7
	v_and_b32_e32 v2, v2, v6
	v_not_b32_e32 v6, v42
	v_ashrrev_i32_e32 v5, 31, v5
	v_xor_b32_e32 v4, s13, v4
	v_lshlrev_b32_e32 v0, 24, v0
	v_and_b32_e32 v2, v2, v3
	v_cmp_gt_i32_e64 s13, 0, v42
	v_not_b32_e32 v3, v43
	v_ashrrev_i32_e32 v6, 31, v6
	v_xor_b32_e32 v5, vcc_lo, v5
	v_and_b32_e32 v2, v2, v4
	v_cmp_gt_i32_e32 vcc_lo, 0, v43
	v_not_b32_e32 v4, v0
	v_ashrrev_i32_e32 v3, 31, v3
	v_xor_b32_e32 v6, s13, v6
	v_and_b32_e32 v2, v2, v5
	v_mul_u32_u24_e32 v1, 10, v1
	v_cmp_gt_i32_e64 s13, 0, v0
	v_ashrrev_i32_e32 v0, 31, v4
	v_xor_b32_e32 v3, vcc_lo, v3
	v_and_b32_e32 v2, v2, v6
	v_add_lshl_u32 v1, v1, v29, 2
	s_delay_alu instid0(VALU_DEP_4) | instskip(NEXT) | instid1(VALU_DEP_3)
	v_xor_b32_e32 v0, s13, v0
	v_and_b32_e32 v2, v2, v3
	ds_load_b32 v42, v1 offset:40
	v_add_nc_u32_e32 v44, 40, v1
	; wave barrier
	v_and_b32_e32 v0, v2, v0
	s_delay_alu instid0(VALU_DEP_1) | instskip(SKIP_1) | instid1(VALU_DEP_2)
	v_mbcnt_lo_u32_b32 v43, v0, 0
	v_cmp_ne_u32_e64 s13, 0, v0
	v_cmp_eq_u32_e32 vcc_lo, 0, v43
	s_delay_alu instid0(VALU_DEP_2) | instskip(NEXT) | instid1(SALU_CYCLE_1)
	s_and_b32 s20, s13, vcc_lo
	s_and_saveexec_b32 s13, s20
	s_cbranch_execz .LBB324_10
; %bb.9:                                ;   in Loop: Header=BB324_4 Depth=2
	s_waitcnt lgkmcnt(0)
	v_bcnt_u32_b32 v0, v0, v42
	ds_store_b32 v44, v0
.LBB324_10:                             ;   in Loop: Header=BB324_4 Depth=2
	s_or_b32 exec_lo, exec_lo, s13
	v_lshrrev_b64 v[0:1], s16, v[16:17]
	; wave barrier
	s_delay_alu instid0(VALU_DEP_1)
	v_and_b32_e32 v2, 1, v0
	v_lshlrev_b32_e32 v3, 30, v0
	v_lshlrev_b32_e32 v4, 29, v0
	;; [unrolled: 1-line block ×4, first 2 shown]
	v_add_co_u32 v2, s13, v2, -1
	s_delay_alu instid0(VALU_DEP_1)
	v_cndmask_b32_e64 v6, 0, 1, s13
	v_not_b32_e32 v47, v3
	v_cmp_gt_i32_e64 s13, 0, v3
	v_not_b32_e32 v3, v4
	v_lshlrev_b32_e32 v45, 26, v0
	v_cmp_ne_u32_e32 vcc_lo, 0, v6
	v_ashrrev_i32_e32 v6, 31, v47
	v_lshlrev_b32_e32 v46, 25, v0
	v_ashrrev_i32_e32 v3, 31, v3
	v_and_b32_e32 v1, 0xff, v0
	v_xor_b32_e32 v2, vcc_lo, v2
	v_cmp_gt_i32_e32 vcc_lo, 0, v4
	v_not_b32_e32 v4, v5
	v_xor_b32_e32 v6, s13, v6
	v_cmp_gt_i32_e64 s13, 0, v5
	v_and_b32_e32 v2, exec_lo, v2
	v_not_b32_e32 v5, v7
	v_ashrrev_i32_e32 v4, 31, v4
	v_xor_b32_e32 v3, vcc_lo, v3
	v_cmp_gt_i32_e32 vcc_lo, 0, v7
	v_and_b32_e32 v2, v2, v6
	v_not_b32_e32 v6, v45
	v_ashrrev_i32_e32 v5, 31, v5
	v_xor_b32_e32 v4, s13, v4
	v_lshlrev_b32_e32 v0, 24, v0
	v_and_b32_e32 v2, v2, v3
	v_cmp_gt_i32_e64 s13, 0, v45
	v_not_b32_e32 v3, v46
	v_ashrrev_i32_e32 v6, 31, v6
	v_xor_b32_e32 v5, vcc_lo, v5
	v_and_b32_e32 v2, v2, v4
	v_cmp_gt_i32_e32 vcc_lo, 0, v46
	v_not_b32_e32 v4, v0
	v_ashrrev_i32_e32 v3, 31, v3
	v_xor_b32_e32 v6, s13, v6
	v_and_b32_e32 v2, v2, v5
	v_mul_u32_u24_e32 v1, 10, v1
	v_cmp_gt_i32_e64 s13, 0, v0
	v_ashrrev_i32_e32 v0, 31, v4
	v_xor_b32_e32 v3, vcc_lo, v3
	v_and_b32_e32 v2, v2, v6
	v_add_lshl_u32 v1, v1, v29, 2
	s_delay_alu instid0(VALU_DEP_4) | instskip(NEXT) | instid1(VALU_DEP_3)
	v_xor_b32_e32 v0, s13, v0
	v_and_b32_e32 v2, v2, v3
	ds_load_b32 v45, v1 offset:40
	v_add_nc_u32_e32 v47, 40, v1
	; wave barrier
	v_and_b32_e32 v0, v2, v0
	s_delay_alu instid0(VALU_DEP_1) | instskip(SKIP_1) | instid1(VALU_DEP_2)
	v_mbcnt_lo_u32_b32 v46, v0, 0
	v_cmp_ne_u32_e64 s13, 0, v0
	v_cmp_eq_u32_e32 vcc_lo, 0, v46
	s_delay_alu instid0(VALU_DEP_2) | instskip(NEXT) | instid1(SALU_CYCLE_1)
	s_and_b32 s20, s13, vcc_lo
	s_and_saveexec_b32 s13, s20
	s_cbranch_execz .LBB324_12
; %bb.11:                               ;   in Loop: Header=BB324_4 Depth=2
	s_waitcnt lgkmcnt(0)
	v_bcnt_u32_b32 v0, v0, v45
	ds_store_b32 v47, v0
.LBB324_12:                             ;   in Loop: Header=BB324_4 Depth=2
	s_or_b32 exec_lo, exec_lo, s13
	; wave barrier
	s_waitcnt lgkmcnt(0)
	s_barrier
	buffer_gl0_inv
	ds_load_2addr_b64 v[4:7], v22 offset0:5 offset1:6
	ds_load_2addr_b64 v[0:3], v28 offset0:2 offset1:3
	s_waitcnt lgkmcnt(1)
	v_add_nc_u32_e32 v48, v5, v4
	s_delay_alu instid0(VALU_DEP_1) | instskip(SKIP_1) | instid1(VALU_DEP_1)
	v_add3_u32 v48, v48, v6, v7
	s_waitcnt lgkmcnt(0)
	v_add3_u32 v48, v48, v0, v1
	s_delay_alu instid0(VALU_DEP_1) | instskip(NEXT) | instid1(VALU_DEP_1)
	v_add3_u32 v3, v48, v2, v3
	v_mov_b32_dpp v48, v3 row_shr:1 row_mask:0xf bank_mask:0xf
	s_delay_alu instid0(VALU_DEP_1) | instskip(NEXT) | instid1(VALU_DEP_1)
	v_cndmask_b32_e64 v48, v48, 0, s3
	v_add_nc_u32_e32 v3, v48, v3
	s_delay_alu instid0(VALU_DEP_1) | instskip(NEXT) | instid1(VALU_DEP_1)
	v_mov_b32_dpp v48, v3 row_shr:2 row_mask:0xf bank_mask:0xf
	v_cndmask_b32_e64 v48, 0, v48, s4
	s_delay_alu instid0(VALU_DEP_1) | instskip(NEXT) | instid1(VALU_DEP_1)
	v_add_nc_u32_e32 v3, v3, v48
	v_mov_b32_dpp v48, v3 row_shr:4 row_mask:0xf bank_mask:0xf
	s_delay_alu instid0(VALU_DEP_1) | instskip(NEXT) | instid1(VALU_DEP_1)
	v_cndmask_b32_e64 v48, 0, v48, s5
	v_add_nc_u32_e32 v3, v3, v48
	s_delay_alu instid0(VALU_DEP_1) | instskip(NEXT) | instid1(VALU_DEP_1)
	v_mov_b32_dpp v48, v3 row_shr:8 row_mask:0xf bank_mask:0xf
	v_cndmask_b32_e64 v48, 0, v48, s6
	s_delay_alu instid0(VALU_DEP_1) | instskip(SKIP_3) | instid1(VALU_DEP_1)
	v_add_nc_u32_e32 v3, v3, v48
	ds_swizzle_b32 v48, v3 offset:swizzle(BROADCAST,32,15)
	s_waitcnt lgkmcnt(0)
	v_cndmask_b32_e64 v48, v48, 0, s7
	v_add_nc_u32_e32 v3, v3, v48
	s_and_saveexec_b32 s13, s8
	s_cbranch_execz .LBB324_14
; %bb.13:                               ;   in Loop: Header=BB324_4 Depth=2
	ds_store_b32 v31, v3
.LBB324_14:                             ;   in Loop: Header=BB324_4 Depth=2
	s_or_b32 exec_lo, exec_lo, s13
	s_waitcnt lgkmcnt(0)
	s_barrier
	buffer_gl0_inv
	s_and_saveexec_b32 s13, s9
	s_cbranch_execz .LBB324_16
; %bb.15:                               ;   in Loop: Header=BB324_4 Depth=2
	ds_load_b32 v48, v32
	s_waitcnt lgkmcnt(0)
	v_mov_b32_dpp v49, v48 row_shr:1 row_mask:0xf bank_mask:0xf
	s_delay_alu instid0(VALU_DEP_1) | instskip(NEXT) | instid1(VALU_DEP_1)
	v_cndmask_b32_e64 v49, v49, 0, s3
	v_add_nc_u32_e32 v48, v49, v48
	s_delay_alu instid0(VALU_DEP_1) | instskip(NEXT) | instid1(VALU_DEP_1)
	v_mov_b32_dpp v49, v48 row_shr:2 row_mask:0xf bank_mask:0xf
	v_cndmask_b32_e64 v49, 0, v49, s4
	s_delay_alu instid0(VALU_DEP_1) | instskip(NEXT) | instid1(VALU_DEP_1)
	v_add_nc_u32_e32 v48, v48, v49
	v_mov_b32_dpp v49, v48 row_shr:4 row_mask:0xf bank_mask:0xf
	s_delay_alu instid0(VALU_DEP_1) | instskip(NEXT) | instid1(VALU_DEP_1)
	v_cndmask_b32_e64 v49, 0, v49, s5
	v_add_nc_u32_e32 v48, v48, v49
	s_delay_alu instid0(VALU_DEP_1) | instskip(NEXT) | instid1(VALU_DEP_1)
	v_mov_b32_dpp v49, v48 row_shr:8 row_mask:0xf bank_mask:0xf
	v_cndmask_b32_e64 v49, 0, v49, s6
	s_delay_alu instid0(VALU_DEP_1)
	v_add_nc_u32_e32 v48, v48, v49
	ds_store_b32 v32, v48
.LBB324_16:                             ;   in Loop: Header=BB324_4 Depth=2
	s_or_b32 exec_lo, exec_lo, s13
	v_mov_b32_e32 v48, 0
	s_waitcnt lgkmcnt(0)
	s_barrier
	buffer_gl0_inv
	s_and_saveexec_b32 s13, s10
	s_cbranch_execz .LBB324_18
; %bb.17:                               ;   in Loop: Header=BB324_4 Depth=2
	ds_load_b32 v48, v33
.LBB324_18:                             ;   in Loop: Header=BB324_4 Depth=2
	s_or_b32 exec_lo, exec_lo, s13
	s_waitcnt lgkmcnt(0)
	v_add_nc_u32_e32 v3, v48, v3
	s_cmp_gt_u32 s16, 55
	ds_bpermute_b32 v3, v30, v3
	s_waitcnt lgkmcnt(0)
	v_cndmask_b32_e64 v3, v3, v48, s11
	s_delay_alu instid0(VALU_DEP_1) | instskip(NEXT) | instid1(VALU_DEP_1)
	v_cndmask_b32_e64 v3, v3, 0, s12
	v_add_nc_u32_e32 v4, v3, v4
	s_delay_alu instid0(VALU_DEP_1) | instskip(NEXT) | instid1(VALU_DEP_1)
	v_add_nc_u32_e32 v5, v4, v5
	v_add_nc_u32_e32 v6, v5, v6
	s_delay_alu instid0(VALU_DEP_1) | instskip(NEXT) | instid1(VALU_DEP_1)
	v_add_nc_u32_e32 v48, v6, v7
	;; [unrolled: 3-line block ×3, first 2 shown]
	v_add_nc_u32_e32 v1, v0, v2
	ds_store_2addr_b64 v22, v[3:4], v[5:6] offset0:5 offset1:6
	ds_store_2addr_b64 v28, v[48:49], v[0:1] offset0:2 offset1:3
	s_waitcnt lgkmcnt(0)
	s_barrier
	buffer_gl0_inv
	ds_load_b32 v0, v38
	ds_load_b32 v1, v41
	;; [unrolled: 1-line block ×4, first 2 shown]
	s_waitcnt lgkmcnt(3)
	v_add_nc_u32_e32 v41, v0, v8
	s_waitcnt lgkmcnt(2)
	v_add3_u32 v39, v40, v39, v1
	s_waitcnt lgkmcnt(1)
	v_add3_u32 v38, v43, v42, v2
	;; [unrolled: 2-line block ×3, first 2 shown]
	s_cbranch_scc0 .LBB324_3
; %bb.19:                               ;   in Loop: Header=BB324_2 Depth=1
                                        ; implicit-def: $vgpr4_vgpr5
                                        ; implicit-def: $vgpr2_vgpr3
                                        ; implicit-def: $vgpr0_vgpr1
                                        ; implicit-def: $vgpr6_vgpr7
                                        ; implicit-def: $sgpr16_sgpr17
	s_branch .LBB324_1
.LBB324_20:
	v_lshlrev_b32_e32 v0, 3, v9
	s_add_u32 s0, s18, s14
	s_addc_u32 s1, s19, s15
	s_delay_alu instid0(VALU_DEP_1) | instskip(NEXT) | instid1(VALU_DEP_1)
	v_add_co_u32 v9, s2, s0, v0
	v_add_co_ci_u32_e64 v10, null, s1, 0, s2
	s_delay_alu instid0(VALU_DEP_2) | instskip(NEXT) | instid1(VALU_DEP_2)
	v_add_co_u32 v9, vcc_lo, 0x1000, v9
	v_add_co_ci_u32_e32 v10, vcc_lo, 0, v10, vcc_lo
	s_clause 0x3
	global_store_b64 v0, v[5:6], s[0:1]
	global_store_b64 v0, v[7:8], s[0:1] offset:2560
	global_store_b64 v[9:10], v[1:2], off offset:1024
	global_store_b64 v[9:10], v[3:4], off offset:3584
	s_nop 0
	s_sendmsg sendmsg(MSG_DEALLOC_VGPRS)
	s_endpgm
	.section	.rodata,"a",@progbits
	.p2align	6, 0x0
	.amdhsa_kernel _Z16sort_keys_kernelI22helper_blocked_stripedxLj320ELj4ELj10EEvPKT0_PS1_
		.amdhsa_group_segment_fixed_size 10560
		.amdhsa_private_segment_fixed_size 0
		.amdhsa_kernarg_size 272
		.amdhsa_user_sgpr_count 15
		.amdhsa_user_sgpr_dispatch_ptr 0
		.amdhsa_user_sgpr_queue_ptr 0
		.amdhsa_user_sgpr_kernarg_segment_ptr 1
		.amdhsa_user_sgpr_dispatch_id 0
		.amdhsa_user_sgpr_private_segment_size 0
		.amdhsa_wavefront_size32 1
		.amdhsa_uses_dynamic_stack 0
		.amdhsa_enable_private_segment 0
		.amdhsa_system_sgpr_workgroup_id_x 1
		.amdhsa_system_sgpr_workgroup_id_y 0
		.amdhsa_system_sgpr_workgroup_id_z 0
		.amdhsa_system_sgpr_workgroup_info 0
		.amdhsa_system_vgpr_workitem_id 2
		.amdhsa_next_free_vgpr 50
		.amdhsa_next_free_sgpr 22
		.amdhsa_reserve_vcc 1
		.amdhsa_float_round_mode_32 0
		.amdhsa_float_round_mode_16_64 0
		.amdhsa_float_denorm_mode_32 3
		.amdhsa_float_denorm_mode_16_64 3
		.amdhsa_dx10_clamp 1
		.amdhsa_ieee_mode 1
		.amdhsa_fp16_overflow 0
		.amdhsa_workgroup_processor_mode 1
		.amdhsa_memory_ordered 1
		.amdhsa_forward_progress 0
		.amdhsa_shared_vgpr_count 0
		.amdhsa_exception_fp_ieee_invalid_op 0
		.amdhsa_exception_fp_denorm_src 0
		.amdhsa_exception_fp_ieee_div_zero 0
		.amdhsa_exception_fp_ieee_overflow 0
		.amdhsa_exception_fp_ieee_underflow 0
		.amdhsa_exception_fp_ieee_inexact 0
		.amdhsa_exception_int_div_zero 0
	.end_amdhsa_kernel
	.section	.text._Z16sort_keys_kernelI22helper_blocked_stripedxLj320ELj4ELj10EEvPKT0_PS1_,"axG",@progbits,_Z16sort_keys_kernelI22helper_blocked_stripedxLj320ELj4ELj10EEvPKT0_PS1_,comdat
.Lfunc_end324:
	.size	_Z16sort_keys_kernelI22helper_blocked_stripedxLj320ELj4ELj10EEvPKT0_PS1_, .Lfunc_end324-_Z16sort_keys_kernelI22helper_blocked_stripedxLj320ELj4ELj10EEvPKT0_PS1_
                                        ; -- End function
	.section	.AMDGPU.csdata,"",@progbits
; Kernel info:
; codeLenInByte = 3492
; NumSgprs: 24
; NumVgprs: 50
; ScratchSize: 0
; MemoryBound: 0
; FloatMode: 240
; IeeeMode: 1
; LDSByteSize: 10560 bytes/workgroup (compile time only)
; SGPRBlocks: 2
; VGPRBlocks: 6
; NumSGPRsForWavesPerEU: 24
; NumVGPRsForWavesPerEU: 50
; Occupancy: 15
; WaveLimiterHint : 1
; COMPUTE_PGM_RSRC2:SCRATCH_EN: 0
; COMPUTE_PGM_RSRC2:USER_SGPR: 15
; COMPUTE_PGM_RSRC2:TRAP_HANDLER: 0
; COMPUTE_PGM_RSRC2:TGID_X_EN: 1
; COMPUTE_PGM_RSRC2:TGID_Y_EN: 0
; COMPUTE_PGM_RSRC2:TGID_Z_EN: 0
; COMPUTE_PGM_RSRC2:TIDIG_COMP_CNT: 2
	.section	.text._Z17sort_pairs_kernelI22helper_blocked_stripedxLj320ELj4ELj10EEvPKT0_PS1_,"axG",@progbits,_Z17sort_pairs_kernelI22helper_blocked_stripedxLj320ELj4ELj10EEvPKT0_PS1_,comdat
	.protected	_Z17sort_pairs_kernelI22helper_blocked_stripedxLj320ELj4ELj10EEvPKT0_PS1_ ; -- Begin function _Z17sort_pairs_kernelI22helper_blocked_stripedxLj320ELj4ELj10EEvPKT0_PS1_
	.globl	_Z17sort_pairs_kernelI22helper_blocked_stripedxLj320ELj4ELj10EEvPKT0_PS1_
	.p2align	8
	.type	_Z17sort_pairs_kernelI22helper_blocked_stripedxLj320ELj4ELj10EEvPKT0_PS1_,@function
_Z17sort_pairs_kernelI22helper_blocked_stripedxLj320ELj4ELj10EEvPKT0_PS1_: ; @_Z17sort_pairs_kernelI22helper_blocked_stripedxLj320ELj4ELj10EEvPKT0_PS1_
; %bb.0:
	s_clause 0x1
	s_load_b128 s[16:19], s[0:1], 0x0
	s_load_b32 s12, s[0:1], 0x1c
	v_and_b32_e32 v17, 0x3ff, v0
	s_mov_b32 s21, 0
	s_mul_i32 s20, s15, 0x500
	v_mbcnt_lo_u32_b32 v9, -1, 0
	s_lshl_b64 s[14:15], s[20:21], 3
	v_lshlrev_b32_e32 v34, 5, v17
	v_lshlrev_b32_e32 v36, 2, v17
	v_bfe_u32 v11, v0, 10, 10
	v_and_b32_e32 v12, 15, v9
	v_and_b32_e32 v10, 3, v9
	v_add_nc_u32_e32 v14, -1, v9
	v_and_b32_e32 v13, 16, v9
	v_bfe_u32 v0, v0, 20, 10
	v_cmp_eq_u32_e64 s4, 0, v12
	v_cmp_lt_u32_e64 s5, 1, v12
	v_cmp_lt_u32_e64 s6, 3, v12
	;; [unrolled: 1-line block ×3, first 2 shown]
	v_lshrrev_b32_e32 v12, 3, v17
	s_waitcnt lgkmcnt(0)
	s_add_u32 s0, s16, s14
	s_addc_u32 s1, s17, s15
	v_cmp_eq_u32_e64 s2, 2, v10
	s_clause 0x1
	global_load_b128 v[5:8], v34, s[0:1]
	global_load_b128 v[1:4], v34, s[0:1] offset:16
	v_cmp_eq_u32_e64 s1, 3, v10
	v_cmp_eq_u32_e64 s3, 1, v10
	v_and_b32_e32 v10, 0x1e0, v17
	v_cmp_gt_i32_e32 vcc_lo, 0, v14
	v_and_b32_e32 v41, 60, v12
	v_and_b32_e32 v12, 0x780, v36
	s_lshr_b32 s13, s12, 16
	v_cmp_eq_u32_e64 s8, 0, v13
	v_dual_cndmask_b32 v13, v14, v9 :: v_dual_add_nc_u32 v40, 40, v34
	v_min_u32_e32 v10, 0x120, v10
	v_and_b32_e32 v35, 28, v9
	v_cmp_eq_u32_e64 s0, 0, v9
	v_or_b32_e32 v14, v9, v12
	v_or_b32_e32 v9, 32, v12
	v_mad_u32_u24 v0, v0, s13, v11
	v_or_b32_e32 v16, 64, v12
	v_or_b32_e32 v11, 0x60, v12
	s_and_b32 s12, s12, 0xffff
	v_lshlrev_b32_e32 v42, 2, v13
	v_or_b32_e32 v13, 31, v10
	v_lshrrev_b32_e32 v15, 5, v12
	v_lshrrev_b32_e32 v12, 5, v9
	v_mad_u64_u32 v[9:10], null, v0, s12, v[17:18]
	v_lshrrev_b32_e32 v0, 5, v16
	v_lshrrev_b32_e32 v10, 5, v11
	v_cmp_eq_u32_e64 s12, v13, v17
	v_add_lshl_u32 v45, v15, v14, 3
	v_add_lshl_u32 v46, v12, v14, 3
	;; [unrolled: 1-line block ×4, first 2 shown]
	v_lshrrev_b32_e32 v49, 5, v9
	v_or_b32_e32 v37, 32, v35
	v_or_b32_e32 v38, 64, v35
	v_or_b32_e32 v39, 0x60, v35
	v_cmp_gt_u32_e64 s9, 10, v17
	v_cmp_lt_u32_e64 s10, 31, v17
	v_cmp_eq_u32_e64 s11, 0, v17
	v_mad_i32_i24 v43, 0xffffffe4, v17, v34
	v_add_nc_u32_e32 v44, -4, v41
	s_mov_b32 s20, s21
	s_mov_b32 s16, s21
	;; [unrolled: 1-line block ×4, first 2 shown]
	s_waitcnt vmcnt(1)
	v_add_co_u32 v13, vcc_lo, v5, 1
	v_add_co_ci_u32_e32 v14, vcc_lo, 0, v6, vcc_lo
	v_add_co_u32 v15, vcc_lo, v7, 1
	v_add_co_ci_u32_e32 v16, vcc_lo, 0, v8, vcc_lo
	s_waitcnt vmcnt(0)
	v_add_co_u32 v9, vcc_lo, v1, 1
	v_add_co_ci_u32_e32 v10, vcc_lo, 0, v2, vcc_lo
	v_add_co_u32 v11, vcc_lo, v3, 1
	v_add_co_ci_u32_e32 v12, vcc_lo, 0, v4, vcc_lo
	s_branch .LBB325_2
.LBB325_1:                              ;   in Loop: Header=BB325_2 Depth=1
	v_lshlrev_b32_e32 v0, 3, v53
	v_lshlrev_b32_e32 v26, 3, v52
	;; [unrolled: 1-line block ×3, first 2 shown]
	s_barrier
	buffer_gl0_inv
	v_lshlrev_b32_e32 v16, 3, v16
	ds_store_b64 v0, v[8:9]
	ds_store_b64 v26, v[24:25]
	ds_store_b64 v27, v[22:23]
	v_add_nc_u32_e32 v9, v43, v36
	s_add_i32 s24, s24, 1
	ds_store_b64 v16, v[20:21]
	s_waitcnt lgkmcnt(0)
	s_barrier
	buffer_gl0_inv
	ds_load_2addr_stride64_b64 v[5:8], v9 offset1:5
	ds_load_2addr_stride64_b64 v[1:4], v9 offset0:10 offset1:15
	s_waitcnt lgkmcnt(0)
	s_barrier
	buffer_gl0_inv
	ds_store_b64 v0, v[14:15]
	ds_store_b64 v26, v[12:13]
	;; [unrolled: 1-line block ×4, first 2 shown]
	s_waitcnt lgkmcnt(0)
	s_barrier
	buffer_gl0_inv
	ds_load_2addr_stride64_b64 v[13:16], v9 offset1:5
	ds_load_2addr_stride64_b64 v[9:12], v9 offset0:10 offset1:15
	s_cmp_lg_u32 s24, 10
	v_xor_b32_e32 v6, 0x80000000, v6
	v_xor_b32_e32 v8, 0x80000000, v8
	;; [unrolled: 1-line block ×4, first 2 shown]
	s_cbranch_scc0 .LBB325_20
.LBB325_2:                              ; =>This Loop Header: Depth=1
                                        ;     Child Loop BB325_4 Depth 2
	v_xor_b32_e32 v0, 0x80000000, v6
	v_xor_b32_e32 v6, 0x80000000, v8
	ds_bpermute_b32 v8, v35, v5
	v_xor_b32_e32 v2, 0x80000000, v2
	ds_bpermute_b32 v18, v35, v7
	ds_bpermute_b32 v19, v35, v0
	;; [unrolled: 1-line block ×7, first 2 shown]
	v_xor_b32_e32 v4, 0x80000000, v4
	ds_bpermute_b32 v25, v37, v5
	ds_bpermute_b32 v26, v37, v7
	;; [unrolled: 1-line block ×12, first 2 shown]
	s_waitcnt lgkmcnt(18)
	v_cndmask_b32_e64 v8, v8, v18, s3
	ds_bpermute_b32 v50, v38, v1
	s_waitcnt lgkmcnt(17)
	v_cndmask_b32_e64 v19, v19, v20, s3
	ds_bpermute_b32 v20, v38, v0
	ds_bpermute_b32 v18, v37, v4
	s_waitcnt lgkmcnt(18)
	v_cndmask_b32_e64 v8, v8, v21, s2
	s_waitcnt lgkmcnt(15)
	v_cndmask_b32_e64 v21, v23, v24, s3
	v_cndmask_b32_e64 v19, v19, v22, s2
	ds_bpermute_b32 v22, v38, v2
	s_waitcnt lgkmcnt(14)
	v_cndmask_b32_e64 v23, v25, v26, s3
	s_waitcnt lgkmcnt(13)
	v_cndmask_b32_e64 v26, v8, v27, s1
	;; [unrolled: 2-line block ×4, first 2 shown]
	ds_bpermute_b32 v24, v39, v1
	ds_bpermute_b32 v25, v35, v13
	;; [unrolled: 1-line block ×9, first 2 shown]
	s_waitcnt lgkmcnt(17)
	v_cndmask_b32_e64 v0, v32, v33, s3
	ds_bpermute_b32 v32, v39, v3
	ds_bpermute_b32 v33, v35, v9
	;; [unrolled: 1-line block ×3, first 2 shown]
	v_cndmask_b32_e64 v1, v23, v30, s2
	s_waitcnt lgkmcnt(14)
	v_cndmask_b32_e64 v2, v20, v52, s3
	ds_bpermute_b32 v20, v37, v13
	ds_bpermute_b32 v23, v37, v15
	;; [unrolled: 1-line block ×3, first 2 shown]
	v_cndmask_b32_e64 v5, v5, v7, s3
	v_cndmask_b32_e64 v3, v0, v50, s2
	;; [unrolled: 1-line block ×3, first 2 shown]
	s_waitcnt lgkmcnt(15)
	v_cndmask_b32_e64 v22, v2, v22, s2
	v_cndmask_b32_e64 v1, v8, v18, s1
	s_waitcnt lgkmcnt(14)
	v_cndmask_b32_e64 v5, v5, v24, s2
	s_waitcnt lgkmcnt(11)
	;; [unrolled: 2-line block ×5, first 2 shown]
	v_cndmask_b32_e64 v3, v22, v19, s1
	ds_bpermute_b32 v18, v39, v4
	ds_bpermute_b32 v22, v37, v16
	s_waitcnt lgkmcnt(7)
	v_cndmask_b32_e64 v4, v5, v32, s1
	s_waitcnt lgkmcnt(6)
	v_cndmask_b32_e64 v19, v7, v33, s2
	;; [unrolled: 2-line block ×3, first 2 shown]
	ds_bpermute_b32 v8, v35, v11
	ds_bpermute_b32 v5, v37, v14
	;; [unrolled: 1-line block ×3, first 2 shown]
	s_waitcnt lgkmcnt(6)
	v_cndmask_b32_e64 v20, v20, v23, s3
	ds_bpermute_b32 v23, v37, v9
	ds_bpermute_b32 v28, v38, v14
	;; [unrolled: 1-line block ×13, first 2 shown]
	s_waitcnt lgkmcnt(18)
	v_cndmask_b32_e64 v6, v21, v6, s3
	ds_bpermute_b32 v21, v35, v12
	ds_bpermute_b32 v31, v37, v12
	;; [unrolled: 1-line block ×7, first 2 shown]
	v_cndmask_b32_e64 v6, v6, v54, s2
	s_waitcnt lgkmcnt(21)
	v_cndmask_b32_e64 v22, v5, v22, s3
	s_mov_b64 s[22:23], 0
	s_waitcnt lgkmcnt(0)
	s_barrier
	v_cndmask_b32_e64 v5, v6, v18, s1
	v_cndmask_b32_e64 v6, v19, v8, s1
	;; [unrolled: 1-line block ×19, first 2 shown]
	s_branch .LBB325_4
.LBB325_3:                              ;   in Loop: Header=BB325_4 Depth=2
	v_lshrrev_b32_e32 v0, 2, v53
	v_lshrrev_b32_e32 v1, 2, v52
	;; [unrolled: 1-line block ×4, first 2 shown]
	s_delay_alu instid0(VALU_DEP_4) | instskip(NEXT) | instid1(VALU_DEP_4)
	v_and_b32_e32 v0, 0x3ffffff8, v0
	v_and_b32_e32 v1, 0x3ffffff8, v1
	s_delay_alu instid0(VALU_DEP_4) | instskip(NEXT) | instid1(VALU_DEP_4)
	v_and_b32_e32 v2, 0x3ffffff8, v2
	v_and_b32_e32 v3, 0x3ffffff8, v3
	s_barrier
	v_lshl_add_u32 v6, v53, 3, v0
	v_lshl_add_u32 v7, v52, 3, v1
	;; [unrolled: 1-line block ×4, first 2 shown]
	buffer_gl0_inv
	ds_store_b64 v6, v[8:9]
	ds_store_b64 v7, v[24:25]
	;; [unrolled: 1-line block ×4, first 2 shown]
	s_waitcnt lgkmcnt(0)
	s_barrier
	buffer_gl0_inv
	ds_load_b64 v[26:27], v45
	ds_load_b64 v[0:1], v46 offset:256
	ds_load_b64 v[2:3], v47 offset:512
	;; [unrolled: 1-line block ×3, first 2 shown]
	s_waitcnt lgkmcnt(0)
	s_barrier
	buffer_gl0_inv
	ds_store_b64 v6, v[14:15]
	ds_store_b64 v7, v[12:13]
	;; [unrolled: 1-line block ×4, first 2 shown]
	s_waitcnt lgkmcnt(0)
	s_barrier
	buffer_gl0_inv
	ds_load_b64 v[6:7], v45
	ds_load_b64 v[28:29], v46 offset:256
	ds_load_b64 v[32:33], v47 offset:512
	;; [unrolled: 1-line block ×3, first 2 shown]
	s_add_u32 s22, s22, 8
	s_addc_u32 s23, s23, 0
	s_waitcnt lgkmcnt(0)
	s_barrier
	s_cbranch_execz .LBB325_1
.LBB325_4:                              ;   Parent Loop BB325_2 Depth=1
                                        ; =>  This Inner Loop Header: Depth=2
	v_dual_mov_b32 v8, v26 :: v_dual_mov_b32 v9, v27
	buffer_gl0_inv
	v_mov_b32_e32 v21, v5
	v_mov_b32_e32 v23, v3
	;; [unrolled: 1-line block ×3, first 2 shown]
	v_lshrrev_b64 v[26:27], s22, v[8:9]
	v_mov_b32_e32 v20, v4
	v_mov_b32_e32 v22, v2
	v_dual_mov_b32 v24, v0 :: v_dual_mov_b32 v1, s20
	v_mov_b32_e32 v2, s21
	v_and_b32_e32 v10, 1, v26
	v_lshlrev_b32_e32 v11, 30, v26
	v_lshlrev_b32_e32 v12, 29, v26
	;; [unrolled: 1-line block ×4, first 2 shown]
	v_add_co_u32 v10, s13, v10, -1
	s_delay_alu instid0(VALU_DEP_1)
	v_cndmask_b32_e64 v14, 0, 1, s13
	v_not_b32_e32 v19, v11
	v_cmp_gt_i32_e64 s13, 0, v11
	v_not_b32_e32 v11, v12
	v_lshlrev_b32_e32 v16, 26, v26
	v_cmp_ne_u32_e32 vcc_lo, 0, v14
	v_ashrrev_i32_e32 v19, 31, v19
	v_lshlrev_b32_e32 v18, 25, v26
	v_ashrrev_i32_e32 v11, 31, v11
	v_lshlrev_b32_e32 v14, 24, v26
	v_xor_b32_e32 v10, vcc_lo, v10
	v_cmp_gt_i32_e32 vcc_lo, 0, v12
	v_not_b32_e32 v12, v13
	v_xor_b32_e32 v19, s13, v19
	v_cmp_gt_i32_e64 s13, 0, v13
	v_and_b32_e32 v10, exec_lo, v10
	v_not_b32_e32 v13, v15
	v_ashrrev_i32_e32 v12, 31, v12
	v_xor_b32_e32 v11, vcc_lo, v11
	v_cmp_gt_i32_e32 vcc_lo, 0, v15
	v_and_b32_e32 v10, v10, v19
	v_not_b32_e32 v15, v16
	v_ashrrev_i32_e32 v13, 31, v13
	v_xor_b32_e32 v12, s13, v12
	v_cmp_gt_i32_e64 s13, 0, v16
	v_and_b32_e32 v10, v10, v11
	v_ashrrev_i32_e32 v15, 31, v15
	v_xor_b32_e32 v13, vcc_lo, v13
	v_and_b32_e32 v5, 0xff, v26
	s_delay_alu instid0(VALU_DEP_4) | instskip(NEXT) | instid1(VALU_DEP_4)
	v_and_b32_e32 v10, v10, v12
	v_xor_b32_e32 v15, s13, v15
	v_not_b32_e32 v12, v14
	v_cmp_gt_i32_e64 s13, 0, v14
	s_delay_alu instid0(VALU_DEP_4) | instskip(NEXT) | instid1(VALU_DEP_3)
	v_and_b32_e32 v10, v10, v13
	v_ashrrev_i32_e32 v12, 31, v12
	s_delay_alu instid0(VALU_DEP_2) | instskip(SKIP_2) | instid1(VALU_DEP_4)
	v_dual_mov_b32 v15, v7 :: v_dual_and_b32 v10, v10, v15
	v_not_b32_e32 v11, v18
	v_cmp_gt_i32_e32 vcc_lo, 0, v18
	v_xor_b32_e32 v0, s13, v12
	v_mov_b32_e32 v14, v6
	v_mov_b32_e32 v18, v30
	v_ashrrev_i32_e32 v11, 31, v11
	v_dual_mov_b32 v19, v31 :: v_dual_mov_b32 v12, v28
	v_mov_b32_e32 v13, v29
	s_delay_alu instid0(VALU_DEP_3) | instskip(NEXT) | instid1(VALU_DEP_1)
	v_xor_b32_e32 v11, vcc_lo, v11
	v_dual_mov_b32 v10, v32 :: v_dual_and_b32 v3, v10, v11
	s_delay_alu instid0(VALU_DEP_1)
	v_dual_mov_b32 v11, v33 :: v_dual_and_b32 v0, v3, v0
	v_dual_mov_b32 v3, s16 :: v_dual_mov_b32 v4, s17
	ds_store_2addr_b64 v34, v[1:2], v[3:4] offset0:5 offset1:6
	ds_store_2addr_b64 v40, v[1:2], v[3:4] offset0:2 offset1:3
	v_mbcnt_lo_u32_b32 v16, v0, 0
	v_mad_u32_u24 v1, v5, 10, v49
	v_cmp_ne_u32_e64 s13, 0, v0
	s_waitcnt lgkmcnt(0)
	s_barrier
	v_cmp_eq_u32_e32 vcc_lo, 0, v16
	v_lshl_add_u32 v26, v1, 2, 40
	buffer_gl0_inv
	; wave barrier
	s_and_b32 s25, s13, vcc_lo
	s_delay_alu instid0(SALU_CYCLE_1)
	s_and_saveexec_b32 s13, s25
	s_cbranch_execz .LBB325_6
; %bb.5:                                ;   in Loop: Header=BB325_4 Depth=2
	v_bcnt_u32_b32 v0, v0, 0
	ds_store_b32 v26, v0
.LBB325_6:                              ;   in Loop: Header=BB325_4 Depth=2
	s_or_b32 exec_lo, exec_lo, s13
	v_lshrrev_b64 v[0:1], s22, v[24:25]
	; wave barrier
	s_delay_alu instid0(VALU_DEP_1)
	v_and_b32_e32 v2, 1, v0
	v_lshlrev_b32_e32 v3, 30, v0
	v_lshlrev_b32_e32 v4, 29, v0
	;; [unrolled: 1-line block ×4, first 2 shown]
	v_add_co_u32 v2, s13, v2, -1
	s_delay_alu instid0(VALU_DEP_1)
	v_cndmask_b32_e64 v6, 0, 1, s13
	v_not_b32_e32 v29, v3
	v_cmp_gt_i32_e64 s13, 0, v3
	v_not_b32_e32 v3, v4
	v_lshlrev_b32_e32 v27, 26, v0
	v_cmp_ne_u32_e32 vcc_lo, 0, v6
	v_ashrrev_i32_e32 v6, 31, v29
	v_lshlrev_b32_e32 v28, 25, v0
	v_ashrrev_i32_e32 v3, 31, v3
	v_and_b32_e32 v1, 0xff, v0
	v_xor_b32_e32 v2, vcc_lo, v2
	v_cmp_gt_i32_e32 vcc_lo, 0, v4
	v_not_b32_e32 v4, v5
	v_xor_b32_e32 v6, s13, v6
	v_cmp_gt_i32_e64 s13, 0, v5
	v_and_b32_e32 v2, exec_lo, v2
	v_not_b32_e32 v5, v7
	v_ashrrev_i32_e32 v4, 31, v4
	v_xor_b32_e32 v3, vcc_lo, v3
	v_cmp_gt_i32_e32 vcc_lo, 0, v7
	v_and_b32_e32 v2, v2, v6
	v_not_b32_e32 v6, v27
	v_ashrrev_i32_e32 v5, 31, v5
	v_xor_b32_e32 v4, s13, v4
	v_lshlrev_b32_e32 v0, 24, v0
	v_and_b32_e32 v2, v2, v3
	v_cmp_gt_i32_e64 s13, 0, v27
	v_not_b32_e32 v3, v28
	v_ashrrev_i32_e32 v6, 31, v6
	v_xor_b32_e32 v5, vcc_lo, v5
	v_and_b32_e32 v2, v2, v4
	v_cmp_gt_i32_e32 vcc_lo, 0, v28
	v_not_b32_e32 v4, v0
	v_ashrrev_i32_e32 v3, 31, v3
	v_xor_b32_e32 v6, s13, v6
	v_and_b32_e32 v2, v2, v5
	v_mul_u32_u24_e32 v1, 10, v1
	v_cmp_gt_i32_e64 s13, 0, v0
	v_ashrrev_i32_e32 v0, 31, v4
	v_xor_b32_e32 v3, vcc_lo, v3
	v_and_b32_e32 v2, v2, v6
	v_add_lshl_u32 v1, v1, v49, 2
	s_delay_alu instid0(VALU_DEP_4) | instskip(NEXT) | instid1(VALU_DEP_3)
	v_xor_b32_e32 v0, s13, v0
	v_and_b32_e32 v2, v2, v3
	ds_load_b32 v27, v1 offset:40
	v_add_nc_u32_e32 v29, 40, v1
	; wave barrier
	v_and_b32_e32 v0, v2, v0
	s_delay_alu instid0(VALU_DEP_1) | instskip(SKIP_1) | instid1(VALU_DEP_2)
	v_mbcnt_lo_u32_b32 v28, v0, 0
	v_cmp_ne_u32_e64 s13, 0, v0
	v_cmp_eq_u32_e32 vcc_lo, 0, v28
	s_delay_alu instid0(VALU_DEP_2) | instskip(NEXT) | instid1(SALU_CYCLE_1)
	s_and_b32 s25, s13, vcc_lo
	s_and_saveexec_b32 s13, s25
	s_cbranch_execz .LBB325_8
; %bb.7:                                ;   in Loop: Header=BB325_4 Depth=2
	s_waitcnt lgkmcnt(0)
	v_bcnt_u32_b32 v0, v0, v27
	ds_store_b32 v29, v0
.LBB325_8:                              ;   in Loop: Header=BB325_4 Depth=2
	s_or_b32 exec_lo, exec_lo, s13
	v_lshrrev_b64 v[0:1], s22, v[22:23]
	; wave barrier
	s_delay_alu instid0(VALU_DEP_1)
	v_and_b32_e32 v2, 1, v0
	v_lshlrev_b32_e32 v3, 30, v0
	v_lshlrev_b32_e32 v4, 29, v0
	;; [unrolled: 1-line block ×4, first 2 shown]
	v_add_co_u32 v2, s13, v2, -1
	s_delay_alu instid0(VALU_DEP_1)
	v_cndmask_b32_e64 v6, 0, 1, s13
	v_not_b32_e32 v32, v3
	v_cmp_gt_i32_e64 s13, 0, v3
	v_not_b32_e32 v3, v4
	v_lshlrev_b32_e32 v30, 26, v0
	v_cmp_ne_u32_e32 vcc_lo, 0, v6
	v_ashrrev_i32_e32 v6, 31, v32
	v_lshlrev_b32_e32 v31, 25, v0
	v_ashrrev_i32_e32 v3, 31, v3
	v_and_b32_e32 v1, 0xff, v0
	v_xor_b32_e32 v2, vcc_lo, v2
	v_cmp_gt_i32_e32 vcc_lo, 0, v4
	v_not_b32_e32 v4, v5
	v_xor_b32_e32 v6, s13, v6
	v_cmp_gt_i32_e64 s13, 0, v5
	v_and_b32_e32 v2, exec_lo, v2
	v_not_b32_e32 v5, v7
	v_ashrrev_i32_e32 v4, 31, v4
	v_xor_b32_e32 v3, vcc_lo, v3
	v_cmp_gt_i32_e32 vcc_lo, 0, v7
	v_and_b32_e32 v2, v2, v6
	v_not_b32_e32 v6, v30
	v_ashrrev_i32_e32 v5, 31, v5
	v_xor_b32_e32 v4, s13, v4
	v_lshlrev_b32_e32 v0, 24, v0
	v_and_b32_e32 v2, v2, v3
	v_cmp_gt_i32_e64 s13, 0, v30
	v_not_b32_e32 v3, v31
	v_ashrrev_i32_e32 v6, 31, v6
	v_xor_b32_e32 v5, vcc_lo, v5
	v_and_b32_e32 v2, v2, v4
	v_cmp_gt_i32_e32 vcc_lo, 0, v31
	v_not_b32_e32 v4, v0
	v_ashrrev_i32_e32 v3, 31, v3
	v_xor_b32_e32 v6, s13, v6
	v_and_b32_e32 v2, v2, v5
	v_mul_u32_u24_e32 v1, 10, v1
	v_cmp_gt_i32_e64 s13, 0, v0
	v_ashrrev_i32_e32 v0, 31, v4
	v_xor_b32_e32 v3, vcc_lo, v3
	v_and_b32_e32 v2, v2, v6
	v_add_lshl_u32 v1, v1, v49, 2
	s_delay_alu instid0(VALU_DEP_4) | instskip(NEXT) | instid1(VALU_DEP_3)
	v_xor_b32_e32 v0, s13, v0
	v_and_b32_e32 v2, v2, v3
	ds_load_b32 v30, v1 offset:40
	v_add_nc_u32_e32 v32, 40, v1
	; wave barrier
	v_and_b32_e32 v0, v2, v0
	s_delay_alu instid0(VALU_DEP_1) | instskip(SKIP_1) | instid1(VALU_DEP_2)
	v_mbcnt_lo_u32_b32 v31, v0, 0
	v_cmp_ne_u32_e64 s13, 0, v0
	v_cmp_eq_u32_e32 vcc_lo, 0, v31
	s_delay_alu instid0(VALU_DEP_2) | instskip(NEXT) | instid1(SALU_CYCLE_1)
	s_and_b32 s25, s13, vcc_lo
	s_and_saveexec_b32 s13, s25
	s_cbranch_execz .LBB325_10
; %bb.9:                                ;   in Loop: Header=BB325_4 Depth=2
	s_waitcnt lgkmcnt(0)
	v_bcnt_u32_b32 v0, v0, v30
	ds_store_b32 v32, v0
.LBB325_10:                             ;   in Loop: Header=BB325_4 Depth=2
	s_or_b32 exec_lo, exec_lo, s13
	v_lshrrev_b64 v[0:1], s22, v[20:21]
	; wave barrier
	s_delay_alu instid0(VALU_DEP_1)
	v_and_b32_e32 v2, 1, v0
	v_lshlrev_b32_e32 v3, 30, v0
	v_lshlrev_b32_e32 v4, 29, v0
	v_lshlrev_b32_e32 v5, 28, v0
	v_lshlrev_b32_e32 v7, 27, v0
	v_add_co_u32 v2, s13, v2, -1
	s_delay_alu instid0(VALU_DEP_1)
	v_cndmask_b32_e64 v6, 0, 1, s13
	v_not_b32_e32 v51, v3
	v_cmp_gt_i32_e64 s13, 0, v3
	v_not_b32_e32 v3, v4
	v_lshlrev_b32_e32 v33, 26, v0
	v_cmp_ne_u32_e32 vcc_lo, 0, v6
	v_ashrrev_i32_e32 v6, 31, v51
	v_lshlrev_b32_e32 v50, 25, v0
	v_ashrrev_i32_e32 v3, 31, v3
	v_and_b32_e32 v1, 0xff, v0
	v_xor_b32_e32 v2, vcc_lo, v2
	v_cmp_gt_i32_e32 vcc_lo, 0, v4
	v_not_b32_e32 v4, v5
	v_xor_b32_e32 v6, s13, v6
	v_cmp_gt_i32_e64 s13, 0, v5
	v_and_b32_e32 v2, exec_lo, v2
	v_not_b32_e32 v5, v7
	v_ashrrev_i32_e32 v4, 31, v4
	v_xor_b32_e32 v3, vcc_lo, v3
	v_cmp_gt_i32_e32 vcc_lo, 0, v7
	v_and_b32_e32 v2, v2, v6
	v_not_b32_e32 v6, v33
	v_ashrrev_i32_e32 v5, 31, v5
	v_xor_b32_e32 v4, s13, v4
	v_lshlrev_b32_e32 v0, 24, v0
	v_and_b32_e32 v2, v2, v3
	v_cmp_gt_i32_e64 s13, 0, v33
	v_not_b32_e32 v3, v50
	v_ashrrev_i32_e32 v6, 31, v6
	v_xor_b32_e32 v5, vcc_lo, v5
	v_and_b32_e32 v2, v2, v4
	v_cmp_gt_i32_e32 vcc_lo, 0, v50
	v_not_b32_e32 v4, v0
	v_ashrrev_i32_e32 v3, 31, v3
	v_xor_b32_e32 v6, s13, v6
	v_and_b32_e32 v2, v2, v5
	v_mul_u32_u24_e32 v1, 10, v1
	v_cmp_gt_i32_e64 s13, 0, v0
	v_ashrrev_i32_e32 v0, 31, v4
	v_xor_b32_e32 v3, vcc_lo, v3
	v_and_b32_e32 v2, v2, v6
	v_add_lshl_u32 v1, v1, v49, 2
	s_delay_alu instid0(VALU_DEP_4) | instskip(NEXT) | instid1(VALU_DEP_3)
	v_xor_b32_e32 v0, s13, v0
	v_and_b32_e32 v2, v2, v3
	ds_load_b32 v33, v1 offset:40
	v_add_nc_u32_e32 v51, 40, v1
	; wave barrier
	v_and_b32_e32 v0, v2, v0
	s_delay_alu instid0(VALU_DEP_1) | instskip(SKIP_1) | instid1(VALU_DEP_2)
	v_mbcnt_lo_u32_b32 v50, v0, 0
	v_cmp_ne_u32_e64 s13, 0, v0
	v_cmp_eq_u32_e32 vcc_lo, 0, v50
	s_delay_alu instid0(VALU_DEP_2) | instskip(NEXT) | instid1(SALU_CYCLE_1)
	s_and_b32 s25, s13, vcc_lo
	s_and_saveexec_b32 s13, s25
	s_cbranch_execz .LBB325_12
; %bb.11:                               ;   in Loop: Header=BB325_4 Depth=2
	s_waitcnt lgkmcnt(0)
	v_bcnt_u32_b32 v0, v0, v33
	ds_store_b32 v51, v0
.LBB325_12:                             ;   in Loop: Header=BB325_4 Depth=2
	s_or_b32 exec_lo, exec_lo, s13
	; wave barrier
	s_waitcnt lgkmcnt(0)
	s_barrier
	buffer_gl0_inv
	ds_load_2addr_b64 v[4:7], v34 offset0:5 offset1:6
	ds_load_2addr_b64 v[0:3], v40 offset0:2 offset1:3
	s_waitcnt lgkmcnt(1)
	v_add_nc_u32_e32 v52, v5, v4
	s_delay_alu instid0(VALU_DEP_1) | instskip(SKIP_1) | instid1(VALU_DEP_1)
	v_add3_u32 v52, v52, v6, v7
	s_waitcnt lgkmcnt(0)
	v_add3_u32 v52, v52, v0, v1
	s_delay_alu instid0(VALU_DEP_1) | instskip(NEXT) | instid1(VALU_DEP_1)
	v_add3_u32 v3, v52, v2, v3
	v_mov_b32_dpp v52, v3 row_shr:1 row_mask:0xf bank_mask:0xf
	s_delay_alu instid0(VALU_DEP_1) | instskip(NEXT) | instid1(VALU_DEP_1)
	v_cndmask_b32_e64 v52, v52, 0, s4
	v_add_nc_u32_e32 v3, v52, v3
	s_delay_alu instid0(VALU_DEP_1) | instskip(NEXT) | instid1(VALU_DEP_1)
	v_mov_b32_dpp v52, v3 row_shr:2 row_mask:0xf bank_mask:0xf
	v_cndmask_b32_e64 v52, 0, v52, s5
	s_delay_alu instid0(VALU_DEP_1) | instskip(NEXT) | instid1(VALU_DEP_1)
	v_add_nc_u32_e32 v3, v3, v52
	v_mov_b32_dpp v52, v3 row_shr:4 row_mask:0xf bank_mask:0xf
	s_delay_alu instid0(VALU_DEP_1) | instskip(NEXT) | instid1(VALU_DEP_1)
	v_cndmask_b32_e64 v52, 0, v52, s6
	v_add_nc_u32_e32 v3, v3, v52
	s_delay_alu instid0(VALU_DEP_1) | instskip(NEXT) | instid1(VALU_DEP_1)
	v_mov_b32_dpp v52, v3 row_shr:8 row_mask:0xf bank_mask:0xf
	v_cndmask_b32_e64 v52, 0, v52, s7
	s_delay_alu instid0(VALU_DEP_1) | instskip(SKIP_3) | instid1(VALU_DEP_1)
	v_add_nc_u32_e32 v3, v3, v52
	ds_swizzle_b32 v52, v3 offset:swizzle(BROADCAST,32,15)
	s_waitcnt lgkmcnt(0)
	v_cndmask_b32_e64 v52, v52, 0, s8
	v_add_nc_u32_e32 v3, v3, v52
	s_and_saveexec_b32 s13, s12
	s_cbranch_execz .LBB325_14
; %bb.13:                               ;   in Loop: Header=BB325_4 Depth=2
	ds_store_b32 v41, v3
.LBB325_14:                             ;   in Loop: Header=BB325_4 Depth=2
	s_or_b32 exec_lo, exec_lo, s13
	s_waitcnt lgkmcnt(0)
	s_barrier
	buffer_gl0_inv
	s_and_saveexec_b32 s13, s9
	s_cbranch_execz .LBB325_16
; %bb.15:                               ;   in Loop: Header=BB325_4 Depth=2
	ds_load_b32 v52, v43
	s_waitcnt lgkmcnt(0)
	v_mov_b32_dpp v53, v52 row_shr:1 row_mask:0xf bank_mask:0xf
	s_delay_alu instid0(VALU_DEP_1) | instskip(NEXT) | instid1(VALU_DEP_1)
	v_cndmask_b32_e64 v53, v53, 0, s4
	v_add_nc_u32_e32 v52, v53, v52
	s_delay_alu instid0(VALU_DEP_1) | instskip(NEXT) | instid1(VALU_DEP_1)
	v_mov_b32_dpp v53, v52 row_shr:2 row_mask:0xf bank_mask:0xf
	v_cndmask_b32_e64 v53, 0, v53, s5
	s_delay_alu instid0(VALU_DEP_1) | instskip(NEXT) | instid1(VALU_DEP_1)
	v_add_nc_u32_e32 v52, v52, v53
	v_mov_b32_dpp v53, v52 row_shr:4 row_mask:0xf bank_mask:0xf
	s_delay_alu instid0(VALU_DEP_1) | instskip(NEXT) | instid1(VALU_DEP_1)
	v_cndmask_b32_e64 v53, 0, v53, s6
	v_add_nc_u32_e32 v52, v52, v53
	s_delay_alu instid0(VALU_DEP_1) | instskip(NEXT) | instid1(VALU_DEP_1)
	v_mov_b32_dpp v53, v52 row_shr:8 row_mask:0xf bank_mask:0xf
	v_cndmask_b32_e64 v53, 0, v53, s7
	s_delay_alu instid0(VALU_DEP_1)
	v_add_nc_u32_e32 v52, v52, v53
	ds_store_b32 v43, v52
.LBB325_16:                             ;   in Loop: Header=BB325_4 Depth=2
	s_or_b32 exec_lo, exec_lo, s13
	v_mov_b32_e32 v52, 0
	s_waitcnt lgkmcnt(0)
	s_barrier
	buffer_gl0_inv
	s_and_saveexec_b32 s13, s10
	s_cbranch_execz .LBB325_18
; %bb.17:                               ;   in Loop: Header=BB325_4 Depth=2
	ds_load_b32 v52, v44
.LBB325_18:                             ;   in Loop: Header=BB325_4 Depth=2
	s_or_b32 exec_lo, exec_lo, s13
	s_waitcnt lgkmcnt(0)
	v_add_nc_u32_e32 v3, v52, v3
	s_cmp_gt_u32 s22, 55
	ds_bpermute_b32 v3, v42, v3
	s_waitcnt lgkmcnt(0)
	v_cndmask_b32_e64 v3, v3, v52, s0
	s_delay_alu instid0(VALU_DEP_1) | instskip(NEXT) | instid1(VALU_DEP_1)
	v_cndmask_b32_e64 v3, v3, 0, s11
	v_add_nc_u32_e32 v4, v3, v4
	s_delay_alu instid0(VALU_DEP_1) | instskip(NEXT) | instid1(VALU_DEP_1)
	v_add_nc_u32_e32 v5, v4, v5
	v_add_nc_u32_e32 v6, v5, v6
	s_delay_alu instid0(VALU_DEP_1) | instskip(NEXT) | instid1(VALU_DEP_1)
	v_add_nc_u32_e32 v52, v6, v7
	;; [unrolled: 3-line block ×3, first 2 shown]
	v_add_nc_u32_e32 v1, v0, v2
	ds_store_2addr_b64 v34, v[3:4], v[5:6] offset0:5 offset1:6
	ds_store_2addr_b64 v40, v[52:53], v[0:1] offset0:2 offset1:3
	s_waitcnt lgkmcnt(0)
	s_barrier
	buffer_gl0_inv
	ds_load_b32 v0, v26
	ds_load_b32 v1, v29
	;; [unrolled: 1-line block ×4, first 2 shown]
	s_waitcnt lgkmcnt(3)
	v_add_nc_u32_e32 v53, v0, v16
	s_waitcnt lgkmcnt(2)
	v_add3_u32 v52, v28, v27, v1
	s_waitcnt lgkmcnt(1)
	v_add3_u32 v51, v31, v30, v2
	;; [unrolled: 2-line block ×3, first 2 shown]
	s_cbranch_scc0 .LBB325_3
; %bb.19:                               ;   in Loop: Header=BB325_2 Depth=1
                                        ; implicit-def: $vgpr4_vgpr5
                                        ; implicit-def: $vgpr2_vgpr3
                                        ; implicit-def: $vgpr0_vgpr1
                                        ; implicit-def: $vgpr26_vgpr27
                                        ; implicit-def: $vgpr6_vgpr7
                                        ; implicit-def: $vgpr28_vgpr29
                                        ; implicit-def: $vgpr32_vgpr33
                                        ; implicit-def: $vgpr30_vgpr31
                                        ; implicit-def: $sgpr22_sgpr23
	s_branch .LBB325_1
.LBB325_20:
	s_waitcnt lgkmcnt(1)
	v_add_co_u32 v5, vcc_lo, v13, v5
	v_lshlrev_b32_e32 v13, 3, v17
	v_add_co_ci_u32_e32 v6, vcc_lo, v14, v6, vcc_lo
	s_add_u32 s0, s18, s14
	v_add_co_u32 v7, vcc_lo, v15, v7
	s_addc_u32 s1, s19, s15
	v_add_co_u32 v14, s2, s0, v13
	v_add_co_ci_u32_e32 v8, vcc_lo, v16, v8, vcc_lo
	v_add_co_ci_u32_e64 v15, null, s1, 0, s2
	s_waitcnt lgkmcnt(0)
	v_add_co_u32 v0, vcc_lo, v9, v1
	v_add_co_ci_u32_e32 v1, vcc_lo, v10, v2, vcc_lo
	v_add_co_u32 v9, vcc_lo, 0x1000, v14
	v_add_co_ci_u32_e32 v10, vcc_lo, 0, v15, vcc_lo
	;; [unrolled: 2-line block ×3, first 2 shown]
	s_clause 0x3
	global_store_b64 v13, v[5:6], s[0:1]
	global_store_b64 v13, v[7:8], s[0:1] offset:2560
	global_store_b64 v[9:10], v[0:1], off offset:1024
	global_store_b64 v[9:10], v[2:3], off offset:3584
	s_nop 0
	s_sendmsg sendmsg(MSG_DEALLOC_VGPRS)
	s_endpgm
	.section	.rodata,"a",@progbits
	.p2align	6, 0x0
	.amdhsa_kernel _Z17sort_pairs_kernelI22helper_blocked_stripedxLj320ELj4ELj10EEvPKT0_PS1_
		.amdhsa_group_segment_fixed_size 10560
		.amdhsa_private_segment_fixed_size 0
		.amdhsa_kernarg_size 272
		.amdhsa_user_sgpr_count 15
		.amdhsa_user_sgpr_dispatch_ptr 0
		.amdhsa_user_sgpr_queue_ptr 0
		.amdhsa_user_sgpr_kernarg_segment_ptr 1
		.amdhsa_user_sgpr_dispatch_id 0
		.amdhsa_user_sgpr_private_segment_size 0
		.amdhsa_wavefront_size32 1
		.amdhsa_uses_dynamic_stack 0
		.amdhsa_enable_private_segment 0
		.amdhsa_system_sgpr_workgroup_id_x 1
		.amdhsa_system_sgpr_workgroup_id_y 0
		.amdhsa_system_sgpr_workgroup_id_z 0
		.amdhsa_system_sgpr_workgroup_info 0
		.amdhsa_system_vgpr_workitem_id 2
		.amdhsa_next_free_vgpr 56
		.amdhsa_next_free_sgpr 26
		.amdhsa_reserve_vcc 1
		.amdhsa_float_round_mode_32 0
		.amdhsa_float_round_mode_16_64 0
		.amdhsa_float_denorm_mode_32 3
		.amdhsa_float_denorm_mode_16_64 3
		.amdhsa_dx10_clamp 1
		.amdhsa_ieee_mode 1
		.amdhsa_fp16_overflow 0
		.amdhsa_workgroup_processor_mode 1
		.amdhsa_memory_ordered 1
		.amdhsa_forward_progress 0
		.amdhsa_shared_vgpr_count 0
		.amdhsa_exception_fp_ieee_invalid_op 0
		.amdhsa_exception_fp_denorm_src 0
		.amdhsa_exception_fp_ieee_div_zero 0
		.amdhsa_exception_fp_ieee_overflow 0
		.amdhsa_exception_fp_ieee_underflow 0
		.amdhsa_exception_fp_ieee_inexact 0
		.amdhsa_exception_int_div_zero 0
	.end_amdhsa_kernel
	.section	.text._Z17sort_pairs_kernelI22helper_blocked_stripedxLj320ELj4ELj10EEvPKT0_PS1_,"axG",@progbits,_Z17sort_pairs_kernelI22helper_blocked_stripedxLj320ELj4ELj10EEvPKT0_PS1_,comdat
.Lfunc_end325:
	.size	_Z17sort_pairs_kernelI22helper_blocked_stripedxLj320ELj4ELj10EEvPKT0_PS1_, .Lfunc_end325-_Z17sort_pairs_kernelI22helper_blocked_stripedxLj320ELj4ELj10EEvPKT0_PS1_
                                        ; -- End function
	.section	.AMDGPU.csdata,"",@progbits
; Kernel info:
; codeLenInByte = 4248
; NumSgprs: 28
; NumVgprs: 56
; ScratchSize: 0
; MemoryBound: 0
; FloatMode: 240
; IeeeMode: 1
; LDSByteSize: 10560 bytes/workgroup (compile time only)
; SGPRBlocks: 3
; VGPRBlocks: 6
; NumSGPRsForWavesPerEU: 28
; NumVGPRsForWavesPerEU: 56
; Occupancy: 15
; WaveLimiterHint : 1
; COMPUTE_PGM_RSRC2:SCRATCH_EN: 0
; COMPUTE_PGM_RSRC2:USER_SGPR: 15
; COMPUTE_PGM_RSRC2:TRAP_HANDLER: 0
; COMPUTE_PGM_RSRC2:TGID_X_EN: 1
; COMPUTE_PGM_RSRC2:TGID_Y_EN: 0
; COMPUTE_PGM_RSRC2:TGID_Z_EN: 0
; COMPUTE_PGM_RSRC2:TIDIG_COMP_CNT: 2
	.section	.text._Z16sort_keys_kernelI22helper_blocked_stripedxLj320ELj8ELj10EEvPKT0_PS1_,"axG",@progbits,_Z16sort_keys_kernelI22helper_blocked_stripedxLj320ELj8ELj10EEvPKT0_PS1_,comdat
	.protected	_Z16sort_keys_kernelI22helper_blocked_stripedxLj320ELj8ELj10EEvPKT0_PS1_ ; -- Begin function _Z16sort_keys_kernelI22helper_blocked_stripedxLj320ELj8ELj10EEvPKT0_PS1_
	.globl	_Z16sort_keys_kernelI22helper_blocked_stripedxLj320ELj8ELj10EEvPKT0_PS1_
	.p2align	8
	.type	_Z16sort_keys_kernelI22helper_blocked_stripedxLj320ELj8ELj10EEvPKT0_PS1_,@function
_Z16sort_keys_kernelI22helper_blocked_stripedxLj320ELj8ELj10EEvPKT0_PS1_: ; @_Z16sort_keys_kernelI22helper_blocked_stripedxLj320ELj8ELj10EEvPKT0_PS1_
; %bb.0:
	s_clause 0x1
	s_load_b128 s[16:19], s[0:1], 0x0
	s_load_b32 s2, s[0:1], 0x1c
	v_and_b32_e32 v17, 0x3ff, v0
	s_mov_b32 s13, 0
	s_mul_i32 s12, s15, 0xa00
	v_mbcnt_lo_u32_b32 v20, -1, 0
	s_lshl_b64 s[14:15], s[12:13], 3
	v_lshlrev_b32_e32 v13, 6, v17
	v_and_b32_e32 v21, 0x1e0, v17
	v_lshlrev_b32_e32 v32, 3, v17
	v_lshlrev_b32_e32 v39, 5, v17
	v_cmp_gt_u32_e64 s6, 10, v17
	v_cmp_lt_u32_e64 s7, 31, v17
	v_or_b32_e32 v18, v20, v21
	v_and_b32_e32 v22, 0xf00, v32
	v_mad_i32_i24 v47, 0xffffffe4, v17, v39
	v_add_nc_u32_e32 v43, 40, v39
	v_cmp_eq_u32_e64 s8, 0, v20
	v_lshlrev_b32_e32 v19, 1, v18
	v_or_b32_e32 v24, 0x60, v22
	s_waitcnt lgkmcnt(0)
	s_add_u32 s0, s16, s14
	s_addc_u32 s1, s17, s15
	v_or_b32_e32 v23, v20, v22
	s_clause 0x3
	global_load_b128 v[1:4], v13, s[0:1] offset:48
	global_load_b128 v[5:8], v13, s[0:1] offset:32
	;; [unrolled: 1-line block ×3, first 2 shown]
	global_load_b128 v[13:16], v13, s[0:1]
	v_and_b32_e32 v19, 0x3f8, v19
	v_or_b32_e32 v26, 0x80, v22
	v_lshrrev_b32_e32 v24, 5, v24
	s_lshr_b32 s0, s2, 16
	v_lshrrev_b32_e32 v25, 5, v22
	v_lshl_add_u32 v33, v18, 6, v19
	v_or_b32_e32 v18, 32, v22
	v_or_b32_e32 v19, 64, v22
	v_add_lshl_u32 v37, v24, v23, 3
	v_bfe_u32 v24, v0, 10, 10
	v_bfe_u32 v0, v0, 20, 10
	v_lshrrev_b32_e32 v18, 5, v18
	v_lshrrev_b32_e32 v19, 5, v19
	v_add_lshl_u32 v34, v25, v23, 3
	v_cmp_eq_u32_e64 s9, 0, v17
	v_mad_u32_u24 v0, v0, s0, v24
	v_add_lshl_u32 v35, v18, v23, 3
	v_lshrrev_b32_e32 v18, 5, v26
	v_add_lshl_u32 v36, v19, v23, 3
	v_or_b32_e32 v19, 0xa0, v22
	s_and_b32 s0, s2, 0xffff
	s_mov_b32 s12, s13
	v_add_lshl_u32 v38, v18, v23, 3
	v_or_b32_e32 v18, 0xc0, v22
	v_or_b32_e32 v22, 0xe0, v22
	v_lshrrev_b32_e32 v25, 5, v19
	s_mov_b32 s16, s13
	s_mov_b32 s17, s13
	v_lshrrev_b32_e32 v24, 5, v18
	v_mad_u64_u32 v[18:19], null, v0, s0, v[17:18]
	v_lshrrev_b32_e32 v0, 5, v22
	v_and_b32_e32 v19, 15, v20
	v_add_lshl_u32 v40, v25, v23, 3
	v_add_lshl_u32 v41, v24, v23, 3
	s_mov_b32 s11, s13
	v_add_lshl_u32 v42, v0, v23, 3
	v_min_u32_e32 v0, 0x120, v21
	v_add_nc_u32_e32 v21, -1, v20
	v_lshrrev_b32_e32 v44, 5, v18
	v_cmp_eq_u32_e64 s0, 0, v19
	v_cmp_lt_u32_e64 s1, 1, v19
	v_and_b32_e32 v18, 16, v20
	v_cmp_lt_u32_e64 s2, 3, v19
	v_cmp_lt_u32_e64 s3, 7, v19
	v_or_b32_e32 v0, 31, v0
	v_cmp_gt_i32_e32 vcc_lo, 0, v21
	v_lshrrev_b32_e32 v19, 3, v17
	v_cmp_eq_u32_e64 s4, 0, v18
	s_delay_alu instid0(VALU_DEP_4) | instskip(SKIP_1) | instid1(VALU_DEP_4)
	v_cmp_eq_u32_e64 s5, v0, v17
	v_cndmask_b32_e32 v18, v21, v20, vcc_lo
	v_and_b32_e32 v46, 60, v19
	v_lshlrev_b32_e32 v0, 2, v17
	s_delay_alu instid0(VALU_DEP_3) | instskip(NEXT) | instid1(VALU_DEP_3)
	v_lshlrev_b32_e32 v45, 2, v18
	v_add_nc_u32_e32 v48, -4, v46
	s_delay_alu instid0(VALU_DEP_3)
	v_add_nc_u32_e32 v49, v47, v0
	s_branch .LBB326_2
.LBB326_1:                              ;   in Loop: Header=BB326_2 Depth=1
	v_lshlrev_b32_e32 v0, 3, v64
	v_lshlrev_b32_e32 v1, 3, v61
	;; [unrolled: 1-line block ×3, first 2 shown]
	s_barrier
	buffer_gl0_inv
	ds_store_b64 v0, v[8:9]
	ds_store_b64 v1, v[22:23]
	;; [unrolled: 1-line block ×3, first 2 shown]
	v_lshlrev_b32_e32 v0, 3, v55
	v_lshlrev_b32_e32 v1, 3, v53
	;; [unrolled: 1-line block ×5, first 2 shown]
	ds_store_b64 v0, v[18:19]
	ds_store_b64 v1, v[16:17]
	;; [unrolled: 1-line block ×5, first 2 shown]
	s_waitcnt lgkmcnt(0)
	s_barrier
	buffer_gl0_inv
	ds_load_2addr_stride64_b64 v[13:16], v49 offset1:5
	ds_load_2addr_stride64_b64 v[9:12], v49 offset0:10 offset1:15
	ds_load_2addr_stride64_b64 v[5:8], v49 offset0:20 offset1:25
	;; [unrolled: 1-line block ×3, first 2 shown]
	s_add_i32 s11, s11, 1
	s_delay_alu instid0(SALU_CYCLE_1)
	s_cmp_eq_u32 s11, 10
	s_waitcnt lgkmcnt(3)
	v_xor_b32_e32 v14, 0x80000000, v14
	v_xor_b32_e32 v16, 0x80000000, v16
	s_waitcnt lgkmcnt(2)
	v_xor_b32_e32 v10, 0x80000000, v10
	v_xor_b32_e32 v12, 0x80000000, v12
	;; [unrolled: 3-line block ×4, first 2 shown]
	s_cbranch_scc1 .LBB326_28
.LBB326_2:                              ; =>This Loop Header: Depth=1
                                        ;     Child Loop BB326_4 Depth 2
	s_waitcnt vmcnt(0)
	v_xor_b32_e32 v14, 0x80000000, v14
	v_xor_b32_e32 v16, 0x80000000, v16
	;; [unrolled: 1-line block ×8, first 2 shown]
	ds_store_2addr_b64 v33, v[13:14], v[15:16] offset1:1
	ds_store_2addr_b64 v33, v[9:10], v[11:12] offset0:2 offset1:3
	ds_store_2addr_b64 v33, v[5:6], v[7:8] offset0:4 offset1:5
	;; [unrolled: 1-line block ×3, first 2 shown]
	; wave barrier
	ds_load_b64 v[30:31], v34
	ds_load_b64 v[0:1], v35 offset:256
	ds_load_b64 v[2:3], v36 offset:512
	;; [unrolled: 1-line block ×7, first 2 shown]
	s_mov_b64 s[20:21], 0
	s_waitcnt lgkmcnt(0)
	s_barrier
	buffer_gl0_inv
	; wave barrier
	s_barrier
	s_branch .LBB326_4
.LBB326_3:                              ;   in Loop: Header=BB326_4 Depth=2
	v_lshrrev_b32_e32 v0, 2, v64
	v_lshrrev_b32_e32 v1, 2, v61
	;; [unrolled: 1-line block ×4, first 2 shown]
	s_delay_alu instid0(VALU_DEP_4) | instskip(NEXT) | instid1(VALU_DEP_4)
	v_and_b32_e32 v0, 0x3ffffff8, v0
	v_and_b32_e32 v1, 0x3ffffff8, v1
	s_delay_alu instid0(VALU_DEP_4)
	v_and_b32_e32 v2, 0x3ffffff8, v2
	s_barrier
	buffer_gl0_inv
	v_lshl_add_u32 v0, v64, 3, v0
	v_lshl_add_u32 v1, v61, 3, v1
	;; [unrolled: 1-line block ×3, first 2 shown]
	v_lshrrev_b32_e32 v4, 2, v50
	v_and_b32_e32 v3, 0x3ffffff8, v3
	ds_store_b64 v0, v[8:9]
	ds_store_b64 v1, v[22:23]
	;; [unrolled: 1-line block ×3, first 2 shown]
	v_lshrrev_b32_e32 v0, 2, v53
	v_lshrrev_b32_e32 v1, 2, v52
	;; [unrolled: 1-line block ×3, first 2 shown]
	v_and_b32_e32 v4, 0x3ffffff8, v4
	v_lshl_add_u32 v3, v55, 3, v3
	v_and_b32_e32 v0, 0x3ffffff8, v0
	v_and_b32_e32 v1, 0x3ffffff8, v1
	;; [unrolled: 1-line block ×3, first 2 shown]
	v_lshl_add_u32 v4, v50, 3, v4
	s_add_u32 s20, s20, 8
	v_lshl_add_u32 v0, v53, 3, v0
	v_lshl_add_u32 v1, v52, 3, v1
	;; [unrolled: 1-line block ×3, first 2 shown]
	ds_store_b64 v3, v[18:19]
	ds_store_b64 v0, v[16:17]
	;; [unrolled: 1-line block ×5, first 2 shown]
	s_waitcnt lgkmcnt(0)
	s_barrier
	buffer_gl0_inv
	ds_load_b64 v[30:31], v34
	ds_load_b64 v[0:1], v35 offset:256
	ds_load_b64 v[2:3], v36 offset:512
	;; [unrolled: 1-line block ×7, first 2 shown]
	s_addc_u32 s21, s21, 0
	s_waitcnt lgkmcnt(0)
	s_barrier
	s_cbranch_execz .LBB326_1
.LBB326_4:                              ;   Parent Loop BB326_2 Depth=1
                                        ; =>  This Inner Loop Header: Depth=2
	v_dual_mov_b32 v8, v30 :: v_dual_mov_b32 v9, v31
	buffer_gl0_inv
	v_dual_mov_b32 v21, v3 :: v_dual_mov_b32 v20, v2
	v_lshrrev_b64 v[30:31], s20, v[8:9]
	s_delay_alu instid0(VALU_DEP_1)
	v_and_b32_e32 v10, 1, v30
	v_lshlrev_b32_e32 v11, 30, v30
	v_lshlrev_b32_e32 v12, 29, v30
	;; [unrolled: 1-line block ×4, first 2 shown]
	v_add_co_u32 v10, s10, v10, -1
	s_delay_alu instid0(VALU_DEP_1)
	v_cndmask_b32_e64 v14, 0, 1, s10
	v_not_b32_e32 v18, v11
	v_cmp_gt_i32_e64 s10, 0, v11
	v_not_b32_e32 v11, v12
	v_lshlrev_b32_e32 v16, 26, v30
	v_cmp_ne_u32_e32 vcc_lo, 0, v14
	v_ashrrev_i32_e32 v18, 31, v18
	v_lshlrev_b32_e32 v17, 25, v30
	v_ashrrev_i32_e32 v11, 31, v11
	v_lshlrev_b32_e32 v14, 24, v30
	v_xor_b32_e32 v10, vcc_lo, v10
	v_cmp_gt_i32_e32 vcc_lo, 0, v12
	v_not_b32_e32 v12, v13
	v_xor_b32_e32 v18, s10, v18
	v_cmp_gt_i32_e64 s10, 0, v13
	v_and_b32_e32 v10, exec_lo, v10
	v_not_b32_e32 v13, v15
	v_ashrrev_i32_e32 v12, 31, v12
	v_xor_b32_e32 v11, vcc_lo, v11
	v_cmp_gt_i32_e32 vcc_lo, 0, v15
	v_and_b32_e32 v10, v10, v18
	v_not_b32_e32 v15, v16
	v_ashrrev_i32_e32 v13, 31, v13
	v_xor_b32_e32 v12, s10, v12
	v_cmp_gt_i32_e64 s10, 0, v16
	v_and_b32_e32 v10, v10, v11
	v_ashrrev_i32_e32 v15, 31, v15
	v_xor_b32_e32 v13, vcc_lo, v13
	s_delay_alu instid0(VALU_DEP_3) | instskip(NEXT) | instid1(VALU_DEP_3)
	v_and_b32_e32 v10, v10, v12
	v_xor_b32_e32 v15, s10, v15
	v_not_b32_e32 v12, v14
	v_cmp_gt_i32_e64 s10, 0, v14
	s_delay_alu instid0(VALU_DEP_4) | instskip(NEXT) | instid1(VALU_DEP_3)
	v_and_b32_e32 v10, v10, v13
	v_ashrrev_i32_e32 v16, 31, v12
	v_dual_mov_b32 v12, v26 :: v_dual_mov_b32 v13, v27
	s_delay_alu instid0(VALU_DEP_3)
	v_and_b32_e32 v18, v10, v15
	v_mov_b32_e32 v14, v24
	v_not_b32_e32 v11, v17
	v_cmp_gt_i32_e32 vcc_lo, 0, v17
	v_xor_b32_e32 v22, s10, v16
	v_mov_b32_e32 v15, v25
	s_delay_alu instid0(VALU_DEP_4) | instskip(NEXT) | instid1(VALU_DEP_1)
	v_ashrrev_i32_e32 v11, 31, v11
	v_xor_b32_e32 v17, vcc_lo, v11
	v_dual_mov_b32 v10, v28 :: v_dual_mov_b32 v11, v29
	s_delay_alu instid0(VALU_DEP_2) | instskip(SKIP_2) | instid1(VALU_DEP_3)
	v_and_b32_e32 v23, v18, v17
	v_dual_mov_b32 v19, v5 :: v_dual_mov_b32 v18, v4
	v_dual_mov_b32 v17, v7 :: v_dual_mov_b32 v16, v6
	v_dual_mov_b32 v23, v1 :: v_dual_and_b32 v2, v23, v22
	v_mov_b32_e32 v22, v0
	v_dual_mov_b32 v3, s12 :: v_dual_and_b32 v0, 0xff, v30
	s_delay_alu instid0(VALU_DEP_3) | instskip(SKIP_2) | instid1(VALU_DEP_4)
	v_mbcnt_lo_u32_b32 v24, v2, 0
	v_cmp_ne_u32_e64 s10, 0, v2
	v_mov_b32_e32 v5, s16
	v_mad_u32_u24 v0, v0, 10, v44
	v_mov_b32_e32 v4, s13
	v_cmp_eq_u32_e32 vcc_lo, 0, v24
	v_mov_b32_e32 v6, s17
	ds_store_2addr_b64 v39, v[3:4], v[5:6] offset0:5 offset1:6
	ds_store_2addr_b64 v43, v[3:4], v[5:6] offset0:2 offset1:3
	v_lshl_add_u32 v25, v0, 2, 40
	s_and_b32 s22, s10, vcc_lo
	s_waitcnt lgkmcnt(0)
	s_barrier
	buffer_gl0_inv
	; wave barrier
	s_and_saveexec_b32 s10, s22
	s_cbranch_execz .LBB326_6
; %bb.5:                                ;   in Loop: Header=BB326_4 Depth=2
	v_bcnt_u32_b32 v0, v2, 0
	ds_store_b32 v25, v0
.LBB326_6:                              ;   in Loop: Header=BB326_4 Depth=2
	s_or_b32 exec_lo, exec_lo, s10
	v_lshrrev_b64 v[0:1], s20, v[22:23]
	; wave barrier
	s_delay_alu instid0(VALU_DEP_1)
	v_and_b32_e32 v2, 1, v0
	v_lshlrev_b32_e32 v3, 30, v0
	v_lshlrev_b32_e32 v4, 29, v0
	;; [unrolled: 1-line block ×4, first 2 shown]
	v_add_co_u32 v2, s10, v2, -1
	s_delay_alu instid0(VALU_DEP_1)
	v_cndmask_b32_e64 v6, 0, 1, s10
	v_not_b32_e32 v28, v3
	v_cmp_gt_i32_e64 s10, 0, v3
	v_not_b32_e32 v3, v4
	v_lshlrev_b32_e32 v26, 26, v0
	v_cmp_ne_u32_e32 vcc_lo, 0, v6
	v_ashrrev_i32_e32 v6, 31, v28
	v_lshlrev_b32_e32 v27, 25, v0
	v_ashrrev_i32_e32 v3, 31, v3
	v_and_b32_e32 v1, 0xff, v0
	v_xor_b32_e32 v2, vcc_lo, v2
	v_cmp_gt_i32_e32 vcc_lo, 0, v4
	v_not_b32_e32 v4, v5
	v_xor_b32_e32 v6, s10, v6
	v_cmp_gt_i32_e64 s10, 0, v5
	v_and_b32_e32 v2, exec_lo, v2
	v_not_b32_e32 v5, v7
	v_ashrrev_i32_e32 v4, 31, v4
	v_xor_b32_e32 v3, vcc_lo, v3
	v_cmp_gt_i32_e32 vcc_lo, 0, v7
	v_and_b32_e32 v2, v2, v6
	v_not_b32_e32 v6, v26
	v_ashrrev_i32_e32 v5, 31, v5
	v_xor_b32_e32 v4, s10, v4
	v_lshlrev_b32_e32 v0, 24, v0
	v_and_b32_e32 v2, v2, v3
	v_cmp_gt_i32_e64 s10, 0, v26
	v_not_b32_e32 v3, v27
	v_ashrrev_i32_e32 v6, 31, v6
	v_xor_b32_e32 v5, vcc_lo, v5
	v_and_b32_e32 v2, v2, v4
	v_cmp_gt_i32_e32 vcc_lo, 0, v27
	v_not_b32_e32 v4, v0
	v_ashrrev_i32_e32 v3, 31, v3
	v_xor_b32_e32 v6, s10, v6
	v_and_b32_e32 v2, v2, v5
	v_mul_u32_u24_e32 v1, 10, v1
	v_cmp_gt_i32_e64 s10, 0, v0
	v_ashrrev_i32_e32 v0, 31, v4
	v_xor_b32_e32 v3, vcc_lo, v3
	v_and_b32_e32 v2, v2, v6
	v_add_lshl_u32 v1, v1, v44, 2
	s_delay_alu instid0(VALU_DEP_4) | instskip(NEXT) | instid1(VALU_DEP_3)
	v_xor_b32_e32 v0, s10, v0
	v_and_b32_e32 v2, v2, v3
	ds_load_b32 v26, v1 offset:40
	v_add_nc_u32_e32 v28, 40, v1
	; wave barrier
	v_and_b32_e32 v0, v2, v0
	s_delay_alu instid0(VALU_DEP_1) | instskip(SKIP_1) | instid1(VALU_DEP_2)
	v_mbcnt_lo_u32_b32 v27, v0, 0
	v_cmp_ne_u32_e64 s10, 0, v0
	v_cmp_eq_u32_e32 vcc_lo, 0, v27
	s_delay_alu instid0(VALU_DEP_2) | instskip(NEXT) | instid1(SALU_CYCLE_1)
	s_and_b32 s22, s10, vcc_lo
	s_and_saveexec_b32 s10, s22
	s_cbranch_execz .LBB326_8
; %bb.7:                                ;   in Loop: Header=BB326_4 Depth=2
	s_waitcnt lgkmcnt(0)
	v_bcnt_u32_b32 v0, v0, v26
	ds_store_b32 v28, v0
.LBB326_8:                              ;   in Loop: Header=BB326_4 Depth=2
	s_or_b32 exec_lo, exec_lo, s10
	v_lshrrev_b64 v[0:1], s20, v[20:21]
	; wave barrier
	s_delay_alu instid0(VALU_DEP_1)
	v_and_b32_e32 v2, 1, v0
	v_lshlrev_b32_e32 v3, 30, v0
	v_lshlrev_b32_e32 v4, 29, v0
	;; [unrolled: 1-line block ×4, first 2 shown]
	v_add_co_u32 v2, s10, v2, -1
	s_delay_alu instid0(VALU_DEP_1)
	v_cndmask_b32_e64 v6, 0, 1, s10
	v_not_b32_e32 v31, v3
	v_cmp_gt_i32_e64 s10, 0, v3
	v_not_b32_e32 v3, v4
	v_lshlrev_b32_e32 v29, 26, v0
	v_cmp_ne_u32_e32 vcc_lo, 0, v6
	v_ashrrev_i32_e32 v6, 31, v31
	v_lshlrev_b32_e32 v30, 25, v0
	v_ashrrev_i32_e32 v3, 31, v3
	v_and_b32_e32 v1, 0xff, v0
	v_xor_b32_e32 v2, vcc_lo, v2
	v_cmp_gt_i32_e32 vcc_lo, 0, v4
	v_not_b32_e32 v4, v5
	v_xor_b32_e32 v6, s10, v6
	v_cmp_gt_i32_e64 s10, 0, v5
	v_and_b32_e32 v2, exec_lo, v2
	v_not_b32_e32 v5, v7
	v_ashrrev_i32_e32 v4, 31, v4
	v_xor_b32_e32 v3, vcc_lo, v3
	v_cmp_gt_i32_e32 vcc_lo, 0, v7
	v_and_b32_e32 v2, v2, v6
	v_not_b32_e32 v6, v29
	v_ashrrev_i32_e32 v5, 31, v5
	v_xor_b32_e32 v4, s10, v4
	v_lshlrev_b32_e32 v0, 24, v0
	v_and_b32_e32 v2, v2, v3
	v_cmp_gt_i32_e64 s10, 0, v29
	v_not_b32_e32 v3, v30
	v_ashrrev_i32_e32 v6, 31, v6
	v_xor_b32_e32 v5, vcc_lo, v5
	v_and_b32_e32 v2, v2, v4
	v_cmp_gt_i32_e32 vcc_lo, 0, v30
	v_not_b32_e32 v4, v0
	v_ashrrev_i32_e32 v3, 31, v3
	v_xor_b32_e32 v6, s10, v6
	v_and_b32_e32 v2, v2, v5
	v_mul_u32_u24_e32 v1, 10, v1
	v_cmp_gt_i32_e64 s10, 0, v0
	v_ashrrev_i32_e32 v0, 31, v4
	v_xor_b32_e32 v3, vcc_lo, v3
	v_and_b32_e32 v2, v2, v6
	v_add_lshl_u32 v1, v1, v44, 2
	s_delay_alu instid0(VALU_DEP_4) | instskip(NEXT) | instid1(VALU_DEP_3)
	v_xor_b32_e32 v0, s10, v0
	v_and_b32_e32 v2, v2, v3
	ds_load_b32 v29, v1 offset:40
	v_add_nc_u32_e32 v31, 40, v1
	; wave barrier
	v_and_b32_e32 v0, v2, v0
	s_delay_alu instid0(VALU_DEP_1) | instskip(SKIP_1) | instid1(VALU_DEP_2)
	v_mbcnt_lo_u32_b32 v30, v0, 0
	v_cmp_ne_u32_e64 s10, 0, v0
	v_cmp_eq_u32_e32 vcc_lo, 0, v30
	s_delay_alu instid0(VALU_DEP_2) | instskip(NEXT) | instid1(SALU_CYCLE_1)
	s_and_b32 s22, s10, vcc_lo
	s_and_saveexec_b32 s10, s22
	s_cbranch_execz .LBB326_10
; %bb.9:                                ;   in Loop: Header=BB326_4 Depth=2
	s_waitcnt lgkmcnt(0)
	v_bcnt_u32_b32 v0, v0, v29
	ds_store_b32 v31, v0
.LBB326_10:                             ;   in Loop: Header=BB326_4 Depth=2
	s_or_b32 exec_lo, exec_lo, s10
	v_lshrrev_b64 v[0:1], s20, v[18:19]
	; wave barrier
	s_delay_alu instid0(VALU_DEP_1)
	v_and_b32_e32 v2, 1, v0
	v_lshlrev_b32_e32 v3, 30, v0
	v_lshlrev_b32_e32 v4, 29, v0
	;; [unrolled: 1-line block ×4, first 2 shown]
	v_add_co_u32 v2, s10, v2, -1
	s_delay_alu instid0(VALU_DEP_1)
	v_cndmask_b32_e64 v6, 0, 1, s10
	v_not_b32_e32 v52, v3
	v_cmp_gt_i32_e64 s10, 0, v3
	v_not_b32_e32 v3, v4
	v_lshlrev_b32_e32 v50, 26, v0
	v_cmp_ne_u32_e32 vcc_lo, 0, v6
	v_ashrrev_i32_e32 v6, 31, v52
	v_lshlrev_b32_e32 v51, 25, v0
	v_ashrrev_i32_e32 v3, 31, v3
	v_and_b32_e32 v1, 0xff, v0
	v_xor_b32_e32 v2, vcc_lo, v2
	v_cmp_gt_i32_e32 vcc_lo, 0, v4
	v_not_b32_e32 v4, v5
	v_xor_b32_e32 v6, s10, v6
	v_cmp_gt_i32_e64 s10, 0, v5
	v_and_b32_e32 v2, exec_lo, v2
	v_not_b32_e32 v5, v7
	v_ashrrev_i32_e32 v4, 31, v4
	v_xor_b32_e32 v3, vcc_lo, v3
	v_cmp_gt_i32_e32 vcc_lo, 0, v7
	v_and_b32_e32 v2, v2, v6
	v_not_b32_e32 v6, v50
	v_ashrrev_i32_e32 v5, 31, v5
	v_xor_b32_e32 v4, s10, v4
	v_lshlrev_b32_e32 v0, 24, v0
	v_and_b32_e32 v2, v2, v3
	v_cmp_gt_i32_e64 s10, 0, v50
	v_not_b32_e32 v3, v51
	v_ashrrev_i32_e32 v6, 31, v6
	v_xor_b32_e32 v5, vcc_lo, v5
	v_and_b32_e32 v2, v2, v4
	v_cmp_gt_i32_e32 vcc_lo, 0, v51
	v_not_b32_e32 v4, v0
	v_ashrrev_i32_e32 v3, 31, v3
	v_xor_b32_e32 v6, s10, v6
	v_and_b32_e32 v2, v2, v5
	v_mul_u32_u24_e32 v1, 10, v1
	v_cmp_gt_i32_e64 s10, 0, v0
	v_ashrrev_i32_e32 v0, 31, v4
	v_xor_b32_e32 v3, vcc_lo, v3
	v_and_b32_e32 v2, v2, v6
	v_add_lshl_u32 v1, v1, v44, 2
	s_delay_alu instid0(VALU_DEP_4) | instskip(NEXT) | instid1(VALU_DEP_3)
	v_xor_b32_e32 v0, s10, v0
	v_and_b32_e32 v2, v2, v3
	ds_load_b32 v50, v1 offset:40
	v_add_nc_u32_e32 v52, 40, v1
	; wave barrier
	v_and_b32_e32 v0, v2, v0
	s_delay_alu instid0(VALU_DEP_1) | instskip(SKIP_1) | instid1(VALU_DEP_2)
	v_mbcnt_lo_u32_b32 v51, v0, 0
	v_cmp_ne_u32_e64 s10, 0, v0
	v_cmp_eq_u32_e32 vcc_lo, 0, v51
	s_delay_alu instid0(VALU_DEP_2) | instskip(NEXT) | instid1(SALU_CYCLE_1)
	s_and_b32 s22, s10, vcc_lo
	s_and_saveexec_b32 s10, s22
	s_cbranch_execz .LBB326_12
; %bb.11:                               ;   in Loop: Header=BB326_4 Depth=2
	s_waitcnt lgkmcnt(0)
	v_bcnt_u32_b32 v0, v0, v50
	ds_store_b32 v52, v0
.LBB326_12:                             ;   in Loop: Header=BB326_4 Depth=2
	s_or_b32 exec_lo, exec_lo, s10
	v_lshrrev_b64 v[0:1], s20, v[16:17]
	; wave barrier
	s_delay_alu instid0(VALU_DEP_1)
	v_and_b32_e32 v2, 1, v0
	v_lshlrev_b32_e32 v3, 30, v0
	v_lshlrev_b32_e32 v4, 29, v0
	;; [unrolled: 1-line block ×4, first 2 shown]
	v_add_co_u32 v2, s10, v2, -1
	s_delay_alu instid0(VALU_DEP_1)
	v_cndmask_b32_e64 v6, 0, 1, s10
	v_not_b32_e32 v55, v3
	v_cmp_gt_i32_e64 s10, 0, v3
	v_not_b32_e32 v3, v4
	v_lshlrev_b32_e32 v53, 26, v0
	v_cmp_ne_u32_e32 vcc_lo, 0, v6
	v_ashrrev_i32_e32 v6, 31, v55
	v_lshlrev_b32_e32 v54, 25, v0
	v_ashrrev_i32_e32 v3, 31, v3
	v_and_b32_e32 v1, 0xff, v0
	v_xor_b32_e32 v2, vcc_lo, v2
	v_cmp_gt_i32_e32 vcc_lo, 0, v4
	v_not_b32_e32 v4, v5
	v_xor_b32_e32 v6, s10, v6
	v_cmp_gt_i32_e64 s10, 0, v5
	v_and_b32_e32 v2, exec_lo, v2
	v_not_b32_e32 v5, v7
	v_ashrrev_i32_e32 v4, 31, v4
	v_xor_b32_e32 v3, vcc_lo, v3
	v_cmp_gt_i32_e32 vcc_lo, 0, v7
	v_and_b32_e32 v2, v2, v6
	v_not_b32_e32 v6, v53
	v_ashrrev_i32_e32 v5, 31, v5
	v_xor_b32_e32 v4, s10, v4
	v_lshlrev_b32_e32 v0, 24, v0
	v_and_b32_e32 v2, v2, v3
	v_cmp_gt_i32_e64 s10, 0, v53
	v_not_b32_e32 v3, v54
	v_ashrrev_i32_e32 v6, 31, v6
	v_xor_b32_e32 v5, vcc_lo, v5
	v_and_b32_e32 v2, v2, v4
	v_cmp_gt_i32_e32 vcc_lo, 0, v54
	v_not_b32_e32 v4, v0
	v_ashrrev_i32_e32 v3, 31, v3
	v_xor_b32_e32 v6, s10, v6
	v_and_b32_e32 v2, v2, v5
	v_mul_u32_u24_e32 v1, 10, v1
	v_cmp_gt_i32_e64 s10, 0, v0
	v_ashrrev_i32_e32 v0, 31, v4
	v_xor_b32_e32 v3, vcc_lo, v3
	v_and_b32_e32 v2, v2, v6
	v_add_lshl_u32 v1, v1, v44, 2
	s_delay_alu instid0(VALU_DEP_4) | instskip(NEXT) | instid1(VALU_DEP_3)
	v_xor_b32_e32 v0, s10, v0
	v_and_b32_e32 v2, v2, v3
	ds_load_b32 v53, v1 offset:40
	v_add_nc_u32_e32 v55, 40, v1
	; wave barrier
	v_and_b32_e32 v0, v2, v0
	s_delay_alu instid0(VALU_DEP_1) | instskip(SKIP_1) | instid1(VALU_DEP_2)
	v_mbcnt_lo_u32_b32 v54, v0, 0
	v_cmp_ne_u32_e64 s10, 0, v0
	v_cmp_eq_u32_e32 vcc_lo, 0, v54
	s_delay_alu instid0(VALU_DEP_2) | instskip(NEXT) | instid1(SALU_CYCLE_1)
	s_and_b32 s22, s10, vcc_lo
	s_and_saveexec_b32 s10, s22
	s_cbranch_execz .LBB326_14
; %bb.13:                               ;   in Loop: Header=BB326_4 Depth=2
	s_waitcnt lgkmcnt(0)
	v_bcnt_u32_b32 v0, v0, v53
	ds_store_b32 v55, v0
.LBB326_14:                             ;   in Loop: Header=BB326_4 Depth=2
	s_or_b32 exec_lo, exec_lo, s10
	v_lshrrev_b64 v[0:1], s20, v[14:15]
	; wave barrier
	s_delay_alu instid0(VALU_DEP_1)
	v_and_b32_e32 v2, 1, v0
	v_lshlrev_b32_e32 v3, 30, v0
	v_lshlrev_b32_e32 v4, 29, v0
	;; [unrolled: 1-line block ×4, first 2 shown]
	v_add_co_u32 v2, s10, v2, -1
	s_delay_alu instid0(VALU_DEP_1)
	v_cndmask_b32_e64 v6, 0, 1, s10
	v_not_b32_e32 v58, v3
	v_cmp_gt_i32_e64 s10, 0, v3
	v_not_b32_e32 v3, v4
	v_lshlrev_b32_e32 v56, 26, v0
	v_cmp_ne_u32_e32 vcc_lo, 0, v6
	v_ashrrev_i32_e32 v6, 31, v58
	v_lshlrev_b32_e32 v57, 25, v0
	v_ashrrev_i32_e32 v3, 31, v3
	v_and_b32_e32 v1, 0xff, v0
	v_xor_b32_e32 v2, vcc_lo, v2
	v_cmp_gt_i32_e32 vcc_lo, 0, v4
	v_not_b32_e32 v4, v5
	v_xor_b32_e32 v6, s10, v6
	v_cmp_gt_i32_e64 s10, 0, v5
	v_and_b32_e32 v2, exec_lo, v2
	v_not_b32_e32 v5, v7
	v_ashrrev_i32_e32 v4, 31, v4
	v_xor_b32_e32 v3, vcc_lo, v3
	v_cmp_gt_i32_e32 vcc_lo, 0, v7
	v_and_b32_e32 v2, v2, v6
	v_not_b32_e32 v6, v56
	v_ashrrev_i32_e32 v5, 31, v5
	v_xor_b32_e32 v4, s10, v4
	v_lshlrev_b32_e32 v0, 24, v0
	v_and_b32_e32 v2, v2, v3
	v_cmp_gt_i32_e64 s10, 0, v56
	v_not_b32_e32 v3, v57
	v_ashrrev_i32_e32 v6, 31, v6
	v_xor_b32_e32 v5, vcc_lo, v5
	v_and_b32_e32 v2, v2, v4
	v_cmp_gt_i32_e32 vcc_lo, 0, v57
	v_not_b32_e32 v4, v0
	v_ashrrev_i32_e32 v3, 31, v3
	v_xor_b32_e32 v6, s10, v6
	v_and_b32_e32 v2, v2, v5
	v_mul_u32_u24_e32 v1, 10, v1
	v_cmp_gt_i32_e64 s10, 0, v0
	v_ashrrev_i32_e32 v0, 31, v4
	v_xor_b32_e32 v3, vcc_lo, v3
	v_and_b32_e32 v2, v2, v6
	v_add_lshl_u32 v1, v1, v44, 2
	s_delay_alu instid0(VALU_DEP_4) | instskip(NEXT) | instid1(VALU_DEP_3)
	v_xor_b32_e32 v0, s10, v0
	v_and_b32_e32 v2, v2, v3
	ds_load_b32 v56, v1 offset:40
	v_add_nc_u32_e32 v58, 40, v1
	; wave barrier
	v_and_b32_e32 v0, v2, v0
	s_delay_alu instid0(VALU_DEP_1) | instskip(SKIP_1) | instid1(VALU_DEP_2)
	v_mbcnt_lo_u32_b32 v57, v0, 0
	v_cmp_ne_u32_e64 s10, 0, v0
	v_cmp_eq_u32_e32 vcc_lo, 0, v57
	s_delay_alu instid0(VALU_DEP_2) | instskip(NEXT) | instid1(SALU_CYCLE_1)
	s_and_b32 s22, s10, vcc_lo
	s_and_saveexec_b32 s10, s22
	s_cbranch_execz .LBB326_16
; %bb.15:                               ;   in Loop: Header=BB326_4 Depth=2
	s_waitcnt lgkmcnt(0)
	v_bcnt_u32_b32 v0, v0, v56
	ds_store_b32 v58, v0
.LBB326_16:                             ;   in Loop: Header=BB326_4 Depth=2
	s_or_b32 exec_lo, exec_lo, s10
	v_lshrrev_b64 v[0:1], s20, v[12:13]
	; wave barrier
	s_delay_alu instid0(VALU_DEP_1)
	v_and_b32_e32 v2, 1, v0
	v_lshlrev_b32_e32 v3, 30, v0
	v_lshlrev_b32_e32 v4, 29, v0
	;; [unrolled: 1-line block ×4, first 2 shown]
	v_add_co_u32 v2, s10, v2, -1
	s_delay_alu instid0(VALU_DEP_1)
	v_cndmask_b32_e64 v6, 0, 1, s10
	v_not_b32_e32 v61, v3
	v_cmp_gt_i32_e64 s10, 0, v3
	v_not_b32_e32 v3, v4
	v_lshlrev_b32_e32 v59, 26, v0
	v_cmp_ne_u32_e32 vcc_lo, 0, v6
	v_ashrrev_i32_e32 v6, 31, v61
	v_lshlrev_b32_e32 v60, 25, v0
	v_ashrrev_i32_e32 v3, 31, v3
	v_and_b32_e32 v1, 0xff, v0
	v_xor_b32_e32 v2, vcc_lo, v2
	v_cmp_gt_i32_e32 vcc_lo, 0, v4
	v_not_b32_e32 v4, v5
	v_xor_b32_e32 v6, s10, v6
	v_cmp_gt_i32_e64 s10, 0, v5
	v_and_b32_e32 v2, exec_lo, v2
	v_not_b32_e32 v5, v7
	v_ashrrev_i32_e32 v4, 31, v4
	v_xor_b32_e32 v3, vcc_lo, v3
	v_cmp_gt_i32_e32 vcc_lo, 0, v7
	v_and_b32_e32 v2, v2, v6
	v_not_b32_e32 v6, v59
	v_ashrrev_i32_e32 v5, 31, v5
	v_xor_b32_e32 v4, s10, v4
	v_lshlrev_b32_e32 v0, 24, v0
	v_and_b32_e32 v2, v2, v3
	v_cmp_gt_i32_e64 s10, 0, v59
	v_not_b32_e32 v3, v60
	v_ashrrev_i32_e32 v6, 31, v6
	v_xor_b32_e32 v5, vcc_lo, v5
	v_and_b32_e32 v2, v2, v4
	v_cmp_gt_i32_e32 vcc_lo, 0, v60
	v_not_b32_e32 v4, v0
	v_ashrrev_i32_e32 v3, 31, v3
	v_xor_b32_e32 v6, s10, v6
	v_and_b32_e32 v2, v2, v5
	v_mul_u32_u24_e32 v1, 10, v1
	v_cmp_gt_i32_e64 s10, 0, v0
	v_ashrrev_i32_e32 v0, 31, v4
	v_xor_b32_e32 v3, vcc_lo, v3
	v_and_b32_e32 v2, v2, v6
	v_add_lshl_u32 v1, v1, v44, 2
	s_delay_alu instid0(VALU_DEP_4) | instskip(NEXT) | instid1(VALU_DEP_3)
	v_xor_b32_e32 v0, s10, v0
	v_and_b32_e32 v2, v2, v3
	ds_load_b32 v59, v1 offset:40
	v_add_nc_u32_e32 v61, 40, v1
	; wave barrier
	v_and_b32_e32 v0, v2, v0
	s_delay_alu instid0(VALU_DEP_1) | instskip(SKIP_1) | instid1(VALU_DEP_2)
	v_mbcnt_lo_u32_b32 v60, v0, 0
	v_cmp_ne_u32_e64 s10, 0, v0
	v_cmp_eq_u32_e32 vcc_lo, 0, v60
	s_delay_alu instid0(VALU_DEP_2) | instskip(NEXT) | instid1(SALU_CYCLE_1)
	s_and_b32 s22, s10, vcc_lo
	s_and_saveexec_b32 s10, s22
	s_cbranch_execz .LBB326_18
; %bb.17:                               ;   in Loop: Header=BB326_4 Depth=2
	s_waitcnt lgkmcnt(0)
	v_bcnt_u32_b32 v0, v0, v59
	ds_store_b32 v61, v0
.LBB326_18:                             ;   in Loop: Header=BB326_4 Depth=2
	s_or_b32 exec_lo, exec_lo, s10
	v_lshrrev_b64 v[0:1], s20, v[10:11]
	; wave barrier
	s_delay_alu instid0(VALU_DEP_1)
	v_and_b32_e32 v2, 1, v0
	v_lshlrev_b32_e32 v3, 30, v0
	v_lshlrev_b32_e32 v4, 29, v0
	;; [unrolled: 1-line block ×4, first 2 shown]
	v_add_co_u32 v2, s10, v2, -1
	s_delay_alu instid0(VALU_DEP_1)
	v_cndmask_b32_e64 v6, 0, 1, s10
	v_not_b32_e32 v64, v3
	v_cmp_gt_i32_e64 s10, 0, v3
	v_not_b32_e32 v3, v4
	v_lshlrev_b32_e32 v62, 26, v0
	v_cmp_ne_u32_e32 vcc_lo, 0, v6
	v_ashrrev_i32_e32 v6, 31, v64
	v_lshlrev_b32_e32 v63, 25, v0
	v_ashrrev_i32_e32 v3, 31, v3
	v_and_b32_e32 v1, 0xff, v0
	v_xor_b32_e32 v2, vcc_lo, v2
	v_cmp_gt_i32_e32 vcc_lo, 0, v4
	v_not_b32_e32 v4, v5
	v_xor_b32_e32 v6, s10, v6
	v_cmp_gt_i32_e64 s10, 0, v5
	v_and_b32_e32 v2, exec_lo, v2
	v_not_b32_e32 v5, v7
	v_ashrrev_i32_e32 v4, 31, v4
	v_xor_b32_e32 v3, vcc_lo, v3
	v_cmp_gt_i32_e32 vcc_lo, 0, v7
	v_and_b32_e32 v2, v2, v6
	v_not_b32_e32 v6, v62
	v_ashrrev_i32_e32 v5, 31, v5
	v_xor_b32_e32 v4, s10, v4
	v_lshlrev_b32_e32 v0, 24, v0
	v_and_b32_e32 v2, v2, v3
	v_cmp_gt_i32_e64 s10, 0, v62
	v_not_b32_e32 v3, v63
	v_ashrrev_i32_e32 v6, 31, v6
	v_xor_b32_e32 v5, vcc_lo, v5
	v_and_b32_e32 v2, v2, v4
	v_cmp_gt_i32_e32 vcc_lo, 0, v63
	v_not_b32_e32 v4, v0
	v_ashrrev_i32_e32 v3, 31, v3
	v_xor_b32_e32 v6, s10, v6
	v_and_b32_e32 v2, v2, v5
	v_mul_u32_u24_e32 v1, 10, v1
	v_cmp_gt_i32_e64 s10, 0, v0
	v_ashrrev_i32_e32 v0, 31, v4
	v_xor_b32_e32 v3, vcc_lo, v3
	v_and_b32_e32 v2, v2, v6
	v_add_lshl_u32 v1, v1, v44, 2
	s_delay_alu instid0(VALU_DEP_4) | instskip(NEXT) | instid1(VALU_DEP_3)
	v_xor_b32_e32 v0, s10, v0
	v_and_b32_e32 v2, v2, v3
	ds_load_b32 v62, v1 offset:40
	v_add_nc_u32_e32 v64, 40, v1
	; wave barrier
	v_and_b32_e32 v0, v2, v0
	s_delay_alu instid0(VALU_DEP_1) | instskip(SKIP_1) | instid1(VALU_DEP_2)
	v_mbcnt_lo_u32_b32 v63, v0, 0
	v_cmp_ne_u32_e64 s10, 0, v0
	v_cmp_eq_u32_e32 vcc_lo, 0, v63
	s_delay_alu instid0(VALU_DEP_2) | instskip(NEXT) | instid1(SALU_CYCLE_1)
	s_and_b32 s22, s10, vcc_lo
	s_and_saveexec_b32 s10, s22
	s_cbranch_execz .LBB326_20
; %bb.19:                               ;   in Loop: Header=BB326_4 Depth=2
	s_waitcnt lgkmcnt(0)
	v_bcnt_u32_b32 v0, v0, v62
	ds_store_b32 v64, v0
.LBB326_20:                             ;   in Loop: Header=BB326_4 Depth=2
	s_or_b32 exec_lo, exec_lo, s10
	; wave barrier
	s_waitcnt lgkmcnt(0)
	s_barrier
	buffer_gl0_inv
	ds_load_2addr_b64 v[4:7], v39 offset0:5 offset1:6
	ds_load_2addr_b64 v[0:3], v43 offset0:2 offset1:3
	s_waitcnt lgkmcnt(1)
	v_add_nc_u32_e32 v65, v5, v4
	s_delay_alu instid0(VALU_DEP_1) | instskip(SKIP_1) | instid1(VALU_DEP_1)
	v_add3_u32 v65, v65, v6, v7
	s_waitcnt lgkmcnt(0)
	v_add3_u32 v65, v65, v0, v1
	s_delay_alu instid0(VALU_DEP_1) | instskip(NEXT) | instid1(VALU_DEP_1)
	v_add3_u32 v3, v65, v2, v3
	v_mov_b32_dpp v65, v3 row_shr:1 row_mask:0xf bank_mask:0xf
	s_delay_alu instid0(VALU_DEP_1) | instskip(NEXT) | instid1(VALU_DEP_1)
	v_cndmask_b32_e64 v65, v65, 0, s0
	v_add_nc_u32_e32 v3, v65, v3
	s_delay_alu instid0(VALU_DEP_1) | instskip(NEXT) | instid1(VALU_DEP_1)
	v_mov_b32_dpp v65, v3 row_shr:2 row_mask:0xf bank_mask:0xf
	v_cndmask_b32_e64 v65, 0, v65, s1
	s_delay_alu instid0(VALU_DEP_1) | instskip(NEXT) | instid1(VALU_DEP_1)
	v_add_nc_u32_e32 v3, v3, v65
	v_mov_b32_dpp v65, v3 row_shr:4 row_mask:0xf bank_mask:0xf
	s_delay_alu instid0(VALU_DEP_1) | instskip(NEXT) | instid1(VALU_DEP_1)
	v_cndmask_b32_e64 v65, 0, v65, s2
	v_add_nc_u32_e32 v3, v3, v65
	s_delay_alu instid0(VALU_DEP_1) | instskip(NEXT) | instid1(VALU_DEP_1)
	v_mov_b32_dpp v65, v3 row_shr:8 row_mask:0xf bank_mask:0xf
	v_cndmask_b32_e64 v65, 0, v65, s3
	s_delay_alu instid0(VALU_DEP_1) | instskip(SKIP_3) | instid1(VALU_DEP_1)
	v_add_nc_u32_e32 v3, v3, v65
	ds_swizzle_b32 v65, v3 offset:swizzle(BROADCAST,32,15)
	s_waitcnt lgkmcnt(0)
	v_cndmask_b32_e64 v65, v65, 0, s4
	v_add_nc_u32_e32 v3, v3, v65
	s_and_saveexec_b32 s10, s5
	s_cbranch_execz .LBB326_22
; %bb.21:                               ;   in Loop: Header=BB326_4 Depth=2
	ds_store_b32 v46, v3
.LBB326_22:                             ;   in Loop: Header=BB326_4 Depth=2
	s_or_b32 exec_lo, exec_lo, s10
	s_waitcnt lgkmcnt(0)
	s_barrier
	buffer_gl0_inv
	s_and_saveexec_b32 s10, s6
	s_cbranch_execz .LBB326_24
; %bb.23:                               ;   in Loop: Header=BB326_4 Depth=2
	ds_load_b32 v65, v47
	s_waitcnt lgkmcnt(0)
	v_mov_b32_dpp v66, v65 row_shr:1 row_mask:0xf bank_mask:0xf
	s_delay_alu instid0(VALU_DEP_1) | instskip(NEXT) | instid1(VALU_DEP_1)
	v_cndmask_b32_e64 v66, v66, 0, s0
	v_add_nc_u32_e32 v65, v66, v65
	s_delay_alu instid0(VALU_DEP_1) | instskip(NEXT) | instid1(VALU_DEP_1)
	v_mov_b32_dpp v66, v65 row_shr:2 row_mask:0xf bank_mask:0xf
	v_cndmask_b32_e64 v66, 0, v66, s1
	s_delay_alu instid0(VALU_DEP_1) | instskip(NEXT) | instid1(VALU_DEP_1)
	v_add_nc_u32_e32 v65, v65, v66
	v_mov_b32_dpp v66, v65 row_shr:4 row_mask:0xf bank_mask:0xf
	s_delay_alu instid0(VALU_DEP_1) | instskip(NEXT) | instid1(VALU_DEP_1)
	v_cndmask_b32_e64 v66, 0, v66, s2
	v_add_nc_u32_e32 v65, v65, v66
	s_delay_alu instid0(VALU_DEP_1) | instskip(NEXT) | instid1(VALU_DEP_1)
	v_mov_b32_dpp v66, v65 row_shr:8 row_mask:0xf bank_mask:0xf
	v_cndmask_b32_e64 v66, 0, v66, s3
	s_delay_alu instid0(VALU_DEP_1)
	v_add_nc_u32_e32 v65, v65, v66
	ds_store_b32 v47, v65
.LBB326_24:                             ;   in Loop: Header=BB326_4 Depth=2
	s_or_b32 exec_lo, exec_lo, s10
	v_mov_b32_e32 v65, 0
	s_waitcnt lgkmcnt(0)
	s_barrier
	buffer_gl0_inv
	s_and_saveexec_b32 s10, s7
	s_cbranch_execz .LBB326_26
; %bb.25:                               ;   in Loop: Header=BB326_4 Depth=2
	ds_load_b32 v65, v48
.LBB326_26:                             ;   in Loop: Header=BB326_4 Depth=2
	s_or_b32 exec_lo, exec_lo, s10
	s_waitcnt lgkmcnt(0)
	v_add_nc_u32_e32 v3, v65, v3
	s_cmp_gt_u32 s20, 55
	ds_bpermute_b32 v3, v45, v3
	s_waitcnt lgkmcnt(0)
	v_cndmask_b32_e64 v3, v3, v65, s8
	s_delay_alu instid0(VALU_DEP_1) | instskip(NEXT) | instid1(VALU_DEP_1)
	v_cndmask_b32_e64 v3, v3, 0, s9
	v_add_nc_u32_e32 v4, v3, v4
	s_delay_alu instid0(VALU_DEP_1) | instskip(NEXT) | instid1(VALU_DEP_1)
	v_add_nc_u32_e32 v5, v4, v5
	v_add_nc_u32_e32 v6, v5, v6
	s_delay_alu instid0(VALU_DEP_1) | instskip(NEXT) | instid1(VALU_DEP_1)
	v_add_nc_u32_e32 v65, v6, v7
	;; [unrolled: 3-line block ×3, first 2 shown]
	v_add_nc_u32_e32 v1, v0, v2
	ds_store_2addr_b64 v39, v[3:4], v[5:6] offset0:5 offset1:6
	ds_store_2addr_b64 v43, v[65:66], v[0:1] offset0:2 offset1:3
	s_waitcnt lgkmcnt(0)
	s_barrier
	buffer_gl0_inv
	ds_load_b32 v0, v25
	ds_load_b32 v1, v28
	;; [unrolled: 1-line block ×8, first 2 shown]
	s_waitcnt lgkmcnt(7)
	v_add_nc_u32_e32 v64, v0, v24
	s_waitcnt lgkmcnt(6)
	v_add3_u32 v61, v27, v26, v1
	s_waitcnt lgkmcnt(5)
	v_add3_u32 v58, v30, v29, v2
	;; [unrolled: 2-line block ×7, first 2 shown]
	s_cbranch_scc0 .LBB326_3
; %bb.27:                               ;   in Loop: Header=BB326_2 Depth=1
                                        ; implicit-def: $vgpr28_vgpr29
                                        ; implicit-def: $vgpr26_vgpr27
                                        ; implicit-def: $vgpr24_vgpr25
                                        ; implicit-def: $vgpr6_vgpr7
                                        ; implicit-def: $vgpr4_vgpr5
                                        ; implicit-def: $vgpr2_vgpr3
                                        ; implicit-def: $vgpr0_vgpr1
                                        ; implicit-def: $vgpr30_vgpr31
                                        ; implicit-def: $sgpr20_sgpr21
	s_branch .LBB326_1
.LBB326_28:
	s_add_u32 s0, s18, s14
	s_addc_u32 s1, s19, s15
	v_add_co_u32 v0, s2, s0, v32
	s_delay_alu instid0(VALU_DEP_1) | instskip(NEXT) | instid1(VALU_DEP_2)
	v_add_co_ci_u32_e64 v24, null, s1, 0, s2
	v_add_co_u32 v17, vcc_lo, 0x1000, v0
	s_delay_alu instid0(VALU_DEP_2)
	v_add_co_ci_u32_e32 v18, vcc_lo, 0, v24, vcc_lo
	v_add_co_u32 v19, vcc_lo, 0x2000, v0
	v_add_co_ci_u32_e32 v20, vcc_lo, 0, v24, vcc_lo
	v_add_co_u32 v21, vcc_lo, 0x3000, v0
	v_add_co_ci_u32_e32 v22, vcc_lo, 0, v24, vcc_lo
	v_add_co_u32 v23, vcc_lo, 0x4000, v0
	v_add_co_ci_u32_e32 v24, vcc_lo, 0, v24, vcc_lo
	s_clause 0x7
	global_store_b64 v32, v[13:14], s[0:1]
	global_store_b64 v32, v[15:16], s[0:1] offset:2560
	global_store_b64 v[17:18], v[9:10], off offset:1024
	global_store_b64 v[17:18], v[11:12], off offset:3584
	;; [unrolled: 1-line block ×6, first 2 shown]
	s_nop 0
	s_sendmsg sendmsg(MSG_DEALLOC_VGPRS)
	s_endpgm
	.section	.rodata,"a",@progbits
	.p2align	6, 0x0
	.amdhsa_kernel _Z16sort_keys_kernelI22helper_blocked_stripedxLj320ELj8ELj10EEvPKT0_PS1_
		.amdhsa_group_segment_fixed_size 21120
		.amdhsa_private_segment_fixed_size 0
		.amdhsa_kernarg_size 272
		.amdhsa_user_sgpr_count 15
		.amdhsa_user_sgpr_dispatch_ptr 0
		.amdhsa_user_sgpr_queue_ptr 0
		.amdhsa_user_sgpr_kernarg_segment_ptr 1
		.amdhsa_user_sgpr_dispatch_id 0
		.amdhsa_user_sgpr_private_segment_size 0
		.amdhsa_wavefront_size32 1
		.amdhsa_uses_dynamic_stack 0
		.amdhsa_enable_private_segment 0
		.amdhsa_system_sgpr_workgroup_id_x 1
		.amdhsa_system_sgpr_workgroup_id_y 0
		.amdhsa_system_sgpr_workgroup_id_z 0
		.amdhsa_system_sgpr_workgroup_info 0
		.amdhsa_system_vgpr_workitem_id 2
		.amdhsa_next_free_vgpr 67
		.amdhsa_next_free_sgpr 23
		.amdhsa_reserve_vcc 1
		.amdhsa_float_round_mode_32 0
		.amdhsa_float_round_mode_16_64 0
		.amdhsa_float_denorm_mode_32 3
		.amdhsa_float_denorm_mode_16_64 3
		.amdhsa_dx10_clamp 1
		.amdhsa_ieee_mode 1
		.amdhsa_fp16_overflow 0
		.amdhsa_workgroup_processor_mode 1
		.amdhsa_memory_ordered 1
		.amdhsa_forward_progress 0
		.amdhsa_shared_vgpr_count 0
		.amdhsa_exception_fp_ieee_invalid_op 0
		.amdhsa_exception_fp_denorm_src 0
		.amdhsa_exception_fp_ieee_div_zero 0
		.amdhsa_exception_fp_ieee_overflow 0
		.amdhsa_exception_fp_ieee_underflow 0
		.amdhsa_exception_fp_ieee_inexact 0
		.amdhsa_exception_int_div_zero 0
	.end_amdhsa_kernel
	.section	.text._Z16sort_keys_kernelI22helper_blocked_stripedxLj320ELj8ELj10EEvPKT0_PS1_,"axG",@progbits,_Z16sort_keys_kernelI22helper_blocked_stripedxLj320ELj8ELj10EEvPKT0_PS1_,comdat
.Lfunc_end326:
	.size	_Z16sort_keys_kernelI22helper_blocked_stripedxLj320ELj8ELj10EEvPKT0_PS1_, .Lfunc_end326-_Z16sort_keys_kernelI22helper_blocked_stripedxLj320ELj8ELj10EEvPKT0_PS1_
                                        ; -- End function
	.section	.AMDGPU.csdata,"",@progbits
; Kernel info:
; codeLenInByte = 4968
; NumSgprs: 25
; NumVgprs: 67
; ScratchSize: 0
; MemoryBound: 0
; FloatMode: 240
; IeeeMode: 1
; LDSByteSize: 21120 bytes/workgroup (compile time only)
; SGPRBlocks: 3
; VGPRBlocks: 8
; NumSGPRsForWavesPerEU: 25
; NumVGPRsForWavesPerEU: 67
; Occupancy: 15
; WaveLimiterHint : 1
; COMPUTE_PGM_RSRC2:SCRATCH_EN: 0
; COMPUTE_PGM_RSRC2:USER_SGPR: 15
; COMPUTE_PGM_RSRC2:TRAP_HANDLER: 0
; COMPUTE_PGM_RSRC2:TGID_X_EN: 1
; COMPUTE_PGM_RSRC2:TGID_Y_EN: 0
; COMPUTE_PGM_RSRC2:TGID_Z_EN: 0
; COMPUTE_PGM_RSRC2:TIDIG_COMP_CNT: 2
	.section	.text._Z17sort_pairs_kernelI22helper_blocked_stripedxLj320ELj8ELj10EEvPKT0_PS1_,"axG",@progbits,_Z17sort_pairs_kernelI22helper_blocked_stripedxLj320ELj8ELj10EEvPKT0_PS1_,comdat
	.protected	_Z17sort_pairs_kernelI22helper_blocked_stripedxLj320ELj8ELj10EEvPKT0_PS1_ ; -- Begin function _Z17sort_pairs_kernelI22helper_blocked_stripedxLj320ELj8ELj10EEvPKT0_PS1_
	.globl	_Z17sort_pairs_kernelI22helper_blocked_stripedxLj320ELj8ELj10EEvPKT0_PS1_
	.p2align	8
	.type	_Z17sort_pairs_kernelI22helper_blocked_stripedxLj320ELj8ELj10EEvPKT0_PS1_,@function
_Z17sort_pairs_kernelI22helper_blocked_stripedxLj320ELj8ELj10EEvPKT0_PS1_: ; @_Z17sort_pairs_kernelI22helper_blocked_stripedxLj320ELj8ELj10EEvPKT0_PS1_
; %bb.0:
	s_clause 0x1
	s_load_b128 s[16:19], s[0:1], 0x0
	s_load_b32 s9, s[0:1], 0x1c
	v_mbcnt_lo_u32_b32 v18, -1, 0
	s_mov_b32 s21, 0
	s_mul_i32 s20, s15, 0xa00
	v_bfe_u32 v19, v0, 10, 10
	s_lshl_b64 s[12:13], s[20:21], 3
	v_add_nc_u32_e32 v22, -1, v18
	v_and_b32_e32 v20, 15, v18
	v_and_b32_e32 v21, 16, v18
	s_mov_b32 s20, s21
	s_mov_b32 s14, s21
	v_cmp_gt_i32_e32 vcc_lo, 0, v22
	v_and_b32_e32 v17, 0x3ff, v0
	v_cmp_lt_u32_e64 s2, 1, v20
	v_cmp_lt_u32_e64 s3, 3, v20
	;; [unrolled: 1-line block ×3, first 2 shown]
	v_cmp_eq_u32_e64 s5, 0, v21
	v_lshlrev_b32_e32 v1, 6, v17
	v_bfe_u32 v0, v0, 20, 10
	s_waitcnt lgkmcnt(0)
	s_add_u32 s0, s16, s12
	s_addc_u32 s1, s17, s13
	s_lshr_b32 s10, s9, 16
	s_clause 0x3
	global_load_b128 v[13:16], v1, s[0:1]
	global_load_b128 v[9:12], v1, s[0:1] offset:16
	global_load_b128 v[5:8], v1, s[0:1] offset:32
	;; [unrolled: 1-line block ×3, first 2 shown]
	v_cmp_eq_u32_e64 s1, 0, v20
	v_cndmask_b32_e32 v20, v22, v18, vcc_lo
	v_lshlrev_b32_e32 v64, 3, v17
	v_lshrrev_b32_e32 v21, 3, v17
	v_and_b32_e32 v23, 0x1e0, v17
	v_cmp_eq_u32_e64 s0, 0, v18
	v_lshlrev_b32_e32 v67, 2, v20
	v_and_b32_e32 v24, 0xf00, v64
	v_and_b32_e32 v68, 60, v21
	v_or_b32_e32 v22, v18, v23
	v_min_u32_e32 v23, 0x120, v23
	v_mad_u32_u24 v0, v0, s10, v19
	v_or_b32_e32 v29, 0xa0, v24
	v_or_b32_e32 v30, 0xc0, v24
	;; [unrolled: 1-line block ×5, first 2 shown]
	v_lshrrev_b32_e32 v29, 5, v29
	v_lshrrev_b32_e32 v30, 5, v30
	v_or_b32_e32 v27, 0x60, v24
	v_or_b32_e32 v28, 0x80, v24
	v_lshrrev_b32_e32 v25, 5, v25
	v_add_lshl_u32 v77, v29, v21, 3
	v_lshrrev_b32_e32 v18, 5, v24
	v_or_b32_e32 v24, 0xe0, v24
	v_add_lshl_u32 v78, v30, v21, 3
	v_lshrrev_b32_e32 v26, 5, v26
	v_lshlrev_b32_e32 v20, 1, v22
	v_lshrrev_b32_e32 v27, 5, v27
	v_lshrrev_b32_e32 v28, 5, v28
	v_add_lshl_u32 v73, v25, v21, 3
	v_lshrrev_b32_e32 v24, 5, v24
	v_add_lshl_u32 v74, v26, v21, 3
	v_and_b32_e32 v20, 0x3f8, v20
	v_add_lshl_u32 v75, v27, v21, 3
	v_or_b32_e32 v23, 31, v23
	s_and_b32 s11, s9, 0xffff
	v_add_lshl_u32 v76, v28, v21, 3
	v_add_lshl_u32 v71, v18, v21, 3
	v_mad_u64_u32 v[18:19], null, v0, s11, v[17:18]
	v_add_lshl_u32 v79, v24, v21, 3
	v_lshlrev_b32_e32 v65, 5, v17
	v_lshl_add_u32 v72, v22, 6, v20
	v_cmp_eq_u32_e64 s9, v23, v17
	v_cmp_gt_u32_e64 s6, 10, v17
	v_cmp_lt_u32_e64 s7, 31, v17
	v_cmp_eq_u32_e64 s8, 0, v17
	v_lshlrev_b32_e32 v33, 2, v17
	v_mad_i32_i24 v69, 0xffffffe4, v17, v65
	v_lshrrev_b32_e32 v80, 5, v18
	v_add_nc_u32_e32 v66, 40, v65
	v_add_nc_u32_e32 v70, -4, v68
	s_mov_b32 s15, s21
	v_add_nc_u32_e32 v81, v69, v33
	s_mov_b32 s11, s21
	s_waitcnt vmcnt(3)
	v_add_co_u32 v29, vcc_lo, v13, 1
	v_add_co_ci_u32_e32 v30, vcc_lo, 0, v14, vcc_lo
	v_add_co_u32 v31, vcc_lo, v15, 1
	v_add_co_ci_u32_e32 v32, vcc_lo, 0, v16, vcc_lo
	s_waitcnt vmcnt(2)
	v_add_co_u32 v25, vcc_lo, v9, 1
	v_add_co_ci_u32_e32 v26, vcc_lo, 0, v10, vcc_lo
	v_add_co_u32 v27, vcc_lo, v11, 1
	v_add_co_ci_u32_e32 v28, vcc_lo, 0, v12, vcc_lo
	;; [unrolled: 5-line block ×4, first 2 shown]
	s_branch .LBB327_2
.LBB327_1:                              ;   in Loop: Header=BB327_2 Depth=1
	v_lshlrev_b32_e32 v0, 3, v89
	v_lshlrev_b32_e32 v40, 3, v88
	;; [unrolled: 1-line block ×3, first 2 shown]
	s_barrier
	buffer_gl0_inv
	ds_store_b64 v0, v[12:13]
	ds_store_b64 v40, v[22:23]
	;; [unrolled: 1-line block ×3, first 2 shown]
	v_lshlrev_b32_e32 v20, 3, v86
	v_lshlrev_b32_e32 v21, 3, v85
	;; [unrolled: 1-line block ×5, first 2 shown]
	ds_store_b64 v20, v[18:19]
	ds_store_b64 v21, v[16:17]
	;; [unrolled: 1-line block ×5, first 2 shown]
	s_waitcnt lgkmcnt(0)
	s_barrier
	buffer_gl0_inv
	ds_load_2addr_stride64_b64 v[13:16], v81 offset1:5
	ds_load_2addr_stride64_b64 v[9:12], v81 offset0:10 offset1:15
	ds_load_2addr_stride64_b64 v[5:8], v81 offset0:20 offset1:25
	;; [unrolled: 1-line block ×3, first 2 shown]
	s_waitcnt lgkmcnt(0)
	s_barrier
	buffer_gl0_inv
	ds_store_b64 v0, v[38:39]
	ds_store_b64 v40, v[36:37]
	;; [unrolled: 1-line block ×8, first 2 shown]
	s_waitcnt lgkmcnt(0)
	s_barrier
	buffer_gl0_inv
	ds_load_2addr_stride64_b64 v[29:32], v81 offset1:5
	ds_load_2addr_stride64_b64 v[25:28], v81 offset0:10 offset1:15
	ds_load_2addr_stride64_b64 v[21:24], v81 offset0:20 offset1:25
	;; [unrolled: 1-line block ×3, first 2 shown]
	s_add_i32 s11, s11, 1
	s_delay_alu instid0(SALU_CYCLE_1)
	s_cmp_eq_u32 s11, 10
	v_xor_b32_e32 v14, 0x80000000, v14
	v_xor_b32_e32 v16, 0x80000000, v16
	;; [unrolled: 1-line block ×8, first 2 shown]
	s_cbranch_scc1 .LBB327_28
.LBB327_2:                              ; =>This Loop Header: Depth=1
                                        ;     Child Loop BB327_4 Depth 2
	v_xor_b32_e32 v14, 0x80000000, v14
	v_xor_b32_e32 v16, 0x80000000, v16
	;; [unrolled: 1-line block ×8, first 2 shown]
	ds_store_2addr_b64 v72, v[13:14], v[15:16] offset1:1
	ds_store_2addr_b64 v72, v[9:10], v[11:12] offset0:2 offset1:3
	ds_store_2addr_b64 v72, v[5:6], v[7:8] offset0:4 offset1:5
	;; [unrolled: 1-line block ×3, first 2 shown]
	; wave barrier
	ds_load_b64 v[58:59], v71
	ds_load_b64 v[48:49], v73 offset:256
	ds_load_b64 v[50:51], v74 offset:512
	;; [unrolled: 1-line block ×7, first 2 shown]
	; wave barrier
	s_waitcnt lgkmcnt(15)
	ds_store_2addr_b64 v72, v[29:30], v[31:32] offset1:1
	s_waitcnt lgkmcnt(15)
	ds_store_2addr_b64 v72, v[25:26], v[27:28] offset0:2 offset1:3
	s_waitcnt lgkmcnt(15)
	ds_store_2addr_b64 v72, v[21:22], v[23:24] offset0:4 offset1:5
	s_waitcnt lgkmcnt(15)
	ds_store_2addr_b64 v72, v[17:18], v[19:20] offset0:6 offset1:7
	; wave barrier
	ds_load_b64 v[0:1], v71
	ds_load_b64 v[2:3], v73 offset:256
	ds_load_b64 v[4:5], v74 offset:512
	;; [unrolled: 1-line block ×7, first 2 shown]
	s_mov_b64 s[16:17], 0
	s_waitcnt lgkmcnt(0)
	s_barrier
	s_branch .LBB327_4
.LBB327_3:                              ;   in Loop: Header=BB327_4 Depth=2
	v_lshrrev_b32_e32 v0, 2, v89
	v_lshrrev_b32_e32 v3, 2, v86
	;; [unrolled: 1-line block ×8, first 2 shown]
	v_and_b32_e32 v0, 0x3ffffff8, v0
	v_and_b32_e32 v3, 0x3ffffff8, v3
	;; [unrolled: 1-line block ×8, first 2 shown]
	v_lshl_add_u32 v0, v89, 3, v0
	v_lshl_add_u32 v3, v86, 3, v3
	;; [unrolled: 1-line block ×8, first 2 shown]
	s_barrier
	buffer_gl0_inv
	ds_store_b64 v0, v[12:13]
	ds_store_b64 v1, v[22:23]
	;; [unrolled: 1-line block ×8, first 2 shown]
	s_waitcnt lgkmcnt(0)
	s_barrier
	buffer_gl0_inv
	ds_load_b64 v[58:59], v71
	ds_load_b64 v[48:49], v73 offset:256
	ds_load_b64 v[50:51], v74 offset:512
	;; [unrolled: 1-line block ×7, first 2 shown]
	s_waitcnt lgkmcnt(0)
	s_barrier
	buffer_gl0_inv
	ds_store_b64 v0, v[38:39]
	ds_store_b64 v1, v[36:37]
	;; [unrolled: 1-line block ×8, first 2 shown]
	s_waitcnt lgkmcnt(0)
	s_barrier
	buffer_gl0_inv
	ds_load_b64 v[0:1], v71
	ds_load_b64 v[2:3], v73 offset:256
	ds_load_b64 v[4:5], v74 offset:512
	;; [unrolled: 1-line block ×7, first 2 shown]
	s_add_u32 s16, s16, 8
	s_addc_u32 s17, s17, 0
	s_waitcnt lgkmcnt(0)
	s_barrier
	s_cbranch_execz .LBB327_1
.LBB327_4:                              ;   Parent Loop BB327_2 Depth=1
                                        ; =>  This Inner Loop Header: Depth=2
	v_dual_mov_b32 v12, v58 :: v_dual_mov_b32 v13, v59
	v_dual_mov_b32 v8, v62 :: v_dual_mov_b32 v9, v63
	;; [unrolled: 1-line block ×3, first 2 shown]
	s_delay_alu instid0(VALU_DEP_3) | instskip(SKIP_3) | instid1(VALU_DEP_4)
	v_lshrrev_b64 v[58:59], s16, v[12:13]
	v_dual_mov_b32 v14, v56 :: v_dual_mov_b32 v15, v57
	v_dual_mov_b32 v16, v54 :: v_dual_mov_b32 v17, v55
	;; [unrolled: 1-line block ×3, first 2 shown]
	v_and_b32_e32 v24, 1, v58
	v_lshlrev_b32_e32 v25, 30, v58
	v_lshlrev_b32_e32 v26, 29, v58
	;; [unrolled: 1-line block ×4, first 2 shown]
	v_add_co_u32 v24, s10, v24, -1
	s_delay_alu instid0(VALU_DEP_1)
	v_cndmask_b32_e64 v28, 0, 1, s10
	v_not_b32_e32 v32, v25
	v_cmp_gt_i32_e64 s10, 0, v25
	v_not_b32_e32 v25, v26
	v_lshlrev_b32_e32 v30, 26, v58
	v_cmp_ne_u32_e32 vcc_lo, 0, v28
	v_ashrrev_i32_e32 v32, 31, v32
	v_lshlrev_b32_e32 v31, 25, v58
	v_ashrrev_i32_e32 v25, 31, v25
	v_lshlrev_b32_e32 v28, 24, v58
	v_xor_b32_e32 v24, vcc_lo, v24
	v_cmp_gt_i32_e32 vcc_lo, 0, v26
	v_not_b32_e32 v26, v27
	v_xor_b32_e32 v32, s10, v32
	v_cmp_gt_i32_e64 s10, 0, v27
	v_and_b32_e32 v24, exec_lo, v24
	v_not_b32_e32 v27, v29
	v_ashrrev_i32_e32 v26, 31, v26
	v_xor_b32_e32 v25, vcc_lo, v25
	v_cmp_gt_i32_e32 vcc_lo, 0, v29
	v_and_b32_e32 v24, v24, v32
	v_not_b32_e32 v29, v30
	v_ashrrev_i32_e32 v27, 31, v27
	v_xor_b32_e32 v26, s10, v26
	v_cmp_gt_i32_e64 s10, 0, v30
	v_dual_mov_b32 v37, v3 :: v_dual_and_b32 v24, v24, v25
	v_ashrrev_i32_e32 v29, 31, v29
	v_xor_b32_e32 v27, vcc_lo, v27
	v_mov_b32_e32 v36, v2
	s_delay_alu instid0(VALU_DEP_4)
	v_and_b32_e32 v24, v24, v26
	v_not_b32_e32 v26, v28
	v_xor_b32_e32 v29, s10, v29
	v_cmp_gt_i32_e64 s10, 0, v28
	v_dual_mov_b32 v20, v50 :: v_dual_mov_b32 v21, v51
	v_and_b32_e32 v27, v24, v27
	v_ashrrev_i32_e32 v32, 31, v26
	v_dual_mov_b32 v22, v48 :: v_dual_mov_b32 v23, v49
	buffer_gl0_inv
	v_and_b32_e32 v34, v27, v29
	v_mov_b32_e32 v28, v42
	v_not_b32_e32 v25, v31
	v_cmp_gt_i32_e32 vcc_lo, 0, v31
	v_xor_b32_e32 v38, s10, v32
	v_dual_mov_b32 v26, v44 :: v_dual_mov_b32 v27, v45
	s_delay_alu instid0(VALU_DEP_4) | instskip(SKIP_2) | instid1(VALU_DEP_3)
	v_ashrrev_i32_e32 v30, 31, v25
	v_dual_mov_b32 v24, v46 :: v_dual_mov_b32 v25, v47
	v_mov_b32_e32 v29, v43
	v_xor_b32_e32 v33, vcc_lo, v30
	v_dual_mov_b32 v30, v40 :: v_dual_mov_b32 v31, v41
	s_delay_alu instid0(VALU_DEP_2) | instskip(SKIP_2) | instid1(VALU_DEP_3)
	v_and_b32_e32 v39, v34, v33
	v_dual_mov_b32 v35, v5 :: v_dual_mov_b32 v34, v4
	v_dual_mov_b32 v33, v7 :: v_dual_mov_b32 v32, v6
	v_dual_mov_b32 v39, v1 :: v_dual_and_b32 v2, v39, v38
	v_mov_b32_e32 v38, v0
	v_dual_mov_b32 v3, s20 :: v_dual_and_b32 v0, 0xff, v58
	s_delay_alu instid0(VALU_DEP_3) | instskip(SKIP_2) | instid1(VALU_DEP_4)
	v_mbcnt_lo_u32_b32 v40, v2, 0
	v_cmp_ne_u32_e64 s10, 0, v2
	v_mov_b32_e32 v5, s14
	v_mad_u32_u24 v0, v0, 10, v80
	v_mov_b32_e32 v4, s21
	v_cmp_eq_u32_e32 vcc_lo, 0, v40
	v_mov_b32_e32 v6, s15
	ds_store_2addr_b64 v65, v[3:4], v[5:6] offset0:5 offset1:6
	ds_store_2addr_b64 v66, v[3:4], v[5:6] offset0:2 offset1:3
	v_lshl_add_u32 v41, v0, 2, 40
	s_and_b32 s22, s10, vcc_lo
	s_waitcnt lgkmcnt(0)
	s_barrier
	buffer_gl0_inv
	; wave barrier
	s_and_saveexec_b32 s10, s22
	s_cbranch_execz .LBB327_6
; %bb.5:                                ;   in Loop: Header=BB327_4 Depth=2
	v_bcnt_u32_b32 v0, v2, 0
	ds_store_b32 v41, v0
.LBB327_6:                              ;   in Loop: Header=BB327_4 Depth=2
	s_or_b32 exec_lo, exec_lo, s10
	v_lshrrev_b64 v[0:1], s16, v[22:23]
	; wave barrier
	s_delay_alu instid0(VALU_DEP_1)
	v_and_b32_e32 v2, 1, v0
	v_lshlrev_b32_e32 v3, 30, v0
	v_lshlrev_b32_e32 v4, 29, v0
	;; [unrolled: 1-line block ×4, first 2 shown]
	v_add_co_u32 v2, s10, v2, -1
	s_delay_alu instid0(VALU_DEP_1)
	v_cndmask_b32_e64 v6, 0, 1, s10
	v_not_b32_e32 v44, v3
	v_cmp_gt_i32_e64 s10, 0, v3
	v_not_b32_e32 v3, v4
	v_lshlrev_b32_e32 v42, 26, v0
	v_cmp_ne_u32_e32 vcc_lo, 0, v6
	v_ashrrev_i32_e32 v6, 31, v44
	v_lshlrev_b32_e32 v43, 25, v0
	v_ashrrev_i32_e32 v3, 31, v3
	v_and_b32_e32 v1, 0xff, v0
	v_xor_b32_e32 v2, vcc_lo, v2
	v_cmp_gt_i32_e32 vcc_lo, 0, v4
	v_not_b32_e32 v4, v5
	v_xor_b32_e32 v6, s10, v6
	v_cmp_gt_i32_e64 s10, 0, v5
	v_and_b32_e32 v2, exec_lo, v2
	v_not_b32_e32 v5, v7
	v_ashrrev_i32_e32 v4, 31, v4
	v_xor_b32_e32 v3, vcc_lo, v3
	v_cmp_gt_i32_e32 vcc_lo, 0, v7
	v_and_b32_e32 v2, v2, v6
	v_not_b32_e32 v6, v42
	v_ashrrev_i32_e32 v5, 31, v5
	v_xor_b32_e32 v4, s10, v4
	v_lshlrev_b32_e32 v0, 24, v0
	v_and_b32_e32 v2, v2, v3
	v_cmp_gt_i32_e64 s10, 0, v42
	v_not_b32_e32 v3, v43
	v_ashrrev_i32_e32 v6, 31, v6
	v_xor_b32_e32 v5, vcc_lo, v5
	v_and_b32_e32 v2, v2, v4
	v_cmp_gt_i32_e32 vcc_lo, 0, v43
	v_not_b32_e32 v4, v0
	v_ashrrev_i32_e32 v3, 31, v3
	v_xor_b32_e32 v6, s10, v6
	v_and_b32_e32 v2, v2, v5
	v_mul_u32_u24_e32 v1, 10, v1
	v_cmp_gt_i32_e64 s10, 0, v0
	v_ashrrev_i32_e32 v0, 31, v4
	v_xor_b32_e32 v3, vcc_lo, v3
	v_and_b32_e32 v2, v2, v6
	v_add_lshl_u32 v1, v1, v80, 2
	s_delay_alu instid0(VALU_DEP_4) | instskip(NEXT) | instid1(VALU_DEP_3)
	v_xor_b32_e32 v0, s10, v0
	v_and_b32_e32 v2, v2, v3
	ds_load_b32 v42, v1 offset:40
	v_add_nc_u32_e32 v44, 40, v1
	; wave barrier
	v_and_b32_e32 v0, v2, v0
	s_delay_alu instid0(VALU_DEP_1) | instskip(SKIP_1) | instid1(VALU_DEP_2)
	v_mbcnt_lo_u32_b32 v43, v0, 0
	v_cmp_ne_u32_e64 s10, 0, v0
	v_cmp_eq_u32_e32 vcc_lo, 0, v43
	s_delay_alu instid0(VALU_DEP_2) | instskip(NEXT) | instid1(SALU_CYCLE_1)
	s_and_b32 s22, s10, vcc_lo
	s_and_saveexec_b32 s10, s22
	s_cbranch_execz .LBB327_8
; %bb.7:                                ;   in Loop: Header=BB327_4 Depth=2
	s_waitcnt lgkmcnt(0)
	v_bcnt_u32_b32 v0, v0, v42
	ds_store_b32 v44, v0
.LBB327_8:                              ;   in Loop: Header=BB327_4 Depth=2
	s_or_b32 exec_lo, exec_lo, s10
	v_lshrrev_b64 v[0:1], s16, v[20:21]
	; wave barrier
	s_delay_alu instid0(VALU_DEP_1)
	v_and_b32_e32 v2, 1, v0
	v_lshlrev_b32_e32 v3, 30, v0
	v_lshlrev_b32_e32 v4, 29, v0
	;; [unrolled: 1-line block ×4, first 2 shown]
	v_add_co_u32 v2, s10, v2, -1
	s_delay_alu instid0(VALU_DEP_1)
	v_cndmask_b32_e64 v6, 0, 1, s10
	v_not_b32_e32 v47, v3
	v_cmp_gt_i32_e64 s10, 0, v3
	v_not_b32_e32 v3, v4
	v_lshlrev_b32_e32 v45, 26, v0
	v_cmp_ne_u32_e32 vcc_lo, 0, v6
	v_ashrrev_i32_e32 v6, 31, v47
	v_lshlrev_b32_e32 v46, 25, v0
	v_ashrrev_i32_e32 v3, 31, v3
	v_and_b32_e32 v1, 0xff, v0
	v_xor_b32_e32 v2, vcc_lo, v2
	v_cmp_gt_i32_e32 vcc_lo, 0, v4
	v_not_b32_e32 v4, v5
	v_xor_b32_e32 v6, s10, v6
	v_cmp_gt_i32_e64 s10, 0, v5
	v_and_b32_e32 v2, exec_lo, v2
	v_not_b32_e32 v5, v7
	v_ashrrev_i32_e32 v4, 31, v4
	v_xor_b32_e32 v3, vcc_lo, v3
	v_cmp_gt_i32_e32 vcc_lo, 0, v7
	v_and_b32_e32 v2, v2, v6
	v_not_b32_e32 v6, v45
	v_ashrrev_i32_e32 v5, 31, v5
	v_xor_b32_e32 v4, s10, v4
	v_lshlrev_b32_e32 v0, 24, v0
	v_and_b32_e32 v2, v2, v3
	v_cmp_gt_i32_e64 s10, 0, v45
	v_not_b32_e32 v3, v46
	v_ashrrev_i32_e32 v6, 31, v6
	v_xor_b32_e32 v5, vcc_lo, v5
	v_and_b32_e32 v2, v2, v4
	v_cmp_gt_i32_e32 vcc_lo, 0, v46
	v_not_b32_e32 v4, v0
	v_ashrrev_i32_e32 v3, 31, v3
	v_xor_b32_e32 v6, s10, v6
	v_and_b32_e32 v2, v2, v5
	v_mul_u32_u24_e32 v1, 10, v1
	v_cmp_gt_i32_e64 s10, 0, v0
	v_ashrrev_i32_e32 v0, 31, v4
	v_xor_b32_e32 v3, vcc_lo, v3
	v_and_b32_e32 v2, v2, v6
	v_add_lshl_u32 v1, v1, v80, 2
	s_delay_alu instid0(VALU_DEP_4) | instskip(NEXT) | instid1(VALU_DEP_3)
	v_xor_b32_e32 v0, s10, v0
	v_and_b32_e32 v2, v2, v3
	ds_load_b32 v45, v1 offset:40
	v_add_nc_u32_e32 v47, 40, v1
	; wave barrier
	v_and_b32_e32 v0, v2, v0
	s_delay_alu instid0(VALU_DEP_1) | instskip(SKIP_1) | instid1(VALU_DEP_2)
	v_mbcnt_lo_u32_b32 v46, v0, 0
	v_cmp_ne_u32_e64 s10, 0, v0
	v_cmp_eq_u32_e32 vcc_lo, 0, v46
	s_delay_alu instid0(VALU_DEP_2) | instskip(NEXT) | instid1(SALU_CYCLE_1)
	s_and_b32 s22, s10, vcc_lo
	s_and_saveexec_b32 s10, s22
	s_cbranch_execz .LBB327_10
; %bb.9:                                ;   in Loop: Header=BB327_4 Depth=2
	s_waitcnt lgkmcnt(0)
	v_bcnt_u32_b32 v0, v0, v45
	ds_store_b32 v47, v0
.LBB327_10:                             ;   in Loop: Header=BB327_4 Depth=2
	s_or_b32 exec_lo, exec_lo, s10
	v_lshrrev_b64 v[0:1], s16, v[18:19]
	; wave barrier
	s_delay_alu instid0(VALU_DEP_1)
	v_and_b32_e32 v2, 1, v0
	v_lshlrev_b32_e32 v3, 30, v0
	v_lshlrev_b32_e32 v4, 29, v0
	;; [unrolled: 1-line block ×4, first 2 shown]
	v_add_co_u32 v2, s10, v2, -1
	s_delay_alu instid0(VALU_DEP_1)
	v_cndmask_b32_e64 v6, 0, 1, s10
	v_not_b32_e32 v50, v3
	v_cmp_gt_i32_e64 s10, 0, v3
	v_not_b32_e32 v3, v4
	v_lshlrev_b32_e32 v48, 26, v0
	v_cmp_ne_u32_e32 vcc_lo, 0, v6
	v_ashrrev_i32_e32 v6, 31, v50
	v_lshlrev_b32_e32 v49, 25, v0
	v_ashrrev_i32_e32 v3, 31, v3
	v_and_b32_e32 v1, 0xff, v0
	v_xor_b32_e32 v2, vcc_lo, v2
	v_cmp_gt_i32_e32 vcc_lo, 0, v4
	v_not_b32_e32 v4, v5
	v_xor_b32_e32 v6, s10, v6
	v_cmp_gt_i32_e64 s10, 0, v5
	v_and_b32_e32 v2, exec_lo, v2
	v_not_b32_e32 v5, v7
	v_ashrrev_i32_e32 v4, 31, v4
	v_xor_b32_e32 v3, vcc_lo, v3
	v_cmp_gt_i32_e32 vcc_lo, 0, v7
	v_and_b32_e32 v2, v2, v6
	v_not_b32_e32 v6, v48
	v_ashrrev_i32_e32 v5, 31, v5
	v_xor_b32_e32 v4, s10, v4
	v_lshlrev_b32_e32 v0, 24, v0
	v_and_b32_e32 v2, v2, v3
	v_cmp_gt_i32_e64 s10, 0, v48
	v_not_b32_e32 v3, v49
	v_ashrrev_i32_e32 v6, 31, v6
	v_xor_b32_e32 v5, vcc_lo, v5
	v_and_b32_e32 v2, v2, v4
	v_cmp_gt_i32_e32 vcc_lo, 0, v49
	v_not_b32_e32 v4, v0
	v_ashrrev_i32_e32 v3, 31, v3
	v_xor_b32_e32 v6, s10, v6
	v_and_b32_e32 v2, v2, v5
	v_mul_u32_u24_e32 v1, 10, v1
	v_cmp_gt_i32_e64 s10, 0, v0
	v_ashrrev_i32_e32 v0, 31, v4
	v_xor_b32_e32 v3, vcc_lo, v3
	v_and_b32_e32 v2, v2, v6
	v_add_lshl_u32 v1, v1, v80, 2
	s_delay_alu instid0(VALU_DEP_4) | instskip(NEXT) | instid1(VALU_DEP_3)
	v_xor_b32_e32 v0, s10, v0
	v_and_b32_e32 v2, v2, v3
	ds_load_b32 v48, v1 offset:40
	v_add_nc_u32_e32 v50, 40, v1
	; wave barrier
	v_and_b32_e32 v0, v2, v0
	s_delay_alu instid0(VALU_DEP_1) | instskip(SKIP_1) | instid1(VALU_DEP_2)
	v_mbcnt_lo_u32_b32 v49, v0, 0
	v_cmp_ne_u32_e64 s10, 0, v0
	v_cmp_eq_u32_e32 vcc_lo, 0, v49
	s_delay_alu instid0(VALU_DEP_2) | instskip(NEXT) | instid1(SALU_CYCLE_1)
	s_and_b32 s22, s10, vcc_lo
	s_and_saveexec_b32 s10, s22
	s_cbranch_execz .LBB327_12
; %bb.11:                               ;   in Loop: Header=BB327_4 Depth=2
	s_waitcnt lgkmcnt(0)
	v_bcnt_u32_b32 v0, v0, v48
	ds_store_b32 v50, v0
.LBB327_12:                             ;   in Loop: Header=BB327_4 Depth=2
	s_or_b32 exec_lo, exec_lo, s10
	v_lshrrev_b64 v[0:1], s16, v[16:17]
	; wave barrier
	s_delay_alu instid0(VALU_DEP_1)
	v_and_b32_e32 v2, 1, v0
	v_lshlrev_b32_e32 v3, 30, v0
	v_lshlrev_b32_e32 v4, 29, v0
	;; [unrolled: 1-line block ×4, first 2 shown]
	v_add_co_u32 v2, s10, v2, -1
	s_delay_alu instid0(VALU_DEP_1)
	v_cndmask_b32_e64 v6, 0, 1, s10
	v_not_b32_e32 v53, v3
	v_cmp_gt_i32_e64 s10, 0, v3
	v_not_b32_e32 v3, v4
	v_lshlrev_b32_e32 v51, 26, v0
	v_cmp_ne_u32_e32 vcc_lo, 0, v6
	v_ashrrev_i32_e32 v6, 31, v53
	v_lshlrev_b32_e32 v52, 25, v0
	v_ashrrev_i32_e32 v3, 31, v3
	v_and_b32_e32 v1, 0xff, v0
	v_xor_b32_e32 v2, vcc_lo, v2
	v_cmp_gt_i32_e32 vcc_lo, 0, v4
	v_not_b32_e32 v4, v5
	v_xor_b32_e32 v6, s10, v6
	v_cmp_gt_i32_e64 s10, 0, v5
	v_and_b32_e32 v2, exec_lo, v2
	v_not_b32_e32 v5, v7
	v_ashrrev_i32_e32 v4, 31, v4
	v_xor_b32_e32 v3, vcc_lo, v3
	v_cmp_gt_i32_e32 vcc_lo, 0, v7
	v_and_b32_e32 v2, v2, v6
	v_not_b32_e32 v6, v51
	v_ashrrev_i32_e32 v5, 31, v5
	v_xor_b32_e32 v4, s10, v4
	v_lshlrev_b32_e32 v0, 24, v0
	v_and_b32_e32 v2, v2, v3
	v_cmp_gt_i32_e64 s10, 0, v51
	v_not_b32_e32 v3, v52
	v_ashrrev_i32_e32 v6, 31, v6
	v_xor_b32_e32 v5, vcc_lo, v5
	v_and_b32_e32 v2, v2, v4
	v_cmp_gt_i32_e32 vcc_lo, 0, v52
	v_not_b32_e32 v4, v0
	v_ashrrev_i32_e32 v3, 31, v3
	v_xor_b32_e32 v6, s10, v6
	v_and_b32_e32 v2, v2, v5
	v_mul_u32_u24_e32 v1, 10, v1
	v_cmp_gt_i32_e64 s10, 0, v0
	v_ashrrev_i32_e32 v0, 31, v4
	v_xor_b32_e32 v3, vcc_lo, v3
	v_and_b32_e32 v2, v2, v6
	v_add_lshl_u32 v1, v1, v80, 2
	s_delay_alu instid0(VALU_DEP_4) | instskip(NEXT) | instid1(VALU_DEP_3)
	v_xor_b32_e32 v0, s10, v0
	v_and_b32_e32 v2, v2, v3
	ds_load_b32 v51, v1 offset:40
	v_add_nc_u32_e32 v53, 40, v1
	; wave barrier
	v_and_b32_e32 v0, v2, v0
	s_delay_alu instid0(VALU_DEP_1) | instskip(SKIP_1) | instid1(VALU_DEP_2)
	v_mbcnt_lo_u32_b32 v52, v0, 0
	v_cmp_ne_u32_e64 s10, 0, v0
	v_cmp_eq_u32_e32 vcc_lo, 0, v52
	s_delay_alu instid0(VALU_DEP_2) | instskip(NEXT) | instid1(SALU_CYCLE_1)
	s_and_b32 s22, s10, vcc_lo
	s_and_saveexec_b32 s10, s22
	s_cbranch_execz .LBB327_14
; %bb.13:                               ;   in Loop: Header=BB327_4 Depth=2
	s_waitcnt lgkmcnt(0)
	v_bcnt_u32_b32 v0, v0, v51
	ds_store_b32 v53, v0
.LBB327_14:                             ;   in Loop: Header=BB327_4 Depth=2
	s_or_b32 exec_lo, exec_lo, s10
	v_lshrrev_b64 v[0:1], s16, v[14:15]
	; wave barrier
	s_delay_alu instid0(VALU_DEP_1)
	v_and_b32_e32 v2, 1, v0
	v_lshlrev_b32_e32 v3, 30, v0
	v_lshlrev_b32_e32 v4, 29, v0
	;; [unrolled: 1-line block ×4, first 2 shown]
	v_add_co_u32 v2, s10, v2, -1
	s_delay_alu instid0(VALU_DEP_1)
	v_cndmask_b32_e64 v6, 0, 1, s10
	v_not_b32_e32 v56, v3
	v_cmp_gt_i32_e64 s10, 0, v3
	v_not_b32_e32 v3, v4
	v_lshlrev_b32_e32 v54, 26, v0
	v_cmp_ne_u32_e32 vcc_lo, 0, v6
	v_ashrrev_i32_e32 v6, 31, v56
	v_lshlrev_b32_e32 v55, 25, v0
	v_ashrrev_i32_e32 v3, 31, v3
	v_and_b32_e32 v1, 0xff, v0
	v_xor_b32_e32 v2, vcc_lo, v2
	v_cmp_gt_i32_e32 vcc_lo, 0, v4
	v_not_b32_e32 v4, v5
	v_xor_b32_e32 v6, s10, v6
	v_cmp_gt_i32_e64 s10, 0, v5
	v_and_b32_e32 v2, exec_lo, v2
	v_not_b32_e32 v5, v7
	v_ashrrev_i32_e32 v4, 31, v4
	v_xor_b32_e32 v3, vcc_lo, v3
	v_cmp_gt_i32_e32 vcc_lo, 0, v7
	v_and_b32_e32 v2, v2, v6
	v_not_b32_e32 v6, v54
	v_ashrrev_i32_e32 v5, 31, v5
	v_xor_b32_e32 v4, s10, v4
	v_lshlrev_b32_e32 v0, 24, v0
	v_and_b32_e32 v2, v2, v3
	v_cmp_gt_i32_e64 s10, 0, v54
	v_not_b32_e32 v3, v55
	v_ashrrev_i32_e32 v6, 31, v6
	v_xor_b32_e32 v5, vcc_lo, v5
	v_and_b32_e32 v2, v2, v4
	v_cmp_gt_i32_e32 vcc_lo, 0, v55
	v_not_b32_e32 v4, v0
	v_ashrrev_i32_e32 v3, 31, v3
	v_xor_b32_e32 v6, s10, v6
	v_and_b32_e32 v2, v2, v5
	v_mul_u32_u24_e32 v1, 10, v1
	v_cmp_gt_i32_e64 s10, 0, v0
	v_ashrrev_i32_e32 v0, 31, v4
	v_xor_b32_e32 v3, vcc_lo, v3
	v_and_b32_e32 v2, v2, v6
	v_add_lshl_u32 v1, v1, v80, 2
	s_delay_alu instid0(VALU_DEP_4) | instskip(NEXT) | instid1(VALU_DEP_3)
	v_xor_b32_e32 v0, s10, v0
	v_and_b32_e32 v2, v2, v3
	ds_load_b32 v54, v1 offset:40
	v_add_nc_u32_e32 v56, 40, v1
	; wave barrier
	v_and_b32_e32 v0, v2, v0
	s_delay_alu instid0(VALU_DEP_1) | instskip(SKIP_1) | instid1(VALU_DEP_2)
	v_mbcnt_lo_u32_b32 v55, v0, 0
	v_cmp_ne_u32_e64 s10, 0, v0
	v_cmp_eq_u32_e32 vcc_lo, 0, v55
	s_delay_alu instid0(VALU_DEP_2) | instskip(NEXT) | instid1(SALU_CYCLE_1)
	s_and_b32 s22, s10, vcc_lo
	s_and_saveexec_b32 s10, s22
	s_cbranch_execz .LBB327_16
; %bb.15:                               ;   in Loop: Header=BB327_4 Depth=2
	s_waitcnt lgkmcnt(0)
	v_bcnt_u32_b32 v0, v0, v54
	ds_store_b32 v56, v0
.LBB327_16:                             ;   in Loop: Header=BB327_4 Depth=2
	s_or_b32 exec_lo, exec_lo, s10
	v_lshrrev_b64 v[0:1], s16, v[10:11]
	; wave barrier
	s_delay_alu instid0(VALU_DEP_1)
	v_and_b32_e32 v2, 1, v0
	v_lshlrev_b32_e32 v3, 30, v0
	v_lshlrev_b32_e32 v4, 29, v0
	;; [unrolled: 1-line block ×4, first 2 shown]
	v_add_co_u32 v2, s10, v2, -1
	s_delay_alu instid0(VALU_DEP_1)
	v_cndmask_b32_e64 v6, 0, 1, s10
	v_not_b32_e32 v59, v3
	v_cmp_gt_i32_e64 s10, 0, v3
	v_not_b32_e32 v3, v4
	v_lshlrev_b32_e32 v57, 26, v0
	v_cmp_ne_u32_e32 vcc_lo, 0, v6
	v_ashrrev_i32_e32 v6, 31, v59
	v_lshlrev_b32_e32 v58, 25, v0
	v_ashrrev_i32_e32 v3, 31, v3
	v_and_b32_e32 v1, 0xff, v0
	v_xor_b32_e32 v2, vcc_lo, v2
	v_cmp_gt_i32_e32 vcc_lo, 0, v4
	v_not_b32_e32 v4, v5
	v_xor_b32_e32 v6, s10, v6
	v_cmp_gt_i32_e64 s10, 0, v5
	v_and_b32_e32 v2, exec_lo, v2
	v_not_b32_e32 v5, v7
	v_ashrrev_i32_e32 v4, 31, v4
	v_xor_b32_e32 v3, vcc_lo, v3
	v_cmp_gt_i32_e32 vcc_lo, 0, v7
	v_and_b32_e32 v2, v2, v6
	v_not_b32_e32 v6, v57
	v_ashrrev_i32_e32 v5, 31, v5
	v_xor_b32_e32 v4, s10, v4
	v_lshlrev_b32_e32 v0, 24, v0
	v_and_b32_e32 v2, v2, v3
	v_cmp_gt_i32_e64 s10, 0, v57
	v_not_b32_e32 v3, v58
	v_ashrrev_i32_e32 v6, 31, v6
	v_xor_b32_e32 v5, vcc_lo, v5
	v_and_b32_e32 v2, v2, v4
	v_cmp_gt_i32_e32 vcc_lo, 0, v58
	v_not_b32_e32 v4, v0
	v_ashrrev_i32_e32 v3, 31, v3
	v_xor_b32_e32 v6, s10, v6
	v_and_b32_e32 v2, v2, v5
	v_mul_u32_u24_e32 v1, 10, v1
	v_cmp_gt_i32_e64 s10, 0, v0
	v_ashrrev_i32_e32 v0, 31, v4
	v_xor_b32_e32 v3, vcc_lo, v3
	v_and_b32_e32 v2, v2, v6
	v_add_lshl_u32 v1, v1, v80, 2
	s_delay_alu instid0(VALU_DEP_4) | instskip(NEXT) | instid1(VALU_DEP_3)
	v_xor_b32_e32 v0, s10, v0
	v_and_b32_e32 v2, v2, v3
	ds_load_b32 v57, v1 offset:40
	v_add_nc_u32_e32 v59, 40, v1
	; wave barrier
	v_and_b32_e32 v0, v2, v0
	s_delay_alu instid0(VALU_DEP_1) | instskip(SKIP_1) | instid1(VALU_DEP_2)
	v_mbcnt_lo_u32_b32 v58, v0, 0
	v_cmp_ne_u32_e64 s10, 0, v0
	v_cmp_eq_u32_e32 vcc_lo, 0, v58
	s_delay_alu instid0(VALU_DEP_2) | instskip(NEXT) | instid1(SALU_CYCLE_1)
	s_and_b32 s22, s10, vcc_lo
	s_and_saveexec_b32 s10, s22
	s_cbranch_execz .LBB327_18
; %bb.17:                               ;   in Loop: Header=BB327_4 Depth=2
	s_waitcnt lgkmcnt(0)
	v_bcnt_u32_b32 v0, v0, v57
	ds_store_b32 v59, v0
.LBB327_18:                             ;   in Loop: Header=BB327_4 Depth=2
	s_or_b32 exec_lo, exec_lo, s10
	v_lshrrev_b64 v[0:1], s16, v[8:9]
	; wave barrier
	s_delay_alu instid0(VALU_DEP_1)
	v_and_b32_e32 v2, 1, v0
	v_lshlrev_b32_e32 v3, 30, v0
	v_lshlrev_b32_e32 v4, 29, v0
	;; [unrolled: 1-line block ×4, first 2 shown]
	v_add_co_u32 v2, s10, v2, -1
	s_delay_alu instid0(VALU_DEP_1)
	v_cndmask_b32_e64 v6, 0, 1, s10
	v_not_b32_e32 v62, v3
	v_cmp_gt_i32_e64 s10, 0, v3
	v_not_b32_e32 v3, v4
	v_lshlrev_b32_e32 v60, 26, v0
	v_cmp_ne_u32_e32 vcc_lo, 0, v6
	v_ashrrev_i32_e32 v6, 31, v62
	v_lshlrev_b32_e32 v61, 25, v0
	v_ashrrev_i32_e32 v3, 31, v3
	v_and_b32_e32 v1, 0xff, v0
	v_xor_b32_e32 v2, vcc_lo, v2
	v_cmp_gt_i32_e32 vcc_lo, 0, v4
	v_not_b32_e32 v4, v5
	v_xor_b32_e32 v6, s10, v6
	v_cmp_gt_i32_e64 s10, 0, v5
	v_and_b32_e32 v2, exec_lo, v2
	v_not_b32_e32 v5, v7
	v_ashrrev_i32_e32 v4, 31, v4
	v_xor_b32_e32 v3, vcc_lo, v3
	v_cmp_gt_i32_e32 vcc_lo, 0, v7
	v_and_b32_e32 v2, v2, v6
	v_not_b32_e32 v6, v60
	v_ashrrev_i32_e32 v5, 31, v5
	v_xor_b32_e32 v4, s10, v4
	v_lshlrev_b32_e32 v0, 24, v0
	v_and_b32_e32 v2, v2, v3
	v_cmp_gt_i32_e64 s10, 0, v60
	v_not_b32_e32 v3, v61
	v_ashrrev_i32_e32 v6, 31, v6
	v_xor_b32_e32 v5, vcc_lo, v5
	v_and_b32_e32 v2, v2, v4
	v_cmp_gt_i32_e32 vcc_lo, 0, v61
	v_not_b32_e32 v4, v0
	v_ashrrev_i32_e32 v3, 31, v3
	v_xor_b32_e32 v6, s10, v6
	v_and_b32_e32 v2, v2, v5
	v_mul_u32_u24_e32 v1, 10, v1
	v_cmp_gt_i32_e64 s10, 0, v0
	v_ashrrev_i32_e32 v0, 31, v4
	v_xor_b32_e32 v3, vcc_lo, v3
	v_and_b32_e32 v2, v2, v6
	v_add_lshl_u32 v1, v1, v80, 2
	s_delay_alu instid0(VALU_DEP_4) | instskip(NEXT) | instid1(VALU_DEP_3)
	v_xor_b32_e32 v0, s10, v0
	v_and_b32_e32 v2, v2, v3
	ds_load_b32 v60, v1 offset:40
	v_add_nc_u32_e32 v62, 40, v1
	; wave barrier
	v_and_b32_e32 v0, v2, v0
	s_delay_alu instid0(VALU_DEP_1) | instskip(SKIP_1) | instid1(VALU_DEP_2)
	v_mbcnt_lo_u32_b32 v61, v0, 0
	v_cmp_ne_u32_e64 s10, 0, v0
	v_cmp_eq_u32_e32 vcc_lo, 0, v61
	s_delay_alu instid0(VALU_DEP_2) | instskip(NEXT) | instid1(SALU_CYCLE_1)
	s_and_b32 s22, s10, vcc_lo
	s_and_saveexec_b32 s10, s22
	s_cbranch_execz .LBB327_20
; %bb.19:                               ;   in Loop: Header=BB327_4 Depth=2
	s_waitcnt lgkmcnt(0)
	v_bcnt_u32_b32 v0, v0, v60
	ds_store_b32 v62, v0
.LBB327_20:                             ;   in Loop: Header=BB327_4 Depth=2
	s_or_b32 exec_lo, exec_lo, s10
	; wave barrier
	s_waitcnt lgkmcnt(0)
	s_barrier
	buffer_gl0_inv
	ds_load_2addr_b64 v[4:7], v65 offset0:5 offset1:6
	ds_load_2addr_b64 v[0:3], v66 offset0:2 offset1:3
	s_waitcnt lgkmcnt(1)
	v_add_nc_u32_e32 v63, v5, v4
	s_delay_alu instid0(VALU_DEP_1) | instskip(SKIP_1) | instid1(VALU_DEP_1)
	v_add3_u32 v63, v63, v6, v7
	s_waitcnt lgkmcnt(0)
	v_add3_u32 v63, v63, v0, v1
	s_delay_alu instid0(VALU_DEP_1) | instskip(NEXT) | instid1(VALU_DEP_1)
	v_add3_u32 v3, v63, v2, v3
	v_mov_b32_dpp v63, v3 row_shr:1 row_mask:0xf bank_mask:0xf
	s_delay_alu instid0(VALU_DEP_1) | instskip(NEXT) | instid1(VALU_DEP_1)
	v_cndmask_b32_e64 v63, v63, 0, s1
	v_add_nc_u32_e32 v3, v63, v3
	s_delay_alu instid0(VALU_DEP_1) | instskip(NEXT) | instid1(VALU_DEP_1)
	v_mov_b32_dpp v63, v3 row_shr:2 row_mask:0xf bank_mask:0xf
	v_cndmask_b32_e64 v63, 0, v63, s2
	s_delay_alu instid0(VALU_DEP_1) | instskip(NEXT) | instid1(VALU_DEP_1)
	v_add_nc_u32_e32 v3, v3, v63
	v_mov_b32_dpp v63, v3 row_shr:4 row_mask:0xf bank_mask:0xf
	s_delay_alu instid0(VALU_DEP_1) | instskip(NEXT) | instid1(VALU_DEP_1)
	v_cndmask_b32_e64 v63, 0, v63, s3
	v_add_nc_u32_e32 v3, v3, v63
	s_delay_alu instid0(VALU_DEP_1) | instskip(NEXT) | instid1(VALU_DEP_1)
	v_mov_b32_dpp v63, v3 row_shr:8 row_mask:0xf bank_mask:0xf
	v_cndmask_b32_e64 v63, 0, v63, s4
	s_delay_alu instid0(VALU_DEP_1) | instskip(SKIP_3) | instid1(VALU_DEP_1)
	v_add_nc_u32_e32 v3, v3, v63
	ds_swizzle_b32 v63, v3 offset:swizzle(BROADCAST,32,15)
	s_waitcnt lgkmcnt(0)
	v_cndmask_b32_e64 v63, v63, 0, s5
	v_add_nc_u32_e32 v3, v3, v63
	s_and_saveexec_b32 s10, s9
	s_cbranch_execz .LBB327_22
; %bb.21:                               ;   in Loop: Header=BB327_4 Depth=2
	ds_store_b32 v68, v3
.LBB327_22:                             ;   in Loop: Header=BB327_4 Depth=2
	s_or_b32 exec_lo, exec_lo, s10
	s_waitcnt lgkmcnt(0)
	s_barrier
	buffer_gl0_inv
	s_and_saveexec_b32 s10, s6
	s_cbranch_execz .LBB327_24
; %bb.23:                               ;   in Loop: Header=BB327_4 Depth=2
	ds_load_b32 v63, v69
	s_waitcnt lgkmcnt(0)
	v_mov_b32_dpp v82, v63 row_shr:1 row_mask:0xf bank_mask:0xf
	s_delay_alu instid0(VALU_DEP_1) | instskip(NEXT) | instid1(VALU_DEP_1)
	v_cndmask_b32_e64 v82, v82, 0, s1
	v_add_nc_u32_e32 v63, v82, v63
	s_delay_alu instid0(VALU_DEP_1) | instskip(NEXT) | instid1(VALU_DEP_1)
	v_mov_b32_dpp v82, v63 row_shr:2 row_mask:0xf bank_mask:0xf
	v_cndmask_b32_e64 v82, 0, v82, s2
	s_delay_alu instid0(VALU_DEP_1) | instskip(NEXT) | instid1(VALU_DEP_1)
	v_add_nc_u32_e32 v63, v63, v82
	v_mov_b32_dpp v82, v63 row_shr:4 row_mask:0xf bank_mask:0xf
	s_delay_alu instid0(VALU_DEP_1) | instskip(NEXT) | instid1(VALU_DEP_1)
	v_cndmask_b32_e64 v82, 0, v82, s3
	v_add_nc_u32_e32 v63, v63, v82
	s_delay_alu instid0(VALU_DEP_1) | instskip(NEXT) | instid1(VALU_DEP_1)
	v_mov_b32_dpp v82, v63 row_shr:8 row_mask:0xf bank_mask:0xf
	v_cndmask_b32_e64 v82, 0, v82, s4
	s_delay_alu instid0(VALU_DEP_1)
	v_add_nc_u32_e32 v63, v63, v82
	ds_store_b32 v69, v63
.LBB327_24:                             ;   in Loop: Header=BB327_4 Depth=2
	s_or_b32 exec_lo, exec_lo, s10
	v_mov_b32_e32 v63, 0
	s_waitcnt lgkmcnt(0)
	s_barrier
	buffer_gl0_inv
	s_and_saveexec_b32 s10, s7
	s_cbranch_execz .LBB327_26
; %bb.25:                               ;   in Loop: Header=BB327_4 Depth=2
	ds_load_b32 v63, v70
.LBB327_26:                             ;   in Loop: Header=BB327_4 Depth=2
	s_or_b32 exec_lo, exec_lo, s10
	s_waitcnt lgkmcnt(0)
	v_add_nc_u32_e32 v3, v63, v3
	s_cmp_gt_u32 s16, 55
	ds_bpermute_b32 v3, v67, v3
	s_waitcnt lgkmcnt(0)
	v_cndmask_b32_e64 v3, v3, v63, s0
	s_delay_alu instid0(VALU_DEP_1) | instskip(NEXT) | instid1(VALU_DEP_1)
	v_cndmask_b32_e64 v3, v3, 0, s8
	v_add_nc_u32_e32 v4, v3, v4
	s_delay_alu instid0(VALU_DEP_1) | instskip(NEXT) | instid1(VALU_DEP_1)
	v_add_nc_u32_e32 v5, v4, v5
	v_add_nc_u32_e32 v6, v5, v6
	s_delay_alu instid0(VALU_DEP_1) | instskip(NEXT) | instid1(VALU_DEP_1)
	v_add_nc_u32_e32 v82, v6, v7
	;; [unrolled: 3-line block ×3, first 2 shown]
	v_add_nc_u32_e32 v1, v0, v2
	ds_store_2addr_b64 v65, v[3:4], v[5:6] offset0:5 offset1:6
	ds_store_2addr_b64 v66, v[82:83], v[0:1] offset0:2 offset1:3
	s_waitcnt lgkmcnt(0)
	s_barrier
	buffer_gl0_inv
	ds_load_b32 v0, v41
	ds_load_b32 v1, v44
	ds_load_b32 v2, v47
	ds_load_b32 v3, v50
	ds_load_b32 v4, v53
	ds_load_b32 v5, v56
	ds_load_b32 v6, v59
	ds_load_b32 v7, v62
	s_waitcnt lgkmcnt(7)
	v_add_nc_u32_e32 v89, v0, v40
	s_waitcnt lgkmcnt(6)
	v_add3_u32 v88, v43, v42, v1
	s_waitcnt lgkmcnt(5)
	v_add3_u32 v87, v46, v45, v2
	;; [unrolled: 2-line block ×7, first 2 shown]
	s_cbranch_scc0 .LBB327_3
; %bb.27:                               ;   in Loop: Header=BB327_2 Depth=1
                                        ; implicit-def: $vgpr62_vgpr63
                                        ; implicit-def: $vgpr60_vgpr61
                                        ; implicit-def: $vgpr56_vgpr57
                                        ; implicit-def: $vgpr54_vgpr55
                                        ; implicit-def: $vgpr52_vgpr53
                                        ; implicit-def: $vgpr50_vgpr51
                                        ; implicit-def: $vgpr48_vgpr49
                                        ; implicit-def: $vgpr58_vgpr59
                                        ; implicit-def: $vgpr46_vgpr47
                                        ; implicit-def: $vgpr44_vgpr45
                                        ; implicit-def: $vgpr42_vgpr43
                                        ; implicit-def: $vgpr40_vgpr41
                                        ; implicit-def: $vgpr6_vgpr7
                                        ; implicit-def: $vgpr4_vgpr5
                                        ; implicit-def: $vgpr2_vgpr3
                                        ; implicit-def: $vgpr0_vgpr1
                                        ; implicit-def: $sgpr16_sgpr17
	s_branch .LBB327_1
.LBB327_28:
	s_waitcnt lgkmcnt(3)
	v_add_co_u32 v13, vcc_lo, v13, v29
	v_add_co_ci_u32_e32 v14, vcc_lo, v14, v30, vcc_lo
	v_add_co_u32 v15, vcc_lo, v15, v31
	v_add_co_ci_u32_e32 v16, vcc_lo, v16, v32, vcc_lo
	s_waitcnt lgkmcnt(2)
	v_add_co_u32 v9, vcc_lo, v9, v25
	v_add_co_ci_u32_e32 v10, vcc_lo, v10, v26, vcc_lo
	v_add_co_u32 v11, vcc_lo, v11, v27
	v_add_co_ci_u32_e32 v12, vcc_lo, v12, v28, vcc_lo
	;; [unrolled: 5-line block ×3, first 2 shown]
	s_add_u32 s0, s18, s12
	s_waitcnt lgkmcnt(0)
	v_add_co_u32 v0, vcc_lo, v1, v17
	s_addc_u32 s1, s19, s13
	v_add_co_u32 v23, s2, s0, v64
	v_add_co_ci_u32_e32 v1, vcc_lo, v2, v18, vcc_lo
	v_add_co_ci_u32_e64 v24, null, s1, 0, s2
	v_add_co_u32 v2, vcc_lo, v3, v19
	v_add_co_ci_u32_e32 v3, vcc_lo, v4, v20, vcc_lo
	v_add_co_u32 v17, vcc_lo, 0x1000, v23
	s_delay_alu instid0(VALU_DEP_4)
	v_add_co_ci_u32_e32 v18, vcc_lo, 0, v24, vcc_lo
	v_add_co_u32 v19, vcc_lo, 0x2000, v23
	v_add_co_ci_u32_e32 v20, vcc_lo, 0, v24, vcc_lo
	v_add_co_u32 v21, vcc_lo, 0x3000, v23
	;; [unrolled: 2-line block ×3, first 2 shown]
	v_add_co_ci_u32_e32 v24, vcc_lo, 0, v24, vcc_lo
	s_clause 0x7
	global_store_b64 v64, v[13:14], s[0:1]
	global_store_b64 v64, v[15:16], s[0:1] offset:2560
	global_store_b64 v[17:18], v[9:10], off offset:1024
	global_store_b64 v[17:18], v[11:12], off offset:3584
	;; [unrolled: 1-line block ×6, first 2 shown]
	s_nop 0
	s_sendmsg sendmsg(MSG_DEALLOC_VGPRS)
	s_endpgm
	.section	.rodata,"a",@progbits
	.p2align	6, 0x0
	.amdhsa_kernel _Z17sort_pairs_kernelI22helper_blocked_stripedxLj320ELj8ELj10EEvPKT0_PS1_
		.amdhsa_group_segment_fixed_size 21120
		.amdhsa_private_segment_fixed_size 0
		.amdhsa_kernarg_size 272
		.amdhsa_user_sgpr_count 15
		.amdhsa_user_sgpr_dispatch_ptr 0
		.amdhsa_user_sgpr_queue_ptr 0
		.amdhsa_user_sgpr_kernarg_segment_ptr 1
		.amdhsa_user_sgpr_dispatch_id 0
		.amdhsa_user_sgpr_private_segment_size 0
		.amdhsa_wavefront_size32 1
		.amdhsa_uses_dynamic_stack 0
		.amdhsa_enable_private_segment 0
		.amdhsa_system_sgpr_workgroup_id_x 1
		.amdhsa_system_sgpr_workgroup_id_y 0
		.amdhsa_system_sgpr_workgroup_id_z 0
		.amdhsa_system_sgpr_workgroup_info 0
		.amdhsa_system_vgpr_workitem_id 2
		.amdhsa_next_free_vgpr 90
		.amdhsa_next_free_sgpr 23
		.amdhsa_reserve_vcc 1
		.amdhsa_float_round_mode_32 0
		.amdhsa_float_round_mode_16_64 0
		.amdhsa_float_denorm_mode_32 3
		.amdhsa_float_denorm_mode_16_64 3
		.amdhsa_dx10_clamp 1
		.amdhsa_ieee_mode 1
		.amdhsa_fp16_overflow 0
		.amdhsa_workgroup_processor_mode 1
		.amdhsa_memory_ordered 1
		.amdhsa_forward_progress 0
		.amdhsa_shared_vgpr_count 0
		.amdhsa_exception_fp_ieee_invalid_op 0
		.amdhsa_exception_fp_denorm_src 0
		.amdhsa_exception_fp_ieee_div_zero 0
		.amdhsa_exception_fp_ieee_overflow 0
		.amdhsa_exception_fp_ieee_underflow 0
		.amdhsa_exception_fp_ieee_inexact 0
		.amdhsa_exception_int_div_zero 0
	.end_amdhsa_kernel
	.section	.text._Z17sort_pairs_kernelI22helper_blocked_stripedxLj320ELj8ELj10EEvPKT0_PS1_,"axG",@progbits,_Z17sort_pairs_kernelI22helper_blocked_stripedxLj320ELj8ELj10EEvPKT0_PS1_,comdat
.Lfunc_end327:
	.size	_Z17sort_pairs_kernelI22helper_blocked_stripedxLj320ELj8ELj10EEvPKT0_PS1_, .Lfunc_end327-_Z17sort_pairs_kernelI22helper_blocked_stripedxLj320ELj8ELj10EEvPKT0_PS1_
                                        ; -- End function
	.section	.AMDGPU.csdata,"",@progbits
; Kernel info:
; codeLenInByte = 5592
; NumSgprs: 25
; NumVgprs: 90
; ScratchSize: 0
; MemoryBound: 0
; FloatMode: 240
; IeeeMode: 1
; LDSByteSize: 21120 bytes/workgroup (compile time only)
; SGPRBlocks: 3
; VGPRBlocks: 11
; NumSGPRsForWavesPerEU: 25
; NumVGPRsForWavesPerEU: 90
; Occupancy: 15
; WaveLimiterHint : 1
; COMPUTE_PGM_RSRC2:SCRATCH_EN: 0
; COMPUTE_PGM_RSRC2:USER_SGPR: 15
; COMPUTE_PGM_RSRC2:TRAP_HANDLER: 0
; COMPUTE_PGM_RSRC2:TGID_X_EN: 1
; COMPUTE_PGM_RSRC2:TGID_Y_EN: 0
; COMPUTE_PGM_RSRC2:TGID_Z_EN: 0
; COMPUTE_PGM_RSRC2:TIDIG_COMP_CNT: 2
	.section	.text._Z16sort_keys_kernelI22helper_blocked_stripedxLj512ELj1ELj10EEvPKT0_PS1_,"axG",@progbits,_Z16sort_keys_kernelI22helper_blocked_stripedxLj512ELj1ELj10EEvPKT0_PS1_,comdat
	.protected	_Z16sort_keys_kernelI22helper_blocked_stripedxLj512ELj1ELj10EEvPKT0_PS1_ ; -- Begin function _Z16sort_keys_kernelI22helper_blocked_stripedxLj512ELj1ELj10EEvPKT0_PS1_
	.globl	_Z16sort_keys_kernelI22helper_blocked_stripedxLj512ELj1ELj10EEvPKT0_PS1_
	.p2align	8
	.type	_Z16sort_keys_kernelI22helper_blocked_stripedxLj512ELj1ELj10EEvPKT0_PS1_,@function
_Z16sort_keys_kernelI22helper_blocked_stripedxLj512ELj1ELj10EEvPKT0_PS1_: ; @_Z16sort_keys_kernelI22helper_blocked_stripedxLj512ELj1ELj10EEvPKT0_PS1_
; %bb.0:
	s_clause 0x1
	s_load_b128 s[16:19], s[0:1], 0x0
	s_load_b32 s9, s[0:1], 0x1c
	v_and_b32_e32 v8, 0x3ff, v0
	s_mov_b32 s11, 0
	s_lshl_b32 s10, s15, 9
	v_mbcnt_lo_u32_b32 v5, -1, 0
	s_lshl_b64 s[12:13], s[10:11], 3
	v_lshlrev_b32_e32 v1, 3, v8
	v_bfe_u32 v3, v0, 10, 10
	v_bfe_u32 v0, v0, 20, 10
	s_mov_b32 s10, s11
	v_dual_mov_b32 v12, s11 :: v_dual_add_nc_u32 v7, -1, v5
	v_dual_mov_b32 v11, s10 :: v_dual_and_b32 v4, 15, v5
	v_and_b32_e32 v6, 16, v5
	s_delay_alu instid0(VALU_DEP_3) | instskip(NEXT) | instid1(VALU_DEP_3)
	v_cmp_gt_i32_e32 vcc_lo, 0, v7
	v_cmp_lt_u32_e64 s2, 1, v4
	v_cmp_lt_u32_e64 s3, 3, v4
	s_waitcnt lgkmcnt(0)
	s_add_u32 s0, s16, s12
	s_addc_u32 s1, s17, s13
	s_lshr_b32 s10, s9, 16
	global_load_b64 v[1:2], v1, s[0:1]
	s_mov_b32 s1, s11
	s_mov_b32 s0, s11
	s_delay_alu instid0(SALU_CYCLE_1)
	v_dual_mov_b32 v10, s1 :: v_dual_mov_b32 v9, s0
	v_mad_u32_u24 v0, v0, s10, v3
	v_lshlrev_b32_e32 v15, 5, v8
	v_cmp_eq_u32_e64 s5, 0, v6
	v_dual_cndmask_b32 v7, v7, v5 :: v_dual_and_b32 v6, 0x1e0, v8
	v_lshrrev_b32_e32 v13, 3, v8
	s_and_b32 s9, s9, 0xffff
	v_cmp_eq_u32_e64 s1, 0, v4
	v_cmp_lt_u32_e64 s4, 7, v4
	v_mad_u64_u32 v[3:4], null, v0, s9, v[8:9]
	v_lshlrev_b32_e32 v14, 2, v8
	v_or_b32_e32 v20, 31, v6
	v_and_b32_e32 v17, 60, v13
	v_or_b32_e32 v0, v5, v6
	v_mad_i32_i24 v19, 0xffffffe4, v8, v15
	v_cmp_eq_u32_e64 s0, 0, v5
	v_cmp_gt_u32_e64 s6, 16, v8
	v_cmp_lt_u32_e64 s7, 31, v8
	v_cmp_eq_u32_e64 s8, 0, v8
	v_add_nc_u32_e32 v16, 64, v15
	v_lshlrev_b32_e32 v18, 2, v7
	v_cmp_eq_u32_e64 s9, v20, v8
	v_add_nc_u32_e32 v20, -4, v17
	v_lshlrev_b32_e32 v21, 3, v0
	v_lshrrev_b32_e32 v22, 5, v3
	v_add_nc_u32_e32 v23, v19, v14
	s_waitcnt vmcnt(0)
	v_xor_b32_e32 v2, 0x80000000, v2
	s_branch .LBB328_2
.LBB328_1:                              ;   in Loop: Header=BB328_2 Depth=1
	s_delay_alu instid0(VALU_DEP_1)
	v_lshlrev_b32_e32 v0, 3, v0
	s_barrier
	buffer_gl0_inv
	s_add_i32 s11, s11, 1
	ds_store_b64 v0, v[13:14]
	s_waitcnt lgkmcnt(0)
	s_barrier
	buffer_gl0_inv
	ds_load_b64 v[1:2], v23
	s_cmp_eq_u32 s11, 10
	s_cbranch_scc1 .LBB328_14
.LBB328_2:                              ; =>This Loop Header: Depth=1
                                        ;     Child Loop BB328_4 Depth 2
	s_mov_b64 s[14:15], 0
	s_branch .LBB328_4
.LBB328_3:                              ;   in Loop: Header=BB328_4 Depth=2
	s_delay_alu instid0(VALU_DEP_1)
	v_lshlrev_b32_e32 v1, 3, v0
	s_barrier
	buffer_gl0_inv
	s_add_u32 s14, s14, 8
	ds_store_b64 v1, v[13:14]
	s_waitcnt lgkmcnt(0)
	s_barrier
	buffer_gl0_inv
	ds_load_b64 v[1:2], v21
	s_addc_u32 s15, s15, 0
	s_waitcnt lgkmcnt(0)
	s_barrier
	buffer_gl0_inv
	s_cbranch_execz .LBB328_1
.LBB328_4:                              ;   Parent Loop BB328_2 Depth=1
                                        ; =>  This Inner Loop Header: Depth=2
	s_waitcnt lgkmcnt(0)
	v_dual_mov_b32 v14, v2 :: v_dual_mov_b32 v13, v1
	ds_store_2addr_b64 v15, v[11:12], v[9:10] offset0:8 offset1:9
	ds_store_2addr_b64 v16, v[11:12], v[9:10] offset0:2 offset1:3
	s_waitcnt lgkmcnt(0)
	s_barrier
	buffer_gl0_inv
	v_lshrrev_b64 v[1:2], s14, v[13:14]
	; wave barrier
	s_delay_alu instid0(VALU_DEP_1)
	v_and_b32_e32 v0, 1, v1
	v_lshlrev_b32_e32 v2, 30, v1
	v_lshlrev_b32_e32 v3, 29, v1
	;; [unrolled: 1-line block ×4, first 2 shown]
	v_add_co_u32 v0, s10, v0, -1
	s_delay_alu instid0(VALU_DEP_1)
	v_cndmask_b32_e64 v5, 0, 1, s10
	v_not_b32_e32 v25, v2
	v_cmp_gt_i32_e64 s10, 0, v2
	v_not_b32_e32 v2, v3
	v_lshlrev_b32_e32 v7, 26, v1
	v_cmp_ne_u32_e32 vcc_lo, 0, v5
	v_ashrrev_i32_e32 v25, 31, v25
	v_lshlrev_b32_e32 v24, 25, v1
	v_ashrrev_i32_e32 v2, 31, v2
	v_lshlrev_b32_e32 v5, 24, v1
	v_xor_b32_e32 v0, vcc_lo, v0
	v_cmp_gt_i32_e32 vcc_lo, 0, v3
	v_not_b32_e32 v3, v4
	v_xor_b32_e32 v25, s10, v25
	v_cmp_gt_i32_e64 s10, 0, v4
	v_and_b32_e32 v0, exec_lo, v0
	v_not_b32_e32 v4, v6
	v_ashrrev_i32_e32 v3, 31, v3
	v_xor_b32_e32 v2, vcc_lo, v2
	v_cmp_gt_i32_e32 vcc_lo, 0, v6
	v_and_b32_e32 v0, v0, v25
	v_not_b32_e32 v6, v7
	v_ashrrev_i32_e32 v4, 31, v4
	v_xor_b32_e32 v3, s10, v3
	v_cmp_gt_i32_e64 s10, 0, v7
	v_and_b32_e32 v0, v0, v2
	v_not_b32_e32 v2, v24
	v_ashrrev_i32_e32 v6, 31, v6
	v_xor_b32_e32 v4, vcc_lo, v4
	v_cmp_gt_i32_e32 vcc_lo, 0, v24
	v_and_b32_e32 v0, v0, v3
	v_not_b32_e32 v3, v5
	v_ashrrev_i32_e32 v2, 31, v2
	v_xor_b32_e32 v6, s10, v6
	v_cmp_gt_i32_e64 s10, 0, v5
	v_and_b32_e32 v0, v0, v4
	v_ashrrev_i32_e32 v3, 31, v3
	v_xor_b32_e32 v2, vcc_lo, v2
	v_and_b32_e32 v1, 0xff, v1
	s_delay_alu instid0(VALU_DEP_4) | instskip(NEXT) | instid1(VALU_DEP_4)
	v_and_b32_e32 v0, v0, v6
	v_xor_b32_e32 v3, s10, v3
	s_delay_alu instid0(VALU_DEP_3) | instskip(NEXT) | instid1(VALU_DEP_3)
	v_lshl_add_u32 v1, v1, 4, v22
	v_and_b32_e32 v0, v0, v2
	s_delay_alu instid0(VALU_DEP_2) | instskip(NEXT) | instid1(VALU_DEP_2)
	v_lshl_add_u32 v25, v1, 2, 64
	v_and_b32_e32 v0, v0, v3
	s_delay_alu instid0(VALU_DEP_1) | instskip(SKIP_1) | instid1(VALU_DEP_2)
	v_mbcnt_lo_u32_b32 v24, v0, 0
	v_cmp_ne_u32_e64 s10, 0, v0
	v_cmp_eq_u32_e32 vcc_lo, 0, v24
	s_delay_alu instid0(VALU_DEP_2) | instskip(NEXT) | instid1(SALU_CYCLE_1)
	s_and_b32 s16, s10, vcc_lo
	s_and_saveexec_b32 s10, s16
	s_cbranch_execz .LBB328_6
; %bb.5:                                ;   in Loop: Header=BB328_4 Depth=2
	v_bcnt_u32_b32 v0, v0, 0
	ds_store_b32 v25, v0
.LBB328_6:                              ;   in Loop: Header=BB328_4 Depth=2
	s_or_b32 exec_lo, exec_lo, s10
	; wave barrier
	s_waitcnt lgkmcnt(0)
	s_barrier
	buffer_gl0_inv
	ds_load_2addr_b64 v[4:7], v15 offset0:8 offset1:9
	ds_load_2addr_b64 v[0:3], v16 offset0:2 offset1:3
	s_waitcnt lgkmcnt(1)
	v_add_nc_u32_e32 v26, v5, v4
	s_delay_alu instid0(VALU_DEP_1) | instskip(SKIP_1) | instid1(VALU_DEP_1)
	v_add3_u32 v26, v26, v6, v7
	s_waitcnt lgkmcnt(0)
	v_add3_u32 v26, v26, v0, v1
	s_delay_alu instid0(VALU_DEP_1) | instskip(NEXT) | instid1(VALU_DEP_1)
	v_add3_u32 v3, v26, v2, v3
	v_mov_b32_dpp v26, v3 row_shr:1 row_mask:0xf bank_mask:0xf
	s_delay_alu instid0(VALU_DEP_1) | instskip(NEXT) | instid1(VALU_DEP_1)
	v_cndmask_b32_e64 v26, v26, 0, s1
	v_add_nc_u32_e32 v3, v26, v3
	s_delay_alu instid0(VALU_DEP_1) | instskip(NEXT) | instid1(VALU_DEP_1)
	v_mov_b32_dpp v26, v3 row_shr:2 row_mask:0xf bank_mask:0xf
	v_cndmask_b32_e64 v26, 0, v26, s2
	s_delay_alu instid0(VALU_DEP_1) | instskip(NEXT) | instid1(VALU_DEP_1)
	v_add_nc_u32_e32 v3, v3, v26
	v_mov_b32_dpp v26, v3 row_shr:4 row_mask:0xf bank_mask:0xf
	s_delay_alu instid0(VALU_DEP_1) | instskip(NEXT) | instid1(VALU_DEP_1)
	v_cndmask_b32_e64 v26, 0, v26, s3
	v_add_nc_u32_e32 v3, v3, v26
	s_delay_alu instid0(VALU_DEP_1) | instskip(NEXT) | instid1(VALU_DEP_1)
	v_mov_b32_dpp v26, v3 row_shr:8 row_mask:0xf bank_mask:0xf
	v_cndmask_b32_e64 v26, 0, v26, s4
	s_delay_alu instid0(VALU_DEP_1) | instskip(SKIP_3) | instid1(VALU_DEP_1)
	v_add_nc_u32_e32 v3, v3, v26
	ds_swizzle_b32 v26, v3 offset:swizzle(BROADCAST,32,15)
	s_waitcnt lgkmcnt(0)
	v_cndmask_b32_e64 v26, v26, 0, s5
	v_add_nc_u32_e32 v3, v3, v26
	s_and_saveexec_b32 s10, s9
	s_cbranch_execz .LBB328_8
; %bb.7:                                ;   in Loop: Header=BB328_4 Depth=2
	ds_store_b32 v17, v3
.LBB328_8:                              ;   in Loop: Header=BB328_4 Depth=2
	s_or_b32 exec_lo, exec_lo, s10
	s_waitcnt lgkmcnt(0)
	s_barrier
	buffer_gl0_inv
	s_and_saveexec_b32 s10, s6
	s_cbranch_execz .LBB328_10
; %bb.9:                                ;   in Loop: Header=BB328_4 Depth=2
	ds_load_b32 v26, v19
	s_waitcnt lgkmcnt(0)
	v_mov_b32_dpp v27, v26 row_shr:1 row_mask:0xf bank_mask:0xf
	s_delay_alu instid0(VALU_DEP_1) | instskip(NEXT) | instid1(VALU_DEP_1)
	v_cndmask_b32_e64 v27, v27, 0, s1
	v_add_nc_u32_e32 v26, v27, v26
	s_delay_alu instid0(VALU_DEP_1) | instskip(NEXT) | instid1(VALU_DEP_1)
	v_mov_b32_dpp v27, v26 row_shr:2 row_mask:0xf bank_mask:0xf
	v_cndmask_b32_e64 v27, 0, v27, s2
	s_delay_alu instid0(VALU_DEP_1) | instskip(NEXT) | instid1(VALU_DEP_1)
	v_add_nc_u32_e32 v26, v26, v27
	v_mov_b32_dpp v27, v26 row_shr:4 row_mask:0xf bank_mask:0xf
	s_delay_alu instid0(VALU_DEP_1) | instskip(NEXT) | instid1(VALU_DEP_1)
	v_cndmask_b32_e64 v27, 0, v27, s3
	v_add_nc_u32_e32 v26, v26, v27
	s_delay_alu instid0(VALU_DEP_1) | instskip(NEXT) | instid1(VALU_DEP_1)
	v_mov_b32_dpp v27, v26 row_shr:8 row_mask:0xf bank_mask:0xf
	v_cndmask_b32_e64 v27, 0, v27, s4
	s_delay_alu instid0(VALU_DEP_1)
	v_add_nc_u32_e32 v26, v26, v27
	ds_store_b32 v19, v26
.LBB328_10:                             ;   in Loop: Header=BB328_4 Depth=2
	s_or_b32 exec_lo, exec_lo, s10
	v_mov_b32_e32 v26, 0
	s_waitcnt lgkmcnt(0)
	s_barrier
	buffer_gl0_inv
	s_and_saveexec_b32 s10, s7
	s_cbranch_execz .LBB328_12
; %bb.11:                               ;   in Loop: Header=BB328_4 Depth=2
	ds_load_b32 v26, v20
.LBB328_12:                             ;   in Loop: Header=BB328_4 Depth=2
	s_or_b32 exec_lo, exec_lo, s10
	s_waitcnt lgkmcnt(0)
	v_add_nc_u32_e32 v3, v26, v3
	s_cmp_gt_u32 s14, 55
	ds_bpermute_b32 v3, v18, v3
	s_waitcnt lgkmcnt(0)
	v_cndmask_b32_e64 v3, v3, v26, s0
	s_delay_alu instid0(VALU_DEP_1) | instskip(NEXT) | instid1(VALU_DEP_1)
	v_cndmask_b32_e64 v3, v3, 0, s8
	v_add_nc_u32_e32 v4, v3, v4
	s_delay_alu instid0(VALU_DEP_1) | instskip(NEXT) | instid1(VALU_DEP_1)
	v_add_nc_u32_e32 v5, v4, v5
	v_add_nc_u32_e32 v6, v5, v6
	s_delay_alu instid0(VALU_DEP_1) | instskip(NEXT) | instid1(VALU_DEP_1)
	v_add_nc_u32_e32 v26, v6, v7
	;; [unrolled: 3-line block ×3, first 2 shown]
	v_add_nc_u32_e32 v1, v0, v2
	ds_store_2addr_b64 v15, v[3:4], v[5:6] offset0:8 offset1:9
	ds_store_2addr_b64 v16, v[26:27], v[0:1] offset0:2 offset1:3
	s_waitcnt lgkmcnt(0)
	s_barrier
	buffer_gl0_inv
	ds_load_b32 v0, v25
	s_waitcnt lgkmcnt(0)
	v_add_nc_u32_e32 v0, v0, v24
	s_cbranch_scc0 .LBB328_3
; %bb.13:                               ;   in Loop: Header=BB328_2 Depth=1
                                        ; implicit-def: $vgpr1_vgpr2
                                        ; implicit-def: $sgpr14_sgpr15
	s_branch .LBB328_1
.LBB328_14:
	s_waitcnt lgkmcnt(0)
	v_xor_b32_e32 v2, 0x80000000, v2
	v_lshlrev_b32_e32 v0, 3, v8
	s_add_u32 s0, s18, s12
	s_addc_u32 s1, s19, s13
	global_store_b64 v0, v[1:2], s[0:1]
	s_nop 0
	s_sendmsg sendmsg(MSG_DEALLOC_VGPRS)
	s_endpgm
	.section	.rodata,"a",@progbits
	.p2align	6, 0x0
	.amdhsa_kernel _Z16sort_keys_kernelI22helper_blocked_stripedxLj512ELj1ELj10EEvPKT0_PS1_
		.amdhsa_group_segment_fixed_size 16448
		.amdhsa_private_segment_fixed_size 0
		.amdhsa_kernarg_size 272
		.amdhsa_user_sgpr_count 15
		.amdhsa_user_sgpr_dispatch_ptr 0
		.amdhsa_user_sgpr_queue_ptr 0
		.amdhsa_user_sgpr_kernarg_segment_ptr 1
		.amdhsa_user_sgpr_dispatch_id 0
		.amdhsa_user_sgpr_private_segment_size 0
		.amdhsa_wavefront_size32 1
		.amdhsa_uses_dynamic_stack 0
		.amdhsa_enable_private_segment 0
		.amdhsa_system_sgpr_workgroup_id_x 1
		.amdhsa_system_sgpr_workgroup_id_y 0
		.amdhsa_system_sgpr_workgroup_id_z 0
		.amdhsa_system_sgpr_workgroup_info 0
		.amdhsa_system_vgpr_workitem_id 2
		.amdhsa_next_free_vgpr 28
		.amdhsa_next_free_sgpr 20
		.amdhsa_reserve_vcc 1
		.amdhsa_float_round_mode_32 0
		.amdhsa_float_round_mode_16_64 0
		.amdhsa_float_denorm_mode_32 3
		.amdhsa_float_denorm_mode_16_64 3
		.amdhsa_dx10_clamp 1
		.amdhsa_ieee_mode 1
		.amdhsa_fp16_overflow 0
		.amdhsa_workgroup_processor_mode 1
		.amdhsa_memory_ordered 1
		.amdhsa_forward_progress 0
		.amdhsa_shared_vgpr_count 0
		.amdhsa_exception_fp_ieee_invalid_op 0
		.amdhsa_exception_fp_denorm_src 0
		.amdhsa_exception_fp_ieee_div_zero 0
		.amdhsa_exception_fp_ieee_overflow 0
		.amdhsa_exception_fp_ieee_underflow 0
		.amdhsa_exception_fp_ieee_inexact 0
		.amdhsa_exception_int_div_zero 0
	.end_amdhsa_kernel
	.section	.text._Z16sort_keys_kernelI22helper_blocked_stripedxLj512ELj1ELj10EEvPKT0_PS1_,"axG",@progbits,_Z16sort_keys_kernelI22helper_blocked_stripedxLj512ELj1ELj10EEvPKT0_PS1_,comdat
.Lfunc_end328:
	.size	_Z16sort_keys_kernelI22helper_blocked_stripedxLj512ELj1ELj10EEvPKT0_PS1_, .Lfunc_end328-_Z16sort_keys_kernelI22helper_blocked_stripedxLj512ELj1ELj10EEvPKT0_PS1_
                                        ; -- End function
	.section	.AMDGPU.csdata,"",@progbits
; Kernel info:
; codeLenInByte = 1460
; NumSgprs: 22
; NumVgprs: 28
; ScratchSize: 0
; MemoryBound: 0
; FloatMode: 240
; IeeeMode: 1
; LDSByteSize: 16448 bytes/workgroup (compile time only)
; SGPRBlocks: 2
; VGPRBlocks: 3
; NumSGPRsForWavesPerEU: 22
; NumVGPRsForWavesPerEU: 28
; Occupancy: 16
; WaveLimiterHint : 0
; COMPUTE_PGM_RSRC2:SCRATCH_EN: 0
; COMPUTE_PGM_RSRC2:USER_SGPR: 15
; COMPUTE_PGM_RSRC2:TRAP_HANDLER: 0
; COMPUTE_PGM_RSRC2:TGID_X_EN: 1
; COMPUTE_PGM_RSRC2:TGID_Y_EN: 0
; COMPUTE_PGM_RSRC2:TGID_Z_EN: 0
; COMPUTE_PGM_RSRC2:TIDIG_COMP_CNT: 2
	.section	.text._Z17sort_pairs_kernelI22helper_blocked_stripedxLj512ELj1ELj10EEvPKT0_PS1_,"axG",@progbits,_Z17sort_pairs_kernelI22helper_blocked_stripedxLj512ELj1ELj10EEvPKT0_PS1_,comdat
	.protected	_Z17sort_pairs_kernelI22helper_blocked_stripedxLj512ELj1ELj10EEvPKT0_PS1_ ; -- Begin function _Z17sort_pairs_kernelI22helper_blocked_stripedxLj512ELj1ELj10EEvPKT0_PS1_
	.globl	_Z17sort_pairs_kernelI22helper_blocked_stripedxLj512ELj1ELj10EEvPKT0_PS1_
	.p2align	8
	.type	_Z17sort_pairs_kernelI22helper_blocked_stripedxLj512ELj1ELj10EEvPKT0_PS1_,@function
_Z17sort_pairs_kernelI22helper_blocked_stripedxLj512ELj1ELj10EEvPKT0_PS1_: ; @_Z17sort_pairs_kernelI22helper_blocked_stripedxLj512ELj1ELj10EEvPKT0_PS1_
; %bb.0:
	s_clause 0x1
	s_load_b128 s[16:19], s[0:1], 0x0
	s_load_b32 s9, s[0:1], 0x1c
	v_and_b32_e32 v8, 0x3ff, v0
	s_mov_b32 s11, 0
	s_lshl_b32 s10, s15, 9
	v_mbcnt_lo_u32_b32 v5, -1, 0
	s_lshl_b64 s[12:13], s[10:11], 3
	v_lshlrev_b32_e32 v1, 3, v8
	v_bfe_u32 v3, v0, 10, 10
	v_bfe_u32 v0, v0, 20, 10
	s_mov_b32 s10, s11
	v_dual_mov_b32 v12, s11 :: v_dual_add_nc_u32 v7, -1, v5
	v_dual_mov_b32 v11, s10 :: v_dual_and_b32 v4, 15, v5
	v_and_b32_e32 v6, 16, v5
	s_delay_alu instid0(VALU_DEP_3) | instskip(NEXT) | instid1(VALU_DEP_3)
	v_cmp_gt_i32_e32 vcc_lo, 0, v7
	v_cmp_lt_u32_e64 s2, 1, v4
	v_cmp_lt_u32_e64 s3, 3, v4
	s_waitcnt lgkmcnt(0)
	s_add_u32 s0, s16, s12
	s_addc_u32 s1, s17, s13
	s_lshr_b32 s10, s9, 16
	global_load_b64 v[1:2], v1, s[0:1]
	s_mov_b32 s1, s11
	s_mov_b32 s0, s11
	s_delay_alu instid0(SALU_CYCLE_1)
	v_dual_mov_b32 v10, s1 :: v_dual_mov_b32 v9, s0
	v_mad_u32_u24 v0, v0, s10, v3
	s_and_b32 s9, s9, 0xffff
	v_lshlrev_b32_e32 v17, 5, v8
	v_cmp_eq_u32_e64 s1, 0, v4
	v_cmp_lt_u32_e64 s4, 7, v4
	v_cmp_eq_u32_e64 s5, 0, v6
	v_dual_cndmask_b32 v7, v7, v5 :: v_dual_and_b32 v6, 0x1e0, v8
	v_lshrrev_b32_e32 v13, 3, v8
	v_mad_u64_u32 v[3:4], null, v0, s9, v[8:9]
	v_lshlrev_b32_e32 v14, 2, v8
	s_delay_alu instid0(VALU_DEP_4) | instskip(NEXT) | instid1(VALU_DEP_4)
	v_or_b32_e32 v15, 31, v6
	v_and_b32_e32 v19, 60, v13
	v_or_b32_e32 v0, v5, v6
	v_mad_i32_i24 v21, 0xffffffe4, v8, v17
	v_cmp_eq_u32_e64 s0, 0, v5
	v_lshrrev_b32_e32 v24, 5, v3
	v_cmp_gt_u32_e64 s6, 16, v8
	v_cmp_lt_u32_e64 s7, 31, v8
	v_cmp_eq_u32_e64 s8, 0, v8
	v_add_nc_u32_e32 v18, 64, v17
	v_lshlrev_b32_e32 v20, 2, v7
	v_cmp_eq_u32_e64 s9, v15, v8
	v_add_nc_u32_e32 v22, -4, v19
	v_lshlrev_b32_e32 v23, 3, v0
	v_add_nc_u32_e32 v25, v21, v14
	s_waitcnt vmcnt(0)
	v_add_co_u32 v3, vcc_lo, v1, 1
	v_add_co_ci_u32_e32 v4, vcc_lo, 0, v2, vcc_lo
	v_xor_b32_e32 v2, 0x80000000, v2
	s_branch .LBB329_2
.LBB329_1:                              ;   in Loop: Header=BB329_2 Depth=1
	s_delay_alu instid0(VALU_DEP_1)
	v_lshlrev_b32_e32 v0, 3, v0
	s_barrier
	buffer_gl0_inv
	s_add_i32 s11, s11, 1
	ds_store_b64 v0, v[13:14]
	s_waitcnt lgkmcnt(0)
	s_barrier
	buffer_gl0_inv
	ds_load_b64 v[1:2], v25
	s_waitcnt lgkmcnt(0)
	s_barrier
	buffer_gl0_inv
	ds_store_b64 v0, v[15:16]
	s_waitcnt lgkmcnt(0)
	s_barrier
	buffer_gl0_inv
	ds_load_b64 v[3:4], v25
	s_cmp_lg_u32 s11, 10
	s_cbranch_scc0 .LBB329_14
.LBB329_2:                              ; =>This Loop Header: Depth=1
                                        ;     Child Loop BB329_4 Depth 2
	s_mov_b64 s[14:15], 0
	s_branch .LBB329_4
.LBB329_3:                              ;   in Loop: Header=BB329_4 Depth=2
	s_delay_alu instid0(VALU_DEP_1)
	v_lshlrev_b32_e32 v3, 3, v0
	s_barrier
	buffer_gl0_inv
	s_add_u32 s14, s14, 8
	ds_store_b64 v3, v[13:14]
	s_waitcnt lgkmcnt(0)
	s_barrier
	buffer_gl0_inv
	ds_load_b64 v[1:2], v23
	s_waitcnt lgkmcnt(0)
	s_barrier
	buffer_gl0_inv
	ds_store_b64 v3, v[15:16]
	s_waitcnt lgkmcnt(0)
	s_barrier
	buffer_gl0_inv
	ds_load_b64 v[3:4], v23
	s_addc_u32 s15, s15, 0
	s_waitcnt lgkmcnt(0)
	s_barrier
	buffer_gl0_inv
	s_cbranch_execz .LBB329_1
.LBB329_4:                              ;   Parent Loop BB329_2 Depth=1
                                        ; =>  This Inner Loop Header: Depth=2
	s_delay_alu instid0(VALU_DEP_1)
	v_dual_mov_b32 v14, v2 :: v_dual_mov_b32 v13, v1
	ds_store_2addr_b64 v17, v[11:12], v[9:10] offset0:8 offset1:9
	ds_store_2addr_b64 v18, v[11:12], v[9:10] offset0:2 offset1:3
	s_waitcnt lgkmcnt(0)
	s_barrier
	buffer_gl0_inv
	v_lshrrev_b64 v[1:2], s14, v[13:14]
	; wave barrier
	s_delay_alu instid0(VALU_DEP_1)
	v_and_b32_e32 v0, 1, v1
	v_lshlrev_b32_e32 v2, 30, v1
	v_lshlrev_b32_e32 v5, 29, v1
	;; [unrolled: 1-line block ×4, first 2 shown]
	v_add_co_u32 v0, s10, v0, -1
	s_delay_alu instid0(VALU_DEP_1)
	v_cndmask_b32_e64 v7, 0, 1, s10
	v_not_b32_e32 v27, v2
	v_cmp_gt_i32_e64 s10, 0, v2
	v_not_b32_e32 v2, v5
	v_lshlrev_b32_e32 v16, 26, v1
	v_cmp_ne_u32_e32 vcc_lo, 0, v7
	v_ashrrev_i32_e32 v27, 31, v27
	v_lshlrev_b32_e32 v26, 25, v1
	v_ashrrev_i32_e32 v2, 31, v2
	v_lshlrev_b32_e32 v7, 24, v1
	v_xor_b32_e32 v0, vcc_lo, v0
	v_cmp_gt_i32_e32 vcc_lo, 0, v5
	v_not_b32_e32 v5, v6
	v_xor_b32_e32 v27, s10, v27
	v_cmp_gt_i32_e64 s10, 0, v6
	v_and_b32_e32 v0, exec_lo, v0
	v_not_b32_e32 v6, v15
	v_ashrrev_i32_e32 v5, 31, v5
	v_xor_b32_e32 v2, vcc_lo, v2
	v_cmp_gt_i32_e32 vcc_lo, 0, v15
	v_and_b32_e32 v0, v0, v27
	v_not_b32_e32 v15, v16
	v_ashrrev_i32_e32 v6, 31, v6
	v_xor_b32_e32 v5, s10, v5
	v_cmp_gt_i32_e64 s10, 0, v16
	v_and_b32_e32 v0, v0, v2
	v_not_b32_e32 v2, v26
	v_ashrrev_i32_e32 v15, 31, v15
	v_xor_b32_e32 v6, vcc_lo, v6
	v_cmp_gt_i32_e32 vcc_lo, 0, v26
	v_and_b32_e32 v0, v0, v5
	v_not_b32_e32 v5, v7
	v_ashrrev_i32_e32 v2, 31, v2
	v_xor_b32_e32 v15, s10, v15
	v_cmp_gt_i32_e64 s10, 0, v7
	v_and_b32_e32 v0, v0, v6
	v_ashrrev_i32_e32 v5, 31, v5
	v_xor_b32_e32 v2, vcc_lo, v2
	v_and_b32_e32 v1, 0xff, v1
	s_delay_alu instid0(VALU_DEP_4) | instskip(SKIP_2) | instid1(VALU_DEP_4)
	v_and_b32_e32 v0, v0, v15
	v_mov_b32_e32 v16, v4
	v_xor_b32_e32 v5, s10, v5
	v_lshl_add_u32 v1, v1, 4, v24
	s_delay_alu instid0(VALU_DEP_4) | instskip(NEXT) | instid1(VALU_DEP_2)
	v_dual_mov_b32 v15, v3 :: v_dual_and_b32 v0, v0, v2
	v_lshl_add_u32 v27, v1, 2, 64
	s_delay_alu instid0(VALU_DEP_2) | instskip(NEXT) | instid1(VALU_DEP_1)
	v_and_b32_e32 v0, v0, v5
	v_mbcnt_lo_u32_b32 v26, v0, 0
	v_cmp_ne_u32_e64 s10, 0, v0
	s_delay_alu instid0(VALU_DEP_2) | instskip(NEXT) | instid1(VALU_DEP_2)
	v_cmp_eq_u32_e32 vcc_lo, 0, v26
	s_and_b32 s16, s10, vcc_lo
	s_delay_alu instid0(SALU_CYCLE_1)
	s_and_saveexec_b32 s10, s16
	s_cbranch_execz .LBB329_6
; %bb.5:                                ;   in Loop: Header=BB329_4 Depth=2
	v_bcnt_u32_b32 v0, v0, 0
	ds_store_b32 v27, v0
.LBB329_6:                              ;   in Loop: Header=BB329_4 Depth=2
	s_or_b32 exec_lo, exec_lo, s10
	; wave barrier
	s_waitcnt lgkmcnt(0)
	s_barrier
	buffer_gl0_inv
	ds_load_2addr_b64 v[4:7], v17 offset0:8 offset1:9
	ds_load_2addr_b64 v[0:3], v18 offset0:2 offset1:3
	s_waitcnt lgkmcnt(1)
	v_add_nc_u32_e32 v28, v5, v4
	s_delay_alu instid0(VALU_DEP_1) | instskip(SKIP_1) | instid1(VALU_DEP_1)
	v_add3_u32 v28, v28, v6, v7
	s_waitcnt lgkmcnt(0)
	v_add3_u32 v28, v28, v0, v1
	s_delay_alu instid0(VALU_DEP_1) | instskip(NEXT) | instid1(VALU_DEP_1)
	v_add3_u32 v3, v28, v2, v3
	v_mov_b32_dpp v28, v3 row_shr:1 row_mask:0xf bank_mask:0xf
	s_delay_alu instid0(VALU_DEP_1) | instskip(NEXT) | instid1(VALU_DEP_1)
	v_cndmask_b32_e64 v28, v28, 0, s1
	v_add_nc_u32_e32 v3, v28, v3
	s_delay_alu instid0(VALU_DEP_1) | instskip(NEXT) | instid1(VALU_DEP_1)
	v_mov_b32_dpp v28, v3 row_shr:2 row_mask:0xf bank_mask:0xf
	v_cndmask_b32_e64 v28, 0, v28, s2
	s_delay_alu instid0(VALU_DEP_1) | instskip(NEXT) | instid1(VALU_DEP_1)
	v_add_nc_u32_e32 v3, v3, v28
	v_mov_b32_dpp v28, v3 row_shr:4 row_mask:0xf bank_mask:0xf
	s_delay_alu instid0(VALU_DEP_1) | instskip(NEXT) | instid1(VALU_DEP_1)
	v_cndmask_b32_e64 v28, 0, v28, s3
	v_add_nc_u32_e32 v3, v3, v28
	s_delay_alu instid0(VALU_DEP_1) | instskip(NEXT) | instid1(VALU_DEP_1)
	v_mov_b32_dpp v28, v3 row_shr:8 row_mask:0xf bank_mask:0xf
	v_cndmask_b32_e64 v28, 0, v28, s4
	s_delay_alu instid0(VALU_DEP_1) | instskip(SKIP_3) | instid1(VALU_DEP_1)
	v_add_nc_u32_e32 v3, v3, v28
	ds_swizzle_b32 v28, v3 offset:swizzle(BROADCAST,32,15)
	s_waitcnt lgkmcnt(0)
	v_cndmask_b32_e64 v28, v28, 0, s5
	v_add_nc_u32_e32 v3, v3, v28
	s_and_saveexec_b32 s10, s9
	s_cbranch_execz .LBB329_8
; %bb.7:                                ;   in Loop: Header=BB329_4 Depth=2
	ds_store_b32 v19, v3
.LBB329_8:                              ;   in Loop: Header=BB329_4 Depth=2
	s_or_b32 exec_lo, exec_lo, s10
	s_waitcnt lgkmcnt(0)
	s_barrier
	buffer_gl0_inv
	s_and_saveexec_b32 s10, s6
	s_cbranch_execz .LBB329_10
; %bb.9:                                ;   in Loop: Header=BB329_4 Depth=2
	ds_load_b32 v28, v21
	s_waitcnt lgkmcnt(0)
	v_mov_b32_dpp v29, v28 row_shr:1 row_mask:0xf bank_mask:0xf
	s_delay_alu instid0(VALU_DEP_1) | instskip(NEXT) | instid1(VALU_DEP_1)
	v_cndmask_b32_e64 v29, v29, 0, s1
	v_add_nc_u32_e32 v28, v29, v28
	s_delay_alu instid0(VALU_DEP_1) | instskip(NEXT) | instid1(VALU_DEP_1)
	v_mov_b32_dpp v29, v28 row_shr:2 row_mask:0xf bank_mask:0xf
	v_cndmask_b32_e64 v29, 0, v29, s2
	s_delay_alu instid0(VALU_DEP_1) | instskip(NEXT) | instid1(VALU_DEP_1)
	v_add_nc_u32_e32 v28, v28, v29
	v_mov_b32_dpp v29, v28 row_shr:4 row_mask:0xf bank_mask:0xf
	s_delay_alu instid0(VALU_DEP_1) | instskip(NEXT) | instid1(VALU_DEP_1)
	v_cndmask_b32_e64 v29, 0, v29, s3
	v_add_nc_u32_e32 v28, v28, v29
	s_delay_alu instid0(VALU_DEP_1) | instskip(NEXT) | instid1(VALU_DEP_1)
	v_mov_b32_dpp v29, v28 row_shr:8 row_mask:0xf bank_mask:0xf
	v_cndmask_b32_e64 v29, 0, v29, s4
	s_delay_alu instid0(VALU_DEP_1)
	v_add_nc_u32_e32 v28, v28, v29
	ds_store_b32 v21, v28
.LBB329_10:                             ;   in Loop: Header=BB329_4 Depth=2
	s_or_b32 exec_lo, exec_lo, s10
	v_mov_b32_e32 v28, 0
	s_waitcnt lgkmcnt(0)
	s_barrier
	buffer_gl0_inv
	s_and_saveexec_b32 s10, s7
	s_cbranch_execz .LBB329_12
; %bb.11:                               ;   in Loop: Header=BB329_4 Depth=2
	ds_load_b32 v28, v22
.LBB329_12:                             ;   in Loop: Header=BB329_4 Depth=2
	s_or_b32 exec_lo, exec_lo, s10
	s_waitcnt lgkmcnt(0)
	v_add_nc_u32_e32 v3, v28, v3
	s_cmp_gt_u32 s14, 55
	ds_bpermute_b32 v3, v20, v3
	s_waitcnt lgkmcnt(0)
	v_cndmask_b32_e64 v3, v3, v28, s0
	s_delay_alu instid0(VALU_DEP_1) | instskip(NEXT) | instid1(VALU_DEP_1)
	v_cndmask_b32_e64 v3, v3, 0, s8
	v_add_nc_u32_e32 v4, v3, v4
	s_delay_alu instid0(VALU_DEP_1) | instskip(NEXT) | instid1(VALU_DEP_1)
	v_add_nc_u32_e32 v5, v4, v5
	v_add_nc_u32_e32 v6, v5, v6
	s_delay_alu instid0(VALU_DEP_1) | instskip(NEXT) | instid1(VALU_DEP_1)
	v_add_nc_u32_e32 v28, v6, v7
	;; [unrolled: 3-line block ×3, first 2 shown]
	v_add_nc_u32_e32 v1, v0, v2
	ds_store_2addr_b64 v17, v[3:4], v[5:6] offset0:8 offset1:9
	ds_store_2addr_b64 v18, v[28:29], v[0:1] offset0:2 offset1:3
	s_waitcnt lgkmcnt(0)
	s_barrier
	buffer_gl0_inv
	ds_load_b32 v0, v27
	s_waitcnt lgkmcnt(0)
	v_add_nc_u32_e32 v0, v0, v26
	s_cbranch_scc0 .LBB329_3
; %bb.13:                               ;   in Loop: Header=BB329_2 Depth=1
                                        ; implicit-def: $vgpr3_vgpr4
                                        ; implicit-def: $vgpr1_vgpr2
                                        ; implicit-def: $sgpr14_sgpr15
	s_branch .LBB329_1
.LBB329_14:
	s_waitcnt lgkmcnt(0)
	v_add_co_u32 v0, vcc_lo, v3, v1
	v_add_co_ci_u32_e32 v1, vcc_lo, v4, v2, vcc_lo
	v_lshlrev_b32_e32 v2, 3, v8
	s_delay_alu instid0(VALU_DEP_3) | instskip(NEXT) | instid1(VALU_DEP_3)
	v_add_co_u32 v0, vcc_lo, v0, 0
	v_add_co_ci_u32_e32 v1, vcc_lo, 0x80000000, v1, vcc_lo
	s_add_u32 s0, s18, s12
	s_addc_u32 s1, s19, s13
	global_store_b64 v2, v[0:1], s[0:1]
	s_nop 0
	s_sendmsg sendmsg(MSG_DEALLOC_VGPRS)
	s_endpgm
	.section	.rodata,"a",@progbits
	.p2align	6, 0x0
	.amdhsa_kernel _Z17sort_pairs_kernelI22helper_blocked_stripedxLj512ELj1ELj10EEvPKT0_PS1_
		.amdhsa_group_segment_fixed_size 16448
		.amdhsa_private_segment_fixed_size 0
		.amdhsa_kernarg_size 272
		.amdhsa_user_sgpr_count 15
		.amdhsa_user_sgpr_dispatch_ptr 0
		.amdhsa_user_sgpr_queue_ptr 0
		.amdhsa_user_sgpr_kernarg_segment_ptr 1
		.amdhsa_user_sgpr_dispatch_id 0
		.amdhsa_user_sgpr_private_segment_size 0
		.amdhsa_wavefront_size32 1
		.amdhsa_uses_dynamic_stack 0
		.amdhsa_enable_private_segment 0
		.amdhsa_system_sgpr_workgroup_id_x 1
		.amdhsa_system_sgpr_workgroup_id_y 0
		.amdhsa_system_sgpr_workgroup_id_z 0
		.amdhsa_system_sgpr_workgroup_info 0
		.amdhsa_system_vgpr_workitem_id 2
		.amdhsa_next_free_vgpr 30
		.amdhsa_next_free_sgpr 20
		.amdhsa_reserve_vcc 1
		.amdhsa_float_round_mode_32 0
		.amdhsa_float_round_mode_16_64 0
		.amdhsa_float_denorm_mode_32 3
		.amdhsa_float_denorm_mode_16_64 3
		.amdhsa_dx10_clamp 1
		.amdhsa_ieee_mode 1
		.amdhsa_fp16_overflow 0
		.amdhsa_workgroup_processor_mode 1
		.amdhsa_memory_ordered 1
		.amdhsa_forward_progress 0
		.amdhsa_shared_vgpr_count 0
		.amdhsa_exception_fp_ieee_invalid_op 0
		.amdhsa_exception_fp_denorm_src 0
		.amdhsa_exception_fp_ieee_div_zero 0
		.amdhsa_exception_fp_ieee_overflow 0
		.amdhsa_exception_fp_ieee_underflow 0
		.amdhsa_exception_fp_ieee_inexact 0
		.amdhsa_exception_int_div_zero 0
	.end_amdhsa_kernel
	.section	.text._Z17sort_pairs_kernelI22helper_blocked_stripedxLj512ELj1ELj10EEvPKT0_PS1_,"axG",@progbits,_Z17sort_pairs_kernelI22helper_blocked_stripedxLj512ELj1ELj10EEvPKT0_PS1_,comdat
.Lfunc_end329:
	.size	_Z17sort_pairs_kernelI22helper_blocked_stripedxLj512ELj1ELj10EEvPKT0_PS1_, .Lfunc_end329-_Z17sort_pairs_kernelI22helper_blocked_stripedxLj512ELj1ELj10EEvPKT0_PS1_
                                        ; -- End function
	.section	.AMDGPU.csdata,"",@progbits
; Kernel info:
; codeLenInByte = 1604
; NumSgprs: 22
; NumVgprs: 30
; ScratchSize: 0
; MemoryBound: 0
; FloatMode: 240
; IeeeMode: 1
; LDSByteSize: 16448 bytes/workgroup (compile time only)
; SGPRBlocks: 2
; VGPRBlocks: 3
; NumSGPRsForWavesPerEU: 22
; NumVGPRsForWavesPerEU: 30
; Occupancy: 16
; WaveLimiterHint : 0
; COMPUTE_PGM_RSRC2:SCRATCH_EN: 0
; COMPUTE_PGM_RSRC2:USER_SGPR: 15
; COMPUTE_PGM_RSRC2:TRAP_HANDLER: 0
; COMPUTE_PGM_RSRC2:TGID_X_EN: 1
; COMPUTE_PGM_RSRC2:TGID_Y_EN: 0
; COMPUTE_PGM_RSRC2:TGID_Z_EN: 0
; COMPUTE_PGM_RSRC2:TIDIG_COMP_CNT: 2
	.section	.text._Z16sort_keys_kernelI22helper_blocked_stripedxLj512ELj3ELj10EEvPKT0_PS1_,"axG",@progbits,_Z16sort_keys_kernelI22helper_blocked_stripedxLj512ELj3ELj10EEvPKT0_PS1_,comdat
	.protected	_Z16sort_keys_kernelI22helper_blocked_stripedxLj512ELj3ELj10EEvPKT0_PS1_ ; -- Begin function _Z16sort_keys_kernelI22helper_blocked_stripedxLj512ELj3ELj10EEvPKT0_PS1_
	.globl	_Z16sort_keys_kernelI22helper_blocked_stripedxLj512ELj3ELj10EEvPKT0_PS1_
	.p2align	8
	.type	_Z16sort_keys_kernelI22helper_blocked_stripedxLj512ELj3ELj10EEvPKT0_PS1_,@function
_Z16sort_keys_kernelI22helper_blocked_stripedxLj512ELj3ELj10EEvPKT0_PS1_: ; @_Z16sort_keys_kernelI22helper_blocked_stripedxLj512ELj3ELj10EEvPKT0_PS1_
; %bb.0:
	s_clause 0x1
	s_load_b128 s[16:19], s[0:1], 0x0
	s_load_b32 s2, s[0:1], 0x1c
	s_mov_b32 s11, 0
	s_mul_i32 s10, s15, 0x600
	v_bfe_u32 v9, v0, 10, 10
	s_lshl_b64 s[12:13], s[10:11], 3
	s_mov_b32 s10, s11
	v_and_b32_e32 v8, 0x3ff, v0
	v_bfe_u32 v0, v0, 20, 10
	v_mbcnt_lo_u32_b32 v12, -1, 0
	s_mov_b32 s14, s11
	s_mov_b32 s15, s11
	v_mul_u32_u24_e32 v1, 3, v8
	v_lshrrev_b32_e32 v7, 5, v8
	v_cmp_eq_u32_e64 s8, 0, v12
	s_delay_alu instid0(VALU_DEP_3) | instskip(NEXT) | instid1(VALU_DEP_3)
	v_lshlrev_b32_e32 v1, 3, v1
	v_mul_u32_u24_e32 v11, 0x60, v7
	v_lshlrev_b32_e32 v25, 2, v7
	s_waitcnt lgkmcnt(0)
	s_add_u32 s0, s16, s12
	s_addc_u32 s1, s17, s13
	s_clause 0x1
	global_load_b64 v[5:6], v1, s[0:1] offset:16
	global_load_b128 v[1:4], v1, s[0:1]
	s_lshr_b32 s0, s2, 16
	v_lshlrev_b32_e32 v13, 3, v11
	v_mad_u32_u24 v0, v0, s0, v9
	s_and_b32 s0, s2, 0xffff
	v_add_nc_u32_e32 v27, -4, v25
	s_delay_alu instid0(VALU_DEP_3) | instskip(NEXT) | instid1(VALU_DEP_3)
	v_mad_u32_u24 v20, v12, 24, v13
	v_mad_u64_u32 v[9:10], null, v0, s0, v[8:9]
	v_or_b32_e32 v0, v12, v11
	v_add_nc_u32_e32 v11, -1, v12
	v_and_b32_e32 v10, 15, v12
	s_delay_alu instid0(VALU_DEP_3)
	v_lshlrev_b32_e32 v21, 3, v0
	v_lshrrev_b32_e32 v23, 5, v9
	v_and_b32_e32 v9, 16, v12
	v_cmp_gt_i32_e32 vcc_lo, 0, v11
	v_cmp_eq_u32_e64 s0, 0, v10
	v_cmp_lt_u32_e64 s1, 1, v10
	v_cmp_lt_u32_e64 s2, 3, v10
	v_cmp_eq_u32_e64 s4, 0, v9
	v_cndmask_b32_e32 v9, v11, v12, vcc_lo
	v_cmp_lt_u32_e64 s3, 7, v10
	s_delay_alu instid0(VALU_DEP_2)
	v_dual_mov_b32 v9, s10 :: v_dual_lshlrev_b32 v24, 2, v9
	v_and_b32_e32 v0, 0x1e0, v8
	v_lshlrev_b32_e32 v19, 5, v8
	v_cmp_gt_u32_e64 s6, 16, v8
	v_cmp_lt_u32_e64 s7, 31, v8
	v_cmp_eq_u32_e64 s9, 0, v8
	v_or_b32_e32 v13, 31, v0
	v_mul_u32_u24_e32 v0, 3, v0
	v_mad_i32_i24 v26, 0xffffffe4, v8, v19
	v_add_nc_u32_e32 v22, 64, v19
	v_mov_b32_e32 v10, s11
	v_cmp_eq_u32_e64 s5, v13, v8
	v_or_b32_e32 v0, v12, v0
	v_dual_mov_b32 v11, s14 :: v_dual_mov_b32 v12, s15
	s_delay_alu instid0(VALU_DEP_2) | instskip(SKIP_1) | instid1(VALU_DEP_1)
	v_lshlrev_b32_e32 v28, 3, v0
	v_lshlrev_b32_e32 v0, 2, v8
	v_add_nc_u32_e32 v29, v26, v0
	s_branch .LBB330_2
.LBB330_1:                              ;   in Loop: Header=BB330_2 Depth=1
	v_lshlrev_b32_e32 v0, 3, v30
	v_lshlrev_b32_e32 v1, 3, v7
	;; [unrolled: 1-line block ×3, first 2 shown]
	s_barrier
	buffer_gl0_inv
	ds_store_b64 v0, v[13:14]
	ds_store_b64 v1, v[17:18]
	;; [unrolled: 1-line block ×3, first 2 shown]
	s_waitcnt lgkmcnt(0)
	s_barrier
	buffer_gl0_inv
	ds_load_2addr_stride64_b64 v[1:4], v29 offset1:8
	ds_load_b64 v[5:6], v29 offset:8192
	s_add_i32 s11, s11, 1
	s_delay_alu instid0(SALU_CYCLE_1)
	s_cmp_eq_u32 s11, 10
	s_waitcnt lgkmcnt(1)
	v_xor_b32_e32 v2, 0x80000000, v2
	v_xor_b32_e32 v4, 0x80000000, v4
	s_waitcnt lgkmcnt(0)
	v_xor_b32_e32 v6, 0x80000000, v6
	s_cbranch_scc1 .LBB330_18
.LBB330_2:                              ; =>This Loop Header: Depth=1
                                        ;     Child Loop BB330_4 Depth 2
	s_waitcnt vmcnt(0)
	v_xor_b32_e32 v2, 0x80000000, v2
	v_xor_b32_e32 v4, 0x80000000, v4
	;; [unrolled: 1-line block ×3, first 2 shown]
	s_mov_b64 s[14:15], 0
	ds_store_2addr_b64 v20, v[1:2], v[3:4] offset1:1
	ds_store_b64 v20, v[5:6] offset:16
	; wave barrier
	ds_load_2addr_b64 v[0:3], v21 offset1:32
	ds_load_b64 v[4:5], v21 offset:512
	s_waitcnt lgkmcnt(0)
	s_barrier
	buffer_gl0_inv
	; wave barrier
	s_barrier
	s_branch .LBB330_4
.LBB330_3:                              ;   in Loop: Header=BB330_4 Depth=2
	v_lshlrev_b32_e32 v0, 3, v30
	v_lshlrev_b32_e32 v1, 3, v7
	s_delay_alu instid0(VALU_DEP_3)
	v_lshlrev_b32_e32 v2, 3, v6
	s_barrier
	buffer_gl0_inv
	ds_store_b64 v0, v[13:14]
	ds_store_b64 v1, v[17:18]
	;; [unrolled: 1-line block ×3, first 2 shown]
	s_waitcnt lgkmcnt(0)
	s_barrier
	buffer_gl0_inv
	ds_load_2addr_b64 v[0:3], v28 offset1:32
	ds_load_b64 v[4:5], v28 offset:512
	s_add_u32 s14, s14, 8
	s_addc_u32 s15, s15, 0
	s_waitcnt lgkmcnt(0)
	s_barrier
	s_cbranch_execz .LBB330_1
.LBB330_4:                              ;   Parent Loop BB330_2 Depth=1
                                        ; =>  This Inner Loop Header: Depth=2
	v_dual_mov_b32 v14, v1 :: v_dual_mov_b32 v13, v0
	buffer_gl0_inv
	ds_store_2addr_b64 v19, v[9:10], v[11:12] offset0:8 offset1:9
	ds_store_2addr_b64 v22, v[9:10], v[11:12] offset0:2 offset1:3
	s_waitcnt lgkmcnt(0)
	s_barrier
	v_lshrrev_b64 v[6:7], s14, v[13:14]
	buffer_gl0_inv
	; wave barrier
	v_and_b32_e32 v0, 1, v6
	v_lshlrev_b32_e32 v1, 30, v6
	v_lshlrev_b32_e32 v7, 29, v6
	;; [unrolled: 1-line block ×4, first 2 shown]
	v_add_co_u32 v0, s10, v0, -1
	s_delay_alu instid0(VALU_DEP_1)
	v_cndmask_b32_e64 v16, 0, 1, s10
	v_not_b32_e32 v31, v1
	v_cmp_gt_i32_e64 s10, 0, v1
	v_not_b32_e32 v1, v7
	v_lshlrev_b32_e32 v18, 26, v6
	v_cmp_ne_u32_e32 vcc_lo, 0, v16
	v_ashrrev_i32_e32 v31, 31, v31
	v_lshlrev_b32_e32 v30, 25, v6
	v_ashrrev_i32_e32 v1, 31, v1
	v_lshlrev_b32_e32 v16, 24, v6
	v_xor_b32_e32 v0, vcc_lo, v0
	v_cmp_gt_i32_e32 vcc_lo, 0, v7
	v_not_b32_e32 v7, v15
	v_xor_b32_e32 v31, s10, v31
	v_cmp_gt_i32_e64 s10, 0, v15
	v_and_b32_e32 v0, exec_lo, v0
	v_not_b32_e32 v15, v17
	v_ashrrev_i32_e32 v7, 31, v7
	v_xor_b32_e32 v1, vcc_lo, v1
	v_cmp_gt_i32_e32 vcc_lo, 0, v17
	v_and_b32_e32 v0, v0, v31
	v_not_b32_e32 v17, v18
	v_ashrrev_i32_e32 v15, 31, v15
	v_xor_b32_e32 v7, s10, v7
	v_cmp_gt_i32_e64 s10, 0, v18
	v_and_b32_e32 v0, v0, v1
	v_not_b32_e32 v1, v30
	v_ashrrev_i32_e32 v17, 31, v17
	v_xor_b32_e32 v15, vcc_lo, v15
	v_cmp_gt_i32_e32 vcc_lo, 0, v30
	v_and_b32_e32 v0, v0, v7
	v_not_b32_e32 v7, v16
	v_ashrrev_i32_e32 v1, 31, v1
	v_xor_b32_e32 v17, s10, v17
	v_cmp_gt_i32_e64 s10, 0, v16
	v_and_b32_e32 v0, v0, v15
	v_ashrrev_i32_e32 v7, 31, v7
	v_xor_b32_e32 v1, vcc_lo, v1
	v_dual_mov_b32 v16, v5 :: v_dual_mov_b32 v15, v4
	s_delay_alu instid0(VALU_DEP_4) | instskip(NEXT) | instid1(VALU_DEP_4)
	v_and_b32_e32 v0, v0, v17
	v_xor_b32_e32 v7, s10, v7
	v_dual_mov_b32 v18, v3 :: v_dual_mov_b32 v17, v2
	s_delay_alu instid0(VALU_DEP_3) | instskip(SKIP_1) | instid1(VALU_DEP_2)
	v_and_b32_e32 v0, v0, v1
	v_and_b32_e32 v1, 0xff, v6
	;; [unrolled: 1-line block ×3, first 2 shown]
	s_delay_alu instid0(VALU_DEP_2) | instskip(NEXT) | instid1(VALU_DEP_2)
	v_lshl_add_u32 v1, v1, 4, v23
	v_mbcnt_lo_u32_b32 v30, v0, 0
	v_cmp_ne_u32_e64 s10, 0, v0
	s_delay_alu instid0(VALU_DEP_3) | instskip(NEXT) | instid1(VALU_DEP_3)
	v_lshl_add_u32 v31, v1, 2, 64
	v_cmp_eq_u32_e32 vcc_lo, 0, v30
	s_delay_alu instid0(VALU_DEP_3) | instskip(NEXT) | instid1(SALU_CYCLE_1)
	s_and_b32 s16, s10, vcc_lo
	s_and_saveexec_b32 s10, s16
	s_cbranch_execz .LBB330_6
; %bb.5:                                ;   in Loop: Header=BB330_4 Depth=2
	v_bcnt_u32_b32 v0, v0, 0
	ds_store_b32 v31, v0
.LBB330_6:                              ;   in Loop: Header=BB330_4 Depth=2
	s_or_b32 exec_lo, exec_lo, s10
	v_lshrrev_b64 v[0:1], s14, v[17:18]
	; wave barrier
	s_delay_alu instid0(VALU_DEP_1)
	v_and_b32_e32 v2, 1, v0
	v_lshlrev_b32_e32 v3, 30, v0
	v_lshlrev_b32_e32 v4, 29, v0
	;; [unrolled: 1-line block ×4, first 2 shown]
	v_add_co_u32 v2, s10, v2, -1
	s_delay_alu instid0(VALU_DEP_1)
	v_cndmask_b32_e64 v6, 0, 1, s10
	v_not_b32_e32 v34, v3
	v_cmp_gt_i32_e64 s10, 0, v3
	v_not_b32_e32 v3, v4
	v_lshlrev_b32_e32 v32, 26, v0
	v_cmp_ne_u32_e32 vcc_lo, 0, v6
	v_ashrrev_i32_e32 v6, 31, v34
	v_lshlrev_b32_e32 v33, 25, v0
	v_ashrrev_i32_e32 v3, 31, v3
	v_and_b32_e32 v1, 0xff, v0
	v_xor_b32_e32 v2, vcc_lo, v2
	v_cmp_gt_i32_e32 vcc_lo, 0, v4
	v_not_b32_e32 v4, v5
	v_xor_b32_e32 v6, s10, v6
	v_cmp_gt_i32_e64 s10, 0, v5
	v_and_b32_e32 v2, exec_lo, v2
	v_not_b32_e32 v5, v7
	v_ashrrev_i32_e32 v4, 31, v4
	v_xor_b32_e32 v3, vcc_lo, v3
	v_cmp_gt_i32_e32 vcc_lo, 0, v7
	v_and_b32_e32 v2, v2, v6
	v_not_b32_e32 v6, v32
	v_ashrrev_i32_e32 v5, 31, v5
	v_xor_b32_e32 v4, s10, v4
	v_lshlrev_b32_e32 v0, 24, v0
	v_and_b32_e32 v2, v2, v3
	v_cmp_gt_i32_e64 s10, 0, v32
	v_not_b32_e32 v3, v33
	v_ashrrev_i32_e32 v6, 31, v6
	v_xor_b32_e32 v5, vcc_lo, v5
	v_and_b32_e32 v2, v2, v4
	v_cmp_gt_i32_e32 vcc_lo, 0, v33
	v_not_b32_e32 v4, v0
	v_ashrrev_i32_e32 v3, 31, v3
	v_xor_b32_e32 v6, s10, v6
	v_and_b32_e32 v2, v2, v5
	v_lshlrev_b32_e32 v1, 4, v1
	v_cmp_gt_i32_e64 s10, 0, v0
	v_ashrrev_i32_e32 v0, 31, v4
	v_xor_b32_e32 v3, vcc_lo, v3
	v_and_b32_e32 v2, v2, v6
	v_add_lshl_u32 v1, v1, v23, 2
	s_delay_alu instid0(VALU_DEP_4) | instskip(NEXT) | instid1(VALU_DEP_3)
	v_xor_b32_e32 v0, s10, v0
	v_and_b32_e32 v2, v2, v3
	ds_load_b32 v32, v1 offset:64
	v_add_nc_u32_e32 v34, 64, v1
	; wave barrier
	v_and_b32_e32 v0, v2, v0
	s_delay_alu instid0(VALU_DEP_1) | instskip(SKIP_1) | instid1(VALU_DEP_2)
	v_mbcnt_lo_u32_b32 v33, v0, 0
	v_cmp_ne_u32_e64 s10, 0, v0
	v_cmp_eq_u32_e32 vcc_lo, 0, v33
	s_delay_alu instid0(VALU_DEP_2) | instskip(NEXT) | instid1(SALU_CYCLE_1)
	s_and_b32 s16, s10, vcc_lo
	s_and_saveexec_b32 s10, s16
	s_cbranch_execz .LBB330_8
; %bb.7:                                ;   in Loop: Header=BB330_4 Depth=2
	s_waitcnt lgkmcnt(0)
	v_bcnt_u32_b32 v0, v0, v32
	ds_store_b32 v34, v0
.LBB330_8:                              ;   in Loop: Header=BB330_4 Depth=2
	s_or_b32 exec_lo, exec_lo, s10
	v_lshrrev_b64 v[0:1], s14, v[15:16]
	; wave barrier
	s_delay_alu instid0(VALU_DEP_1)
	v_and_b32_e32 v2, 1, v0
	v_lshlrev_b32_e32 v3, 30, v0
	v_lshlrev_b32_e32 v4, 29, v0
	;; [unrolled: 1-line block ×4, first 2 shown]
	v_add_co_u32 v2, s10, v2, -1
	s_delay_alu instid0(VALU_DEP_1)
	v_cndmask_b32_e64 v6, 0, 1, s10
	v_not_b32_e32 v37, v3
	v_cmp_gt_i32_e64 s10, 0, v3
	v_not_b32_e32 v3, v4
	v_lshlrev_b32_e32 v35, 26, v0
	v_cmp_ne_u32_e32 vcc_lo, 0, v6
	v_ashrrev_i32_e32 v6, 31, v37
	v_lshlrev_b32_e32 v36, 25, v0
	v_ashrrev_i32_e32 v3, 31, v3
	v_and_b32_e32 v1, 0xff, v0
	v_xor_b32_e32 v2, vcc_lo, v2
	v_cmp_gt_i32_e32 vcc_lo, 0, v4
	v_not_b32_e32 v4, v5
	v_xor_b32_e32 v6, s10, v6
	v_cmp_gt_i32_e64 s10, 0, v5
	v_and_b32_e32 v2, exec_lo, v2
	v_not_b32_e32 v5, v7
	v_ashrrev_i32_e32 v4, 31, v4
	v_xor_b32_e32 v3, vcc_lo, v3
	v_cmp_gt_i32_e32 vcc_lo, 0, v7
	v_and_b32_e32 v2, v2, v6
	v_not_b32_e32 v6, v35
	v_ashrrev_i32_e32 v5, 31, v5
	v_xor_b32_e32 v4, s10, v4
	v_lshlrev_b32_e32 v0, 24, v0
	v_and_b32_e32 v2, v2, v3
	v_cmp_gt_i32_e64 s10, 0, v35
	v_not_b32_e32 v3, v36
	v_ashrrev_i32_e32 v6, 31, v6
	v_xor_b32_e32 v5, vcc_lo, v5
	v_and_b32_e32 v2, v2, v4
	v_cmp_gt_i32_e32 vcc_lo, 0, v36
	v_not_b32_e32 v4, v0
	v_ashrrev_i32_e32 v3, 31, v3
	v_xor_b32_e32 v6, s10, v6
	v_and_b32_e32 v2, v2, v5
	v_lshlrev_b32_e32 v1, 4, v1
	v_cmp_gt_i32_e64 s10, 0, v0
	v_ashrrev_i32_e32 v0, 31, v4
	v_xor_b32_e32 v3, vcc_lo, v3
	v_and_b32_e32 v2, v2, v6
	v_add_lshl_u32 v1, v1, v23, 2
	s_delay_alu instid0(VALU_DEP_4) | instskip(NEXT) | instid1(VALU_DEP_3)
	v_xor_b32_e32 v0, s10, v0
	v_and_b32_e32 v2, v2, v3
	ds_load_b32 v35, v1 offset:64
	v_add_nc_u32_e32 v37, 64, v1
	; wave barrier
	v_and_b32_e32 v0, v2, v0
	s_delay_alu instid0(VALU_DEP_1) | instskip(SKIP_1) | instid1(VALU_DEP_2)
	v_mbcnt_lo_u32_b32 v36, v0, 0
	v_cmp_ne_u32_e64 s10, 0, v0
	v_cmp_eq_u32_e32 vcc_lo, 0, v36
	s_delay_alu instid0(VALU_DEP_2) | instskip(NEXT) | instid1(SALU_CYCLE_1)
	s_and_b32 s16, s10, vcc_lo
	s_and_saveexec_b32 s10, s16
	s_cbranch_execz .LBB330_10
; %bb.9:                                ;   in Loop: Header=BB330_4 Depth=2
	s_waitcnt lgkmcnt(0)
	v_bcnt_u32_b32 v0, v0, v35
	ds_store_b32 v37, v0
.LBB330_10:                             ;   in Loop: Header=BB330_4 Depth=2
	s_or_b32 exec_lo, exec_lo, s10
	; wave barrier
	s_waitcnt lgkmcnt(0)
	s_barrier
	buffer_gl0_inv
	ds_load_2addr_b64 v[4:7], v19 offset0:8 offset1:9
	ds_load_2addr_b64 v[0:3], v22 offset0:2 offset1:3
	s_waitcnt lgkmcnt(1)
	v_add_nc_u32_e32 v38, v5, v4
	s_delay_alu instid0(VALU_DEP_1) | instskip(SKIP_1) | instid1(VALU_DEP_1)
	v_add3_u32 v38, v38, v6, v7
	s_waitcnt lgkmcnt(0)
	v_add3_u32 v38, v38, v0, v1
	s_delay_alu instid0(VALU_DEP_1) | instskip(NEXT) | instid1(VALU_DEP_1)
	v_add3_u32 v3, v38, v2, v3
	v_mov_b32_dpp v38, v3 row_shr:1 row_mask:0xf bank_mask:0xf
	s_delay_alu instid0(VALU_DEP_1) | instskip(NEXT) | instid1(VALU_DEP_1)
	v_cndmask_b32_e64 v38, v38, 0, s0
	v_add_nc_u32_e32 v3, v38, v3
	s_delay_alu instid0(VALU_DEP_1) | instskip(NEXT) | instid1(VALU_DEP_1)
	v_mov_b32_dpp v38, v3 row_shr:2 row_mask:0xf bank_mask:0xf
	v_cndmask_b32_e64 v38, 0, v38, s1
	s_delay_alu instid0(VALU_DEP_1) | instskip(NEXT) | instid1(VALU_DEP_1)
	v_add_nc_u32_e32 v3, v3, v38
	v_mov_b32_dpp v38, v3 row_shr:4 row_mask:0xf bank_mask:0xf
	s_delay_alu instid0(VALU_DEP_1) | instskip(NEXT) | instid1(VALU_DEP_1)
	v_cndmask_b32_e64 v38, 0, v38, s2
	v_add_nc_u32_e32 v3, v3, v38
	s_delay_alu instid0(VALU_DEP_1) | instskip(NEXT) | instid1(VALU_DEP_1)
	v_mov_b32_dpp v38, v3 row_shr:8 row_mask:0xf bank_mask:0xf
	v_cndmask_b32_e64 v38, 0, v38, s3
	s_delay_alu instid0(VALU_DEP_1) | instskip(SKIP_3) | instid1(VALU_DEP_1)
	v_add_nc_u32_e32 v3, v3, v38
	ds_swizzle_b32 v38, v3 offset:swizzle(BROADCAST,32,15)
	s_waitcnt lgkmcnt(0)
	v_cndmask_b32_e64 v38, v38, 0, s4
	v_add_nc_u32_e32 v3, v3, v38
	s_and_saveexec_b32 s10, s5
	s_cbranch_execz .LBB330_12
; %bb.11:                               ;   in Loop: Header=BB330_4 Depth=2
	ds_store_b32 v25, v3
.LBB330_12:                             ;   in Loop: Header=BB330_4 Depth=2
	s_or_b32 exec_lo, exec_lo, s10
	s_waitcnt lgkmcnt(0)
	s_barrier
	buffer_gl0_inv
	s_and_saveexec_b32 s10, s6
	s_cbranch_execz .LBB330_14
; %bb.13:                               ;   in Loop: Header=BB330_4 Depth=2
	ds_load_b32 v38, v26
	s_waitcnt lgkmcnt(0)
	v_mov_b32_dpp v39, v38 row_shr:1 row_mask:0xf bank_mask:0xf
	s_delay_alu instid0(VALU_DEP_1) | instskip(NEXT) | instid1(VALU_DEP_1)
	v_cndmask_b32_e64 v39, v39, 0, s0
	v_add_nc_u32_e32 v38, v39, v38
	s_delay_alu instid0(VALU_DEP_1) | instskip(NEXT) | instid1(VALU_DEP_1)
	v_mov_b32_dpp v39, v38 row_shr:2 row_mask:0xf bank_mask:0xf
	v_cndmask_b32_e64 v39, 0, v39, s1
	s_delay_alu instid0(VALU_DEP_1) | instskip(NEXT) | instid1(VALU_DEP_1)
	v_add_nc_u32_e32 v38, v38, v39
	v_mov_b32_dpp v39, v38 row_shr:4 row_mask:0xf bank_mask:0xf
	s_delay_alu instid0(VALU_DEP_1) | instskip(NEXT) | instid1(VALU_DEP_1)
	v_cndmask_b32_e64 v39, 0, v39, s2
	v_add_nc_u32_e32 v38, v38, v39
	s_delay_alu instid0(VALU_DEP_1) | instskip(NEXT) | instid1(VALU_DEP_1)
	v_mov_b32_dpp v39, v38 row_shr:8 row_mask:0xf bank_mask:0xf
	v_cndmask_b32_e64 v39, 0, v39, s3
	s_delay_alu instid0(VALU_DEP_1)
	v_add_nc_u32_e32 v38, v38, v39
	ds_store_b32 v26, v38
.LBB330_14:                             ;   in Loop: Header=BB330_4 Depth=2
	s_or_b32 exec_lo, exec_lo, s10
	v_mov_b32_e32 v38, 0
	s_waitcnt lgkmcnt(0)
	s_barrier
	buffer_gl0_inv
	s_and_saveexec_b32 s10, s7
	s_cbranch_execz .LBB330_16
; %bb.15:                               ;   in Loop: Header=BB330_4 Depth=2
	ds_load_b32 v38, v27
.LBB330_16:                             ;   in Loop: Header=BB330_4 Depth=2
	s_or_b32 exec_lo, exec_lo, s10
	s_waitcnt lgkmcnt(0)
	v_add_nc_u32_e32 v3, v38, v3
	s_cmp_gt_u32 s14, 55
	ds_bpermute_b32 v3, v24, v3
	s_waitcnt lgkmcnt(0)
	v_cndmask_b32_e64 v3, v3, v38, s8
	s_delay_alu instid0(VALU_DEP_1) | instskip(NEXT) | instid1(VALU_DEP_1)
	v_cndmask_b32_e64 v3, v3, 0, s9
	v_add_nc_u32_e32 v4, v3, v4
	s_delay_alu instid0(VALU_DEP_1) | instskip(NEXT) | instid1(VALU_DEP_1)
	v_add_nc_u32_e32 v5, v4, v5
	v_add_nc_u32_e32 v6, v5, v6
	s_delay_alu instid0(VALU_DEP_1) | instskip(NEXT) | instid1(VALU_DEP_1)
	v_add_nc_u32_e32 v38, v6, v7
	;; [unrolled: 3-line block ×3, first 2 shown]
	v_add_nc_u32_e32 v1, v0, v2
	ds_store_2addr_b64 v19, v[3:4], v[5:6] offset0:8 offset1:9
	ds_store_2addr_b64 v22, v[38:39], v[0:1] offset0:2 offset1:3
	s_waitcnt lgkmcnt(0)
	s_barrier
	buffer_gl0_inv
	ds_load_b32 v0, v31
	ds_load_b32 v1, v34
	;; [unrolled: 1-line block ×3, first 2 shown]
	s_waitcnt lgkmcnt(2)
	v_add_nc_u32_e32 v30, v0, v30
	s_waitcnt lgkmcnt(1)
	v_add3_u32 v7, v33, v32, v1
	s_waitcnt lgkmcnt(0)
	v_add3_u32 v6, v36, v35, v2
	s_cbranch_scc0 .LBB330_3
; %bb.17:                               ;   in Loop: Header=BB330_2 Depth=1
                                        ; implicit-def: $vgpr4_vgpr5
                                        ; implicit-def: $vgpr2_vgpr3
                                        ; implicit-def: $sgpr14_sgpr15
	s_branch .LBB330_1
.LBB330_18:
	v_lshlrev_b32_e32 v0, 3, v8
	s_add_u32 s0, s18, s12
	s_addc_u32 s1, s19, s13
	s_delay_alu instid0(VALU_DEP_1) | instskip(NEXT) | instid1(VALU_DEP_1)
	v_add_co_u32 v7, s2, s0, v0
	v_add_co_ci_u32_e64 v8, null, s1, 0, s2
	s_delay_alu instid0(VALU_DEP_2) | instskip(NEXT) | instid1(VALU_DEP_2)
	v_add_co_u32 v7, vcc_lo, v7, 0x2000
	v_add_co_ci_u32_e32 v8, vcc_lo, 0, v8, vcc_lo
	s_clause 0x2
	global_store_b64 v0, v[1:2], s[0:1]
	global_store_b64 v[7:8], v[3:4], off offset:-4096
	global_store_b64 v[7:8], v[5:6], off
	s_nop 0
	s_sendmsg sendmsg(MSG_DEALLOC_VGPRS)
	s_endpgm
	.section	.rodata,"a",@progbits
	.p2align	6, 0x0
	.amdhsa_kernel _Z16sort_keys_kernelI22helper_blocked_stripedxLj512ELj3ELj10EEvPKT0_PS1_
		.amdhsa_group_segment_fixed_size 16448
		.amdhsa_private_segment_fixed_size 0
		.amdhsa_kernarg_size 272
		.amdhsa_user_sgpr_count 15
		.amdhsa_user_sgpr_dispatch_ptr 0
		.amdhsa_user_sgpr_queue_ptr 0
		.amdhsa_user_sgpr_kernarg_segment_ptr 1
		.amdhsa_user_sgpr_dispatch_id 0
		.amdhsa_user_sgpr_private_segment_size 0
		.amdhsa_wavefront_size32 1
		.amdhsa_uses_dynamic_stack 0
		.amdhsa_enable_private_segment 0
		.amdhsa_system_sgpr_workgroup_id_x 1
		.amdhsa_system_sgpr_workgroup_id_y 0
		.amdhsa_system_sgpr_workgroup_id_z 0
		.amdhsa_system_sgpr_workgroup_info 0
		.amdhsa_system_vgpr_workitem_id 2
		.amdhsa_next_free_vgpr 40
		.amdhsa_next_free_sgpr 20
		.amdhsa_reserve_vcc 1
		.amdhsa_float_round_mode_32 0
		.amdhsa_float_round_mode_16_64 0
		.amdhsa_float_denorm_mode_32 3
		.amdhsa_float_denorm_mode_16_64 3
		.amdhsa_dx10_clamp 1
		.amdhsa_ieee_mode 1
		.amdhsa_fp16_overflow 0
		.amdhsa_workgroup_processor_mode 1
		.amdhsa_memory_ordered 1
		.amdhsa_forward_progress 0
		.amdhsa_shared_vgpr_count 0
		.amdhsa_exception_fp_ieee_invalid_op 0
		.amdhsa_exception_fp_denorm_src 0
		.amdhsa_exception_fp_ieee_div_zero 0
		.amdhsa_exception_fp_ieee_overflow 0
		.amdhsa_exception_fp_ieee_underflow 0
		.amdhsa_exception_fp_ieee_inexact 0
		.amdhsa_exception_int_div_zero 0
	.end_amdhsa_kernel
	.section	.text._Z16sort_keys_kernelI22helper_blocked_stripedxLj512ELj3ELj10EEvPKT0_PS1_,"axG",@progbits,_Z16sort_keys_kernelI22helper_blocked_stripedxLj512ELj3ELj10EEvPKT0_PS1_,comdat
.Lfunc_end330:
	.size	_Z16sort_keys_kernelI22helper_blocked_stripedxLj512ELj3ELj10EEvPKT0_PS1_, .Lfunc_end330-_Z16sort_keys_kernelI22helper_blocked_stripedxLj512ELj3ELj10EEvPKT0_PS1_
                                        ; -- End function
	.section	.AMDGPU.csdata,"",@progbits
; Kernel info:
; codeLenInByte = 2448
; NumSgprs: 22
; NumVgprs: 40
; ScratchSize: 0
; MemoryBound: 0
; FloatMode: 240
; IeeeMode: 1
; LDSByteSize: 16448 bytes/workgroup (compile time only)
; SGPRBlocks: 2
; VGPRBlocks: 4
; NumSGPRsForWavesPerEU: 22
; NumVGPRsForWavesPerEU: 40
; Occupancy: 16
; WaveLimiterHint : 1
; COMPUTE_PGM_RSRC2:SCRATCH_EN: 0
; COMPUTE_PGM_RSRC2:USER_SGPR: 15
; COMPUTE_PGM_RSRC2:TRAP_HANDLER: 0
; COMPUTE_PGM_RSRC2:TGID_X_EN: 1
; COMPUTE_PGM_RSRC2:TGID_Y_EN: 0
; COMPUTE_PGM_RSRC2:TGID_Z_EN: 0
; COMPUTE_PGM_RSRC2:TIDIG_COMP_CNT: 2
	.section	.text._Z17sort_pairs_kernelI22helper_blocked_stripedxLj512ELj3ELj10EEvPKT0_PS1_,"axG",@progbits,_Z17sort_pairs_kernelI22helper_blocked_stripedxLj512ELj3ELj10EEvPKT0_PS1_,comdat
	.protected	_Z17sort_pairs_kernelI22helper_blocked_stripedxLj512ELj3ELj10EEvPKT0_PS1_ ; -- Begin function _Z17sort_pairs_kernelI22helper_blocked_stripedxLj512ELj3ELj10EEvPKT0_PS1_
	.globl	_Z17sort_pairs_kernelI22helper_blocked_stripedxLj512ELj3ELj10EEvPKT0_PS1_
	.p2align	8
	.type	_Z17sort_pairs_kernelI22helper_blocked_stripedxLj512ELj3ELj10EEvPKT0_PS1_,@function
_Z17sort_pairs_kernelI22helper_blocked_stripedxLj512ELj3ELj10EEvPKT0_PS1_: ; @_Z17sort_pairs_kernelI22helper_blocked_stripedxLj512ELj3ELj10EEvPKT0_PS1_
; %bb.0:
	s_clause 0x1
	s_load_b128 s[16:19], s[0:1], 0x0
	s_load_b32 s9, s[0:1], 0x1c
	v_and_b32_e32 v9, 0x3ff, v0
	s_mov_b32 s11, 0
	s_mul_i32 s10, s15, 0x600
	v_mbcnt_lo_u32_b32 v7, -1, 0
	s_lshl_b64 s[12:13], s[10:11], 3
	v_mul_u32_u24_e32 v1, 3, v9
	s_mov_b32 s10, s11
	s_delay_alu instid0(VALU_DEP_2) | instskip(NEXT) | instid1(VALU_DEP_2)
	v_dual_mov_b32 v13, s11 :: v_dual_and_b32 v8, 16, v7
	v_dual_mov_b32 v12, s10 :: v_dual_lshlrev_b32 v5, 3, v1
	v_add_nc_u32_e32 v16, -1, v7
	v_and_b32_e32 v6, 15, v7
	s_delay_alu instid0(VALU_DEP_4) | instskip(NEXT) | instid1(VALU_DEP_3)
	v_cmp_eq_u32_e64 s5, 0, v8
	v_cmp_gt_i32_e32 vcc_lo, 0, v16
	s_delay_alu instid0(VALU_DEP_3)
	v_cmp_lt_u32_e64 s2, 1, v6
	s_waitcnt lgkmcnt(0)
	s_add_u32 s0, s16, s12
	s_addc_u32 s1, s17, s13
	s_clause 0x1
	global_load_b128 v[1:4], v5, s[0:1]
	global_load_b64 v[14:15], v5, s[0:1] offset:16
	s_mov_b32 s1, s11
	s_mov_b32 s0, s11
	v_mov_b32_e32 v11, s1
	v_bfe_u32 v5, v0, 10, 10
	v_bfe_u32 v0, v0, 20, 10
	s_lshr_b32 s10, s9, 16
	v_mov_b32_e32 v10, s0
	v_lshlrev_b32_e32 v30, 5, v9
	v_cmp_eq_u32_e64 s1, 0, v6
	v_cmp_lt_u32_e64 s3, 3, v6
	v_cmp_lt_u32_e64 s4, 7, v6
	v_and_b32_e32 v6, 0x1e0, v9
	v_dual_cndmask_b32 v8, v16, v7 :: v_dual_add_nc_u32 v31, 64, v30
	v_mad_u32_u24 v0, v0, s10, v5
	v_lshrrev_b32_e32 v17, 5, v9
	s_and_b32 s9, s9, 0xffff
	v_or_b32_e32 v19, 31, v6
	v_lshlrev_b32_e32 v32, 2, v8
	v_mul_u32_u24_e32 v8, 3, v6
	v_mad_u64_u32 v[5:6], null, v0, s9, v[9:10]
	v_mul_u32_u24_e32 v16, 0x60, v17
	v_lshlrev_b32_e32 v33, 2, v17
	s_delay_alu instid0(VALU_DEP_4)
	v_or_b32_e32 v6, v7, v8
	v_cmp_eq_u32_e64 s0, 0, v7
	v_lshlrev_b32_e32 v18, 2, v9
	v_lshlrev_b32_e32 v17, 3, v16
	v_lshrrev_b32_e32 v39, 5, v5
	v_lshlrev_b32_e32 v38, 3, v6
	v_mad_i32_i24 v34, 0xffffffe4, v9, v30
	v_or_b32_e32 v0, v7, v16
	v_mad_u32_u24 v36, v7, 24, v17
	v_cmp_gt_u32_e64 s6, 16, v9
	v_cmp_lt_u32_e64 s7, 31, v9
	v_cmp_eq_u32_e64 s8, 0, v9
	v_cmp_eq_u32_e64 s9, v19, v9
	v_add_nc_u32_e32 v35, -4, v33
	v_lshlrev_b32_e32 v37, 3, v0
	v_add_nc_u32_e32 v40, v34, v18
	s_waitcnt vmcnt(1)
	v_add_co_u32 v5, vcc_lo, v1, 1
	v_add_co_ci_u32_e32 v6, vcc_lo, 0, v2, vcc_lo
	v_add_co_u32 v7, vcc_lo, v3, 1
	v_add_co_ci_u32_e32 v8, vcc_lo, 0, v4, vcc_lo
	s_waitcnt vmcnt(0)
	v_add_co_u32 v16, vcc_lo, v14, 1
	v_add_co_ci_u32_e32 v17, vcc_lo, 0, v15, vcc_lo
	s_branch .LBB331_2
.LBB331_1:                              ;   in Loop: Header=BB331_2 Depth=1
	v_lshlrev_b32_e32 v0, 3, v44
	v_lshlrev_b32_e32 v5, 3, v43
	;; [unrolled: 1-line block ×3, first 2 shown]
	s_barrier
	buffer_gl0_inv
	ds_store_b64 v0, v[14:15]
	ds_store_b64 v5, v[24:25]
	;; [unrolled: 1-line block ×3, first 2 shown]
	s_waitcnt lgkmcnt(0)
	s_barrier
	buffer_gl0_inv
	ds_load_2addr_stride64_b64 v[1:4], v40 offset1:8
	ds_load_b64 v[14:15], v40 offset:8192
	s_waitcnt lgkmcnt(0)
	s_barrier
	buffer_gl0_inv
	ds_store_b64 v0, v[20:21]
	ds_store_b64 v5, v[18:19]
	;; [unrolled: 1-line block ×3, first 2 shown]
	s_waitcnt lgkmcnt(0)
	s_barrier
	buffer_gl0_inv
	ds_load_2addr_stride64_b64 v[5:8], v40 offset1:8
	ds_load_b64 v[16:17], v40 offset:8192
	s_add_i32 s11, s11, 1
	s_delay_alu instid0(SALU_CYCLE_1)
	s_cmp_eq_u32 s11, 10
	v_xor_b32_e32 v2, 0x80000000, v2
	v_xor_b32_e32 v4, 0x80000000, v4
	;; [unrolled: 1-line block ×3, first 2 shown]
	s_cbranch_scc1 .LBB331_18
.LBB331_2:                              ; =>This Loop Header: Depth=1
                                        ;     Child Loop BB331_4 Depth 2
	s_delay_alu instid0(VALU_DEP_3) | instskip(NEXT) | instid1(VALU_DEP_3)
	v_xor_b32_e32 v2, 0x80000000, v2
	v_xor_b32_e32 v4, 0x80000000, v4
	s_delay_alu instid0(VALU_DEP_3)
	v_xor_b32_e32 v15, 0x80000000, v15
	s_mov_b64 s[14:15], 0
	ds_store_2addr_b64 v36, v[1:2], v[3:4] offset1:1
	ds_store_b64 v36, v[14:15] offset:16
	; wave barrier
	ds_load_2addr_b64 v[0:3], v37 offset1:32
	ds_load_b64 v[26:27], v37 offset:512
	; wave barrier
	s_waitcnt lgkmcnt(5)
	ds_store_2addr_b64 v36, v[5:6], v[7:8] offset1:1
	s_waitcnt lgkmcnt(5)
	ds_store_b64 v36, v[16:17] offset:16
	; wave barrier
	ds_load_2addr_b64 v[4:7], v37 offset1:32
	ds_load_b64 v[28:29], v37 offset:512
	s_waitcnt lgkmcnt(0)
	s_barrier
	s_branch .LBB331_4
.LBB331_3:                              ;   in Loop: Header=BB331_4 Depth=2
	v_lshlrev_b32_e32 v4, 3, v44
	v_lshlrev_b32_e32 v5, 3, v43
	s_delay_alu instid0(VALU_DEP_3)
	v_lshlrev_b32_e32 v6, 3, v8
	s_barrier
	buffer_gl0_inv
	ds_store_b64 v4, v[14:15]
	ds_store_b64 v5, v[24:25]
	;; [unrolled: 1-line block ×3, first 2 shown]
	s_waitcnt lgkmcnt(0)
	s_barrier
	buffer_gl0_inv
	ds_load_2addr_b64 v[0:3], v38 offset1:32
	ds_load_b64 v[26:27], v38 offset:512
	s_waitcnt lgkmcnt(0)
	s_barrier
	buffer_gl0_inv
	ds_store_b64 v4, v[20:21]
	ds_store_b64 v5, v[18:19]
	;; [unrolled: 1-line block ×3, first 2 shown]
	s_waitcnt lgkmcnt(0)
	s_barrier
	buffer_gl0_inv
	ds_load_2addr_b64 v[4:7], v38 offset1:32
	ds_load_b64 v[28:29], v38 offset:512
	s_add_u32 s14, s14, 8
	s_addc_u32 s15, s15, 0
	s_waitcnt lgkmcnt(0)
	s_barrier
	s_cbranch_execz .LBB331_1
.LBB331_4:                              ;   Parent Loop BB331_2 Depth=1
                                        ; =>  This Inner Loop Header: Depth=2
	v_dual_mov_b32 v15, v1 :: v_dual_mov_b32 v14, v0
	buffer_gl0_inv
	ds_store_2addr_b64 v30, v[12:13], v[10:11] offset0:8 offset1:9
	ds_store_2addr_b64 v31, v[12:13], v[10:11] offset0:2 offset1:3
	s_waitcnt lgkmcnt(0)
	s_barrier
	v_lshrrev_b64 v[41:42], s14, v[14:15]
	buffer_gl0_inv
	; wave barrier
	v_dual_mov_b32 v22, v26 :: v_dual_mov_b32 v25, v3
	v_dual_mov_b32 v23, v27 :: v_dual_and_b32 v0, 1, v41
	v_lshlrev_b32_e32 v1, 30, v41
	v_lshlrev_b32_e32 v8, 29, v41
	;; [unrolled: 1-line block ×3, first 2 shown]
	s_delay_alu instid0(VALU_DEP_4) | instskip(NEXT) | instid1(VALU_DEP_1)
	v_add_co_u32 v0, s10, v0, -1
	v_cndmask_b32_e64 v17, 0, 1, s10
	v_not_b32_e32 v21, v1
	v_cmp_gt_i32_e64 s10, 0, v1
	v_not_b32_e32 v1, v8
	v_lshlrev_b32_e32 v18, 27, v41
	v_cmp_ne_u32_e32 vcc_lo, 0, v17
	v_ashrrev_i32_e32 v21, 31, v21
	v_dual_mov_b32 v24, v2 :: v_dual_lshlrev_b32 v19, 26, v41
	v_ashrrev_i32_e32 v1, 31, v1
	v_xor_b32_e32 v0, vcc_lo, v0
	v_cmp_gt_i32_e32 vcc_lo, 0, v8
	v_not_b32_e32 v8, v16
	v_xor_b32_e32 v21, s10, v21
	v_cmp_gt_i32_e64 s10, 0, v16
	v_and_b32_e32 v0, exec_lo, v0
	v_not_b32_e32 v16, v18
	v_ashrrev_i32_e32 v8, 31, v8
	v_xor_b32_e32 v1, vcc_lo, v1
	v_cmp_gt_i32_e32 vcc_lo, 0, v18
	v_and_b32_e32 v0, v0, v21
	v_not_b32_e32 v18, v19
	v_ashrrev_i32_e32 v16, 31, v16
	v_xor_b32_e32 v8, s10, v8
	v_cmp_gt_i32_e64 s10, 0, v19
	v_and_b32_e32 v0, v0, v1
	v_ashrrev_i32_e32 v18, 31, v18
	v_xor_b32_e32 v16, vcc_lo, v16
	v_lshlrev_b32_e32 v20, 25, v41
	v_lshlrev_b32_e32 v17, 24, v41
	v_and_b32_e32 v0, v0, v8
	v_xor_b32_e32 v18, s10, v18
	s_delay_alu instid0(VALU_DEP_2) | instskip(NEXT) | instid1(VALU_DEP_1)
	v_and_b32_e32 v0, v0, v16
	v_dual_mov_b32 v19, v7 :: v_dual_and_b32 v0, v0, v18
	v_mov_b32_e32 v18, v6
	v_not_b32_e32 v1, v20
	v_cmp_gt_i32_e32 vcc_lo, 0, v20
	v_not_b32_e32 v8, v17
	v_cmp_gt_i32_e64 s10, 0, v17
	v_mov_b32_e32 v16, v28
	v_ashrrev_i32_e32 v1, 31, v1
	v_mov_b32_e32 v21, v5
	v_ashrrev_i32_e32 v8, 31, v8
	v_dual_mov_b32 v17, v29 :: v_dual_mov_b32 v20, v4
	s_delay_alu instid0(VALU_DEP_4) | instskip(NEXT) | instid1(VALU_DEP_3)
	v_xor_b32_e32 v1, vcc_lo, v1
	v_xor_b32_e32 v8, s10, v8
	s_delay_alu instid0(VALU_DEP_2) | instskip(SKIP_1) | instid1(VALU_DEP_2)
	v_and_b32_e32 v0, v0, v1
	v_and_b32_e32 v1, 0xff, v41
	;; [unrolled: 1-line block ×3, first 2 shown]
	s_delay_alu instid0(VALU_DEP_2) | instskip(NEXT) | instid1(VALU_DEP_2)
	v_lshl_add_u32 v1, v1, 4, v39
	v_mbcnt_lo_u32_b32 v8, v0, 0
	v_cmp_ne_u32_e64 s10, 0, v0
	s_delay_alu instid0(VALU_DEP_3) | instskip(NEXT) | instid1(VALU_DEP_3)
	v_lshl_add_u32 v26, v1, 2, 64
	v_cmp_eq_u32_e32 vcc_lo, 0, v8
	s_delay_alu instid0(VALU_DEP_3) | instskip(NEXT) | instid1(SALU_CYCLE_1)
	s_and_b32 s16, s10, vcc_lo
	s_and_saveexec_b32 s10, s16
	s_cbranch_execz .LBB331_6
; %bb.5:                                ;   in Loop: Header=BB331_4 Depth=2
	v_bcnt_u32_b32 v0, v0, 0
	ds_store_b32 v26, v0
.LBB331_6:                              ;   in Loop: Header=BB331_4 Depth=2
	s_or_b32 exec_lo, exec_lo, s10
	v_lshrrev_b64 v[0:1], s14, v[24:25]
	; wave barrier
	s_delay_alu instid0(VALU_DEP_1)
	v_and_b32_e32 v2, 1, v0
	v_lshlrev_b32_e32 v3, 30, v0
	v_lshlrev_b32_e32 v4, 29, v0
	;; [unrolled: 1-line block ×4, first 2 shown]
	v_add_co_u32 v2, s10, v2, -1
	s_delay_alu instid0(VALU_DEP_1)
	v_cndmask_b32_e64 v6, 0, 1, s10
	v_not_b32_e32 v29, v3
	v_cmp_gt_i32_e64 s10, 0, v3
	v_not_b32_e32 v3, v4
	v_lshlrev_b32_e32 v27, 26, v0
	v_cmp_ne_u32_e32 vcc_lo, 0, v6
	v_ashrrev_i32_e32 v6, 31, v29
	v_lshlrev_b32_e32 v28, 25, v0
	v_ashrrev_i32_e32 v3, 31, v3
	v_and_b32_e32 v1, 0xff, v0
	v_xor_b32_e32 v2, vcc_lo, v2
	v_cmp_gt_i32_e32 vcc_lo, 0, v4
	v_not_b32_e32 v4, v5
	v_xor_b32_e32 v6, s10, v6
	v_cmp_gt_i32_e64 s10, 0, v5
	v_and_b32_e32 v2, exec_lo, v2
	v_not_b32_e32 v5, v7
	v_ashrrev_i32_e32 v4, 31, v4
	v_xor_b32_e32 v3, vcc_lo, v3
	v_cmp_gt_i32_e32 vcc_lo, 0, v7
	v_and_b32_e32 v2, v2, v6
	v_not_b32_e32 v6, v27
	v_ashrrev_i32_e32 v5, 31, v5
	v_xor_b32_e32 v4, s10, v4
	v_lshlrev_b32_e32 v0, 24, v0
	v_and_b32_e32 v2, v2, v3
	v_cmp_gt_i32_e64 s10, 0, v27
	v_not_b32_e32 v3, v28
	v_ashrrev_i32_e32 v6, 31, v6
	v_xor_b32_e32 v5, vcc_lo, v5
	v_and_b32_e32 v2, v2, v4
	v_cmp_gt_i32_e32 vcc_lo, 0, v28
	v_not_b32_e32 v4, v0
	v_ashrrev_i32_e32 v3, 31, v3
	v_xor_b32_e32 v6, s10, v6
	v_and_b32_e32 v2, v2, v5
	v_lshlrev_b32_e32 v1, 4, v1
	v_cmp_gt_i32_e64 s10, 0, v0
	v_ashrrev_i32_e32 v0, 31, v4
	v_xor_b32_e32 v3, vcc_lo, v3
	v_and_b32_e32 v2, v2, v6
	v_add_lshl_u32 v1, v1, v39, 2
	s_delay_alu instid0(VALU_DEP_4) | instskip(NEXT) | instid1(VALU_DEP_3)
	v_xor_b32_e32 v0, s10, v0
	v_and_b32_e32 v2, v2, v3
	ds_load_b32 v27, v1 offset:64
	v_add_nc_u32_e32 v29, 64, v1
	; wave barrier
	v_and_b32_e32 v0, v2, v0
	s_delay_alu instid0(VALU_DEP_1) | instskip(SKIP_1) | instid1(VALU_DEP_2)
	v_mbcnt_lo_u32_b32 v28, v0, 0
	v_cmp_ne_u32_e64 s10, 0, v0
	v_cmp_eq_u32_e32 vcc_lo, 0, v28
	s_delay_alu instid0(VALU_DEP_2) | instskip(NEXT) | instid1(SALU_CYCLE_1)
	s_and_b32 s16, s10, vcc_lo
	s_and_saveexec_b32 s10, s16
	s_cbranch_execz .LBB331_8
; %bb.7:                                ;   in Loop: Header=BB331_4 Depth=2
	s_waitcnt lgkmcnt(0)
	v_bcnt_u32_b32 v0, v0, v27
	ds_store_b32 v29, v0
.LBB331_8:                              ;   in Loop: Header=BB331_4 Depth=2
	s_or_b32 exec_lo, exec_lo, s10
	v_lshrrev_b64 v[0:1], s14, v[22:23]
	; wave barrier
	s_delay_alu instid0(VALU_DEP_1)
	v_and_b32_e32 v2, 1, v0
	v_lshlrev_b32_e32 v3, 30, v0
	v_lshlrev_b32_e32 v4, 29, v0
	;; [unrolled: 1-line block ×4, first 2 shown]
	v_add_co_u32 v2, s10, v2, -1
	s_delay_alu instid0(VALU_DEP_1)
	v_cndmask_b32_e64 v6, 0, 1, s10
	v_not_b32_e32 v43, v3
	v_cmp_gt_i32_e64 s10, 0, v3
	v_not_b32_e32 v3, v4
	v_lshlrev_b32_e32 v41, 26, v0
	v_cmp_ne_u32_e32 vcc_lo, 0, v6
	v_ashrrev_i32_e32 v6, 31, v43
	v_lshlrev_b32_e32 v42, 25, v0
	v_ashrrev_i32_e32 v3, 31, v3
	v_and_b32_e32 v1, 0xff, v0
	v_xor_b32_e32 v2, vcc_lo, v2
	v_cmp_gt_i32_e32 vcc_lo, 0, v4
	v_not_b32_e32 v4, v5
	v_xor_b32_e32 v6, s10, v6
	v_cmp_gt_i32_e64 s10, 0, v5
	v_and_b32_e32 v2, exec_lo, v2
	v_not_b32_e32 v5, v7
	v_ashrrev_i32_e32 v4, 31, v4
	v_xor_b32_e32 v3, vcc_lo, v3
	v_cmp_gt_i32_e32 vcc_lo, 0, v7
	v_and_b32_e32 v2, v2, v6
	v_not_b32_e32 v6, v41
	v_ashrrev_i32_e32 v5, 31, v5
	v_xor_b32_e32 v4, s10, v4
	v_lshlrev_b32_e32 v0, 24, v0
	v_and_b32_e32 v2, v2, v3
	v_cmp_gt_i32_e64 s10, 0, v41
	v_not_b32_e32 v3, v42
	v_ashrrev_i32_e32 v6, 31, v6
	v_xor_b32_e32 v5, vcc_lo, v5
	v_and_b32_e32 v2, v2, v4
	v_cmp_gt_i32_e32 vcc_lo, 0, v42
	v_not_b32_e32 v4, v0
	v_ashrrev_i32_e32 v3, 31, v3
	v_xor_b32_e32 v6, s10, v6
	v_and_b32_e32 v2, v2, v5
	v_lshlrev_b32_e32 v1, 4, v1
	v_cmp_gt_i32_e64 s10, 0, v0
	v_ashrrev_i32_e32 v0, 31, v4
	v_xor_b32_e32 v3, vcc_lo, v3
	v_and_b32_e32 v2, v2, v6
	v_add_lshl_u32 v1, v1, v39, 2
	s_delay_alu instid0(VALU_DEP_4) | instskip(NEXT) | instid1(VALU_DEP_3)
	v_xor_b32_e32 v0, s10, v0
	v_and_b32_e32 v2, v2, v3
	ds_load_b32 v41, v1 offset:64
	v_add_nc_u32_e32 v43, 64, v1
	; wave barrier
	v_and_b32_e32 v0, v2, v0
	s_delay_alu instid0(VALU_DEP_1) | instskip(SKIP_1) | instid1(VALU_DEP_2)
	v_mbcnt_lo_u32_b32 v42, v0, 0
	v_cmp_ne_u32_e64 s10, 0, v0
	v_cmp_eq_u32_e32 vcc_lo, 0, v42
	s_delay_alu instid0(VALU_DEP_2) | instskip(NEXT) | instid1(SALU_CYCLE_1)
	s_and_b32 s16, s10, vcc_lo
	s_and_saveexec_b32 s10, s16
	s_cbranch_execz .LBB331_10
; %bb.9:                                ;   in Loop: Header=BB331_4 Depth=2
	s_waitcnt lgkmcnt(0)
	v_bcnt_u32_b32 v0, v0, v41
	ds_store_b32 v43, v0
.LBB331_10:                             ;   in Loop: Header=BB331_4 Depth=2
	s_or_b32 exec_lo, exec_lo, s10
	; wave barrier
	s_waitcnt lgkmcnt(0)
	s_barrier
	buffer_gl0_inv
	ds_load_2addr_b64 v[4:7], v30 offset0:8 offset1:9
	ds_load_2addr_b64 v[0:3], v31 offset0:2 offset1:3
	s_waitcnt lgkmcnt(1)
	v_add_nc_u32_e32 v44, v5, v4
	s_delay_alu instid0(VALU_DEP_1) | instskip(SKIP_1) | instid1(VALU_DEP_1)
	v_add3_u32 v44, v44, v6, v7
	s_waitcnt lgkmcnt(0)
	v_add3_u32 v44, v44, v0, v1
	s_delay_alu instid0(VALU_DEP_1) | instskip(NEXT) | instid1(VALU_DEP_1)
	v_add3_u32 v3, v44, v2, v3
	v_mov_b32_dpp v44, v3 row_shr:1 row_mask:0xf bank_mask:0xf
	s_delay_alu instid0(VALU_DEP_1) | instskip(NEXT) | instid1(VALU_DEP_1)
	v_cndmask_b32_e64 v44, v44, 0, s1
	v_add_nc_u32_e32 v3, v44, v3
	s_delay_alu instid0(VALU_DEP_1) | instskip(NEXT) | instid1(VALU_DEP_1)
	v_mov_b32_dpp v44, v3 row_shr:2 row_mask:0xf bank_mask:0xf
	v_cndmask_b32_e64 v44, 0, v44, s2
	s_delay_alu instid0(VALU_DEP_1) | instskip(NEXT) | instid1(VALU_DEP_1)
	v_add_nc_u32_e32 v3, v3, v44
	v_mov_b32_dpp v44, v3 row_shr:4 row_mask:0xf bank_mask:0xf
	s_delay_alu instid0(VALU_DEP_1) | instskip(NEXT) | instid1(VALU_DEP_1)
	v_cndmask_b32_e64 v44, 0, v44, s3
	v_add_nc_u32_e32 v3, v3, v44
	s_delay_alu instid0(VALU_DEP_1) | instskip(NEXT) | instid1(VALU_DEP_1)
	v_mov_b32_dpp v44, v3 row_shr:8 row_mask:0xf bank_mask:0xf
	v_cndmask_b32_e64 v44, 0, v44, s4
	s_delay_alu instid0(VALU_DEP_1) | instskip(SKIP_3) | instid1(VALU_DEP_1)
	v_add_nc_u32_e32 v3, v3, v44
	ds_swizzle_b32 v44, v3 offset:swizzle(BROADCAST,32,15)
	s_waitcnt lgkmcnt(0)
	v_cndmask_b32_e64 v44, v44, 0, s5
	v_add_nc_u32_e32 v3, v3, v44
	s_and_saveexec_b32 s10, s9
	s_cbranch_execz .LBB331_12
; %bb.11:                               ;   in Loop: Header=BB331_4 Depth=2
	ds_store_b32 v33, v3
.LBB331_12:                             ;   in Loop: Header=BB331_4 Depth=2
	s_or_b32 exec_lo, exec_lo, s10
	s_waitcnt lgkmcnt(0)
	s_barrier
	buffer_gl0_inv
	s_and_saveexec_b32 s10, s6
	s_cbranch_execz .LBB331_14
; %bb.13:                               ;   in Loop: Header=BB331_4 Depth=2
	ds_load_b32 v44, v34
	s_waitcnt lgkmcnt(0)
	v_mov_b32_dpp v45, v44 row_shr:1 row_mask:0xf bank_mask:0xf
	s_delay_alu instid0(VALU_DEP_1) | instskip(NEXT) | instid1(VALU_DEP_1)
	v_cndmask_b32_e64 v45, v45, 0, s1
	v_add_nc_u32_e32 v44, v45, v44
	s_delay_alu instid0(VALU_DEP_1) | instskip(NEXT) | instid1(VALU_DEP_1)
	v_mov_b32_dpp v45, v44 row_shr:2 row_mask:0xf bank_mask:0xf
	v_cndmask_b32_e64 v45, 0, v45, s2
	s_delay_alu instid0(VALU_DEP_1) | instskip(NEXT) | instid1(VALU_DEP_1)
	v_add_nc_u32_e32 v44, v44, v45
	v_mov_b32_dpp v45, v44 row_shr:4 row_mask:0xf bank_mask:0xf
	s_delay_alu instid0(VALU_DEP_1) | instskip(NEXT) | instid1(VALU_DEP_1)
	v_cndmask_b32_e64 v45, 0, v45, s3
	v_add_nc_u32_e32 v44, v44, v45
	s_delay_alu instid0(VALU_DEP_1) | instskip(NEXT) | instid1(VALU_DEP_1)
	v_mov_b32_dpp v45, v44 row_shr:8 row_mask:0xf bank_mask:0xf
	v_cndmask_b32_e64 v45, 0, v45, s4
	s_delay_alu instid0(VALU_DEP_1)
	v_add_nc_u32_e32 v44, v44, v45
	ds_store_b32 v34, v44
.LBB331_14:                             ;   in Loop: Header=BB331_4 Depth=2
	s_or_b32 exec_lo, exec_lo, s10
	v_mov_b32_e32 v44, 0
	s_waitcnt lgkmcnt(0)
	s_barrier
	buffer_gl0_inv
	s_and_saveexec_b32 s10, s7
	s_cbranch_execz .LBB331_16
; %bb.15:                               ;   in Loop: Header=BB331_4 Depth=2
	ds_load_b32 v44, v35
.LBB331_16:                             ;   in Loop: Header=BB331_4 Depth=2
	s_or_b32 exec_lo, exec_lo, s10
	s_waitcnt lgkmcnt(0)
	v_add_nc_u32_e32 v3, v44, v3
	s_cmp_gt_u32 s14, 55
	ds_bpermute_b32 v3, v32, v3
	s_waitcnt lgkmcnt(0)
	v_cndmask_b32_e64 v3, v3, v44, s0
	s_delay_alu instid0(VALU_DEP_1) | instskip(NEXT) | instid1(VALU_DEP_1)
	v_cndmask_b32_e64 v3, v3, 0, s8
	v_add_nc_u32_e32 v4, v3, v4
	s_delay_alu instid0(VALU_DEP_1) | instskip(NEXT) | instid1(VALU_DEP_1)
	v_add_nc_u32_e32 v5, v4, v5
	v_add_nc_u32_e32 v6, v5, v6
	s_delay_alu instid0(VALU_DEP_1) | instskip(NEXT) | instid1(VALU_DEP_1)
	v_add_nc_u32_e32 v44, v6, v7
	;; [unrolled: 3-line block ×3, first 2 shown]
	v_add_nc_u32_e32 v1, v0, v2
	ds_store_2addr_b64 v30, v[3:4], v[5:6] offset0:8 offset1:9
	ds_store_2addr_b64 v31, v[44:45], v[0:1] offset0:2 offset1:3
	s_waitcnt lgkmcnt(0)
	s_barrier
	buffer_gl0_inv
	ds_load_b32 v0, v26
	ds_load_b32 v1, v29
	;; [unrolled: 1-line block ×3, first 2 shown]
	s_waitcnt lgkmcnt(2)
	v_add_nc_u32_e32 v44, v0, v8
	s_waitcnt lgkmcnt(1)
	v_add3_u32 v43, v28, v27, v1
	s_waitcnt lgkmcnt(0)
	v_add3_u32 v8, v42, v41, v2
	s_cbranch_scc0 .LBB331_3
; %bb.17:                               ;   in Loop: Header=BB331_2 Depth=1
                                        ; implicit-def: $vgpr26_vgpr27
                                        ; implicit-def: $vgpr2_vgpr3
                                        ; implicit-def: $vgpr28_vgpr29
                                        ; implicit-def: $vgpr6_vgpr7
                                        ; implicit-def: $sgpr14_sgpr15
	s_branch .LBB331_1
.LBB331_18:
	v_lshlrev_b32_e32 v9, 3, v9
	s_add_u32 s0, s18, s12
	s_waitcnt lgkmcnt(1)
	v_add_co_u32 v0, vcc_lo, v1, v5
	s_addc_u32 s1, s19, s13
	v_add_co_u32 v5, s2, s0, v9
	v_add_co_ci_u32_e32 v1, vcc_lo, v2, v6, vcc_lo
	v_add_co_ci_u32_e64 v6, null, s1, 0, s2
	v_add_co_u32 v2, vcc_lo, v3, v7
	v_add_co_ci_u32_e32 v3, vcc_lo, v4, v8, vcc_lo
	v_add_co_u32 v4, vcc_lo, v5, 0x2000
	s_delay_alu instid0(VALU_DEP_4)
	v_add_co_ci_u32_e32 v5, vcc_lo, 0, v6, vcc_lo
	s_waitcnt lgkmcnt(0)
	v_add_co_u32 v6, vcc_lo, v14, v16
	v_add_co_ci_u32_e32 v7, vcc_lo, v15, v17, vcc_lo
	s_clause 0x2
	global_store_b64 v9, v[0:1], s[0:1]
	global_store_b64 v[4:5], v[2:3], off offset:-4096
	global_store_b64 v[4:5], v[6:7], off
	s_nop 0
	s_sendmsg sendmsg(MSG_DEALLOC_VGPRS)
	s_endpgm
	.section	.rodata,"a",@progbits
	.p2align	6, 0x0
	.amdhsa_kernel _Z17sort_pairs_kernelI22helper_blocked_stripedxLj512ELj3ELj10EEvPKT0_PS1_
		.amdhsa_group_segment_fixed_size 16448
		.amdhsa_private_segment_fixed_size 0
		.amdhsa_kernarg_size 272
		.amdhsa_user_sgpr_count 15
		.amdhsa_user_sgpr_dispatch_ptr 0
		.amdhsa_user_sgpr_queue_ptr 0
		.amdhsa_user_sgpr_kernarg_segment_ptr 1
		.amdhsa_user_sgpr_dispatch_id 0
		.amdhsa_user_sgpr_private_segment_size 0
		.amdhsa_wavefront_size32 1
		.amdhsa_uses_dynamic_stack 0
		.amdhsa_enable_private_segment 0
		.amdhsa_system_sgpr_workgroup_id_x 1
		.amdhsa_system_sgpr_workgroup_id_y 0
		.amdhsa_system_sgpr_workgroup_id_z 0
		.amdhsa_system_sgpr_workgroup_info 0
		.amdhsa_system_vgpr_workitem_id 2
		.amdhsa_next_free_vgpr 46
		.amdhsa_next_free_sgpr 20
		.amdhsa_reserve_vcc 1
		.amdhsa_float_round_mode_32 0
		.amdhsa_float_round_mode_16_64 0
		.amdhsa_float_denorm_mode_32 3
		.amdhsa_float_denorm_mode_16_64 3
		.amdhsa_dx10_clamp 1
		.amdhsa_ieee_mode 1
		.amdhsa_fp16_overflow 0
		.amdhsa_workgroup_processor_mode 1
		.amdhsa_memory_ordered 1
		.amdhsa_forward_progress 0
		.amdhsa_shared_vgpr_count 0
		.amdhsa_exception_fp_ieee_invalid_op 0
		.amdhsa_exception_fp_denorm_src 0
		.amdhsa_exception_fp_ieee_div_zero 0
		.amdhsa_exception_fp_ieee_overflow 0
		.amdhsa_exception_fp_ieee_underflow 0
		.amdhsa_exception_fp_ieee_inexact 0
		.amdhsa_exception_int_div_zero 0
	.end_amdhsa_kernel
	.section	.text._Z17sort_pairs_kernelI22helper_blocked_stripedxLj512ELj3ELj10EEvPKT0_PS1_,"axG",@progbits,_Z17sort_pairs_kernelI22helper_blocked_stripedxLj512ELj3ELj10EEvPKT0_PS1_,comdat
.Lfunc_end331:
	.size	_Z17sort_pairs_kernelI22helper_blocked_stripedxLj512ELj3ELj10EEvPKT0_PS1_, .Lfunc_end331-_Z17sort_pairs_kernelI22helper_blocked_stripedxLj512ELj3ELj10EEvPKT0_PS1_
                                        ; -- End function
	.section	.AMDGPU.csdata,"",@progbits
; Kernel info:
; codeLenInByte = 2724
; NumSgprs: 22
; NumVgprs: 46
; ScratchSize: 0
; MemoryBound: 0
; FloatMode: 240
; IeeeMode: 1
; LDSByteSize: 16448 bytes/workgroup (compile time only)
; SGPRBlocks: 2
; VGPRBlocks: 5
; NumSGPRsForWavesPerEU: 22
; NumVGPRsForWavesPerEU: 46
; Occupancy: 16
; WaveLimiterHint : 1
; COMPUTE_PGM_RSRC2:SCRATCH_EN: 0
; COMPUTE_PGM_RSRC2:USER_SGPR: 15
; COMPUTE_PGM_RSRC2:TRAP_HANDLER: 0
; COMPUTE_PGM_RSRC2:TGID_X_EN: 1
; COMPUTE_PGM_RSRC2:TGID_Y_EN: 0
; COMPUTE_PGM_RSRC2:TGID_Z_EN: 0
; COMPUTE_PGM_RSRC2:TIDIG_COMP_CNT: 2
	.section	.text._Z16sort_keys_kernelI22helper_blocked_stripedxLj512ELj4ELj10EEvPKT0_PS1_,"axG",@progbits,_Z16sort_keys_kernelI22helper_blocked_stripedxLj512ELj4ELj10EEvPKT0_PS1_,comdat
	.protected	_Z16sort_keys_kernelI22helper_blocked_stripedxLj512ELj4ELj10EEvPKT0_PS1_ ; -- Begin function _Z16sort_keys_kernelI22helper_blocked_stripedxLj512ELj4ELj10EEvPKT0_PS1_
	.globl	_Z16sort_keys_kernelI22helper_blocked_stripedxLj512ELj4ELj10EEvPKT0_PS1_
	.p2align	8
	.type	_Z16sort_keys_kernelI22helper_blocked_stripedxLj512ELj4ELj10EEvPKT0_PS1_,@function
_Z16sort_keys_kernelI22helper_blocked_stripedxLj512ELj4ELj10EEvPKT0_PS1_: ; @_Z16sort_keys_kernelI22helper_blocked_stripedxLj512ELj4ELj10EEvPKT0_PS1_
; %bb.0:
	s_clause 0x1
	s_load_b128 s[16:19], s[0:1], 0x0
	s_load_b32 s2, s[0:1], 0x1c
	s_mov_b32 s21, 0
	s_lshl_b32 s20, s15, 11
	v_bfe_u32 v10, v0, 10, 10
	s_lshl_b64 s[14:15], s[20:21], 3
	s_mov_b32 s20, s21
	v_and_b32_e32 v9, 0x3ff, v0
	v_bfe_u32 v0, v0, 20, 10
	v_mbcnt_lo_u32_b32 v12, -1, 0
	s_delay_alu instid0(VALU_DEP_3) | instskip(NEXT) | instid1(VALU_DEP_2)
	v_lshlrev_b32_e32 v22, 5, v9
	v_and_b32_e32 v13, 3, v12
	v_cmp_eq_u32_e64 s11, 0, v12
	s_waitcnt lgkmcnt(0)
	s_add_u32 s0, s16, s14
	s_addc_u32 s1, s17, s15
	s_mov_b32 s16, s21
	s_clause 0x1
	global_load_b128 v[1:4], v22, s[0:1] offset:16
	global_load_b128 v[5:8], v22, s[0:1]
	s_lshr_b32 s0, s2, 16
	s_and_b32 s1, s2, 0xffff
	v_mad_u32_u24 v0, v0, s0, v10
	s_mov_b32 s17, s21
	v_and_b32_e32 v24, 28, v12
	v_cmp_eq_u32_e64 s0, 3, v13
	v_cmp_eq_u32_e64 s2, 1, v13
	v_mad_u64_u32 v[10:11], null, v0, s1, v[9:10]
	v_add_nc_u32_e32 v11, -1, v12
	v_and_b32_e32 v0, 15, v12
	v_cmp_eq_u32_e64 s1, 2, v13
	s_delay_alu instid0(VALU_DEP_3)
	v_cmp_gt_i32_e32 vcc_lo, 0, v11
	v_lshrrev_b32_e32 v29, 5, v10
	v_and_b32_e32 v10, 16, v12
	v_cmp_eq_u32_e64 s3, 0, v0
	v_cmp_lt_u32_e64 s4, 1, v0
	v_cmp_lt_u32_e64 s5, 3, v0
	;; [unrolled: 1-line block ×3, first 2 shown]
	v_cmp_eq_u32_e64 s7, 0, v10
	v_cndmask_b32_e32 v10, v11, v12, vcc_lo
	v_lshrrev_b32_e32 v11, 3, v9
	s_delay_alu instid0(VALU_DEP_1) | instskip(NEXT) | instid1(VALU_DEP_3)
	v_and_b32_e32 v31, 60, v11
	v_lshlrev_b32_e32 v30, 2, v10
	v_dual_mov_b32 v10, s20 :: v_dual_lshlrev_b32 v23, 2, v9
	v_or_b32_e32 v0, 31, v9
	v_cmp_gt_u32_e64 s9, 16, v9
	v_cmp_lt_u32_e64 s10, 31, v9
	v_cmp_eq_u32_e64 s12, 0, v9
	v_add_nc_u32_e32 v33, -4, v31
	v_cmp_eq_u32_e64 s8, v0, v9
	v_and_or_b32 v0, 0x780, v23, v12
	v_dual_mov_b32 v12, s16 :: v_dual_mov_b32 v11, s21
	v_add_nc_u32_e32 v28, 64, v22
	v_mad_i32_i24 v32, 0xffffffe4, v9, v22
	s_delay_alu instid0(VALU_DEP_4)
	v_dual_mov_b32 v13, s17 :: v_dual_lshlrev_b32 v34, 3, v0
	v_or_b32_e32 v25, 32, v24
	v_or_b32_e32 v26, 64, v24
	;; [unrolled: 1-line block ×3, first 2 shown]
	s_branch .LBB332_2
.LBB332_1:                              ;   in Loop: Header=BB332_2 Depth=1
	v_lshlrev_b32_e32 v0, 3, v38
	v_lshlrev_b32_e32 v1, 3, v36
	;; [unrolled: 1-line block ×3, first 2 shown]
	s_barrier
	buffer_gl0_inv
	v_lshlrev_b32_e32 v3, 3, v8
	ds_store_b64 v0, v[14:15]
	ds_store_b64 v1, v[20:21]
	;; [unrolled: 1-line block ×3, first 2 shown]
	v_add_nc_u32_e32 v0, v32, v23
	s_add_i32 s21, s21, 1
	ds_store_b64 v3, v[16:17]
	s_waitcnt lgkmcnt(0)
	s_barrier
	buffer_gl0_inv
	ds_load_2addr_stride64_b64 v[5:8], v0 offset1:8
	ds_load_2addr_stride64_b64 v[1:4], v0 offset0:16 offset1:24
	s_cmp_eq_u32 s21, 10
	s_waitcnt lgkmcnt(1)
	v_xor_b32_e32 v6, 0x80000000, v6
	v_xor_b32_e32 v8, 0x80000000, v8
	s_waitcnt lgkmcnt(0)
	v_xor_b32_e32 v2, 0x80000000, v2
	v_xor_b32_e32 v4, 0x80000000, v4
	s_cbranch_scc1 .LBB332_20
.LBB332_2:                              ; =>This Loop Header: Depth=1
                                        ;     Child Loop BB332_4 Depth 2
	s_waitcnt vmcnt(0)
	v_xor_b32_e32 v0, 0x80000000, v6
	v_xor_b32_e32 v6, 0x80000000, v8
	ds_bpermute_b32 v8, v24, v5
	ds_bpermute_b32 v14, v24, v7
	v_xor_b32_e32 v2, 0x80000000, v2
	ds_bpermute_b32 v15, v24, v0
	ds_bpermute_b32 v16, v24, v6
	;; [unrolled: 1-line block ×14, first 2 shown]
	v_xor_b32_e32 v4, 0x80000000, v4
	ds_bpermute_b32 v37, v25, v1
	ds_bpermute_b32 v43, v27, v2
	;; [unrolled: 1-line block ×3, first 2 shown]
	s_waitcnt lgkmcnt(17)
	v_cndmask_b32_e64 v8, v8, v14, s2
	ds_bpermute_b32 v14, v26, v6
	ds_bpermute_b32 v6, v27, v6
	s_waitcnt lgkmcnt(17)
	v_cndmask_b32_e64 v15, v15, v16, s2
	ds_bpermute_b32 v16, v27, v0
	s_waitcnt lgkmcnt(17)
	v_cndmask_b32_e64 v0, v8, v17, s1
	s_waitcnt lgkmcnt(15)
	v_cndmask_b32_e64 v8, v18, v19, s2
	ds_bpermute_b32 v18, v26, v1
	s_waitcnt lgkmcnt(15)
	v_cndmask_b32_e64 v15, v15, v20, s1
	ds_bpermute_b32 v19, v26, v2
	ds_bpermute_b32 v20, v27, v1
	;; [unrolled: 1-line block ×9, first 2 shown]
	s_waitcnt lgkmcnt(22)
	v_cndmask_b32_e64 v2, v35, v36, s2
	s_waitcnt lgkmcnt(17)
	v_cndmask_b32_e64 v3, v8, v41, s1
	v_cndmask_b32_e64 v4, v38, v39, s2
	s_waitcnt lgkmcnt(12)
	v_cndmask_b32_e64 v8, v42, v14, s2
	v_cndmask_b32_e64 v5, v5, v7, s2
	;; [unrolled: 1-line block ×3, first 2 shown]
	s_waitcnt lgkmcnt(10)
	v_cndmask_b32_e64 v6, v16, v6, s2
	v_cndmask_b32_e64 v0, v0, v21, s0
	s_mov_b64 s[16:17], 0
	s_waitcnt lgkmcnt(9)
	v_cndmask_b32_e64 v4, v4, v18, s1
	s_waitcnt lgkmcnt(0)
	v_cndmask_b32_e64 v7, v8, v19, s1
	v_cndmask_b32_e64 v8, v5, v20, s1
	;; [unrolled: 1-line block ×10, first 2 shown]
	s_barrier
	s_branch .LBB332_4
.LBB332_3:                              ;   in Loop: Header=BB332_4 Depth=2
	v_lshlrev_b32_e32 v0, 3, v38
	v_lshlrev_b32_e32 v1, 3, v36
	;; [unrolled: 1-line block ×4, first 2 shown]
	s_barrier
	buffer_gl0_inv
	ds_store_b64 v0, v[14:15]
	ds_store_b64 v1, v[20:21]
	;; [unrolled: 1-line block ×4, first 2 shown]
	s_waitcnt lgkmcnt(0)
	s_barrier
	buffer_gl0_inv
	ds_load_2addr_b64 v[0:3], v34 offset1:32
	ds_load_2addr_b64 v[4:7], v34 offset0:64 offset1:96
	s_add_u32 s16, s16, 8
	s_addc_u32 s17, s17, 0
	s_waitcnt lgkmcnt(0)
	s_barrier
	s_cbranch_execz .LBB332_1
.LBB332_4:                              ;   Parent Loop BB332_2 Depth=1
                                        ; =>  This Inner Loop Header: Depth=2
	v_dual_mov_b32 v15, v1 :: v_dual_mov_b32 v14, v0
	buffer_gl0_inv
	ds_store_2addr_b64 v22, v[10:11], v[12:13] offset0:8 offset1:9
	ds_store_2addr_b64 v28, v[10:11], v[12:13] offset0:2 offset1:3
	s_waitcnt lgkmcnt(0)
	s_barrier
	v_lshrrev_b64 v[35:36], s16, v[14:15]
	buffer_gl0_inv
	; wave barrier
	v_and_b32_e32 v0, 1, v35
	v_lshlrev_b32_e32 v1, 30, v35
	v_lshlrev_b32_e32 v8, 29, v35
	;; [unrolled: 1-line block ×4, first 2 shown]
	v_add_co_u32 v0, s13, v0, -1
	s_delay_alu instid0(VALU_DEP_1)
	v_cndmask_b32_e64 v17, 0, 1, s13
	v_not_b32_e32 v21, v1
	v_cmp_gt_i32_e64 s13, 0, v1
	v_not_b32_e32 v1, v8
	v_lshlrev_b32_e32 v19, 26, v35
	v_cmp_ne_u32_e32 vcc_lo, 0, v17
	v_ashrrev_i32_e32 v21, 31, v21
	v_lshlrev_b32_e32 v20, 25, v35
	v_ashrrev_i32_e32 v1, 31, v1
	v_lshlrev_b32_e32 v17, 24, v35
	v_xor_b32_e32 v0, vcc_lo, v0
	v_cmp_gt_i32_e32 vcc_lo, 0, v8
	v_not_b32_e32 v8, v16
	v_xor_b32_e32 v21, s13, v21
	v_cmp_gt_i32_e64 s13, 0, v16
	v_and_b32_e32 v0, exec_lo, v0
	v_not_b32_e32 v16, v18
	v_ashrrev_i32_e32 v8, 31, v8
	v_xor_b32_e32 v1, vcc_lo, v1
	v_cmp_gt_i32_e32 vcc_lo, 0, v18
	v_and_b32_e32 v0, v0, v21
	v_not_b32_e32 v18, v19
	v_ashrrev_i32_e32 v16, 31, v16
	v_xor_b32_e32 v8, s13, v8
	v_cmp_gt_i32_e64 s13, 0, v19
	v_and_b32_e32 v0, v0, v1
	v_not_b32_e32 v1, v20
	v_ashrrev_i32_e32 v18, 31, v18
	v_xor_b32_e32 v16, vcc_lo, v16
	v_cmp_gt_i32_e32 vcc_lo, 0, v20
	v_dual_mov_b32 v21, v3 :: v_dual_and_b32 v0, v0, v8
	v_mov_b32_e32 v20, v2
	v_not_b32_e32 v8, v17
	v_ashrrev_i32_e32 v1, 31, v1
	v_xor_b32_e32 v18, s13, v18
	v_and_b32_e32 v0, v0, v16
	v_cmp_gt_i32_e64 s13, 0, v17
	v_ashrrev_i32_e32 v8, 31, v8
	v_xor_b32_e32 v1, vcc_lo, v1
	s_delay_alu instid0(VALU_DEP_4) | instskip(SKIP_1) | instid1(VALU_DEP_4)
	v_dual_mov_b32 v17, v7 :: v_dual_and_b32 v0, v0, v18
	v_mov_b32_e32 v19, v5
	v_xor_b32_e32 v8, s13, v8
	v_mov_b32_e32 v16, v6
	v_mov_b32_e32 v18, v4
	v_and_b32_e32 v0, v0, v1
	v_and_b32_e32 v1, 0xff, v35
	s_delay_alu instid0(VALU_DEP_2) | instskip(NEXT) | instid1(VALU_DEP_2)
	v_and_b32_e32 v0, v0, v8
	v_lshl_add_u32 v1, v1, 4, v29
	s_delay_alu instid0(VALU_DEP_2) | instskip(SKIP_1) | instid1(VALU_DEP_3)
	v_mbcnt_lo_u32_b32 v8, v0, 0
	v_cmp_ne_u32_e64 s13, 0, v0
	v_lshl_add_u32 v35, v1, 2, 64
	s_delay_alu instid0(VALU_DEP_3) | instskip(NEXT) | instid1(VALU_DEP_3)
	v_cmp_eq_u32_e32 vcc_lo, 0, v8
	s_and_b32 s20, s13, vcc_lo
	s_delay_alu instid0(SALU_CYCLE_1)
	s_and_saveexec_b32 s13, s20
	s_cbranch_execz .LBB332_6
; %bb.5:                                ;   in Loop: Header=BB332_4 Depth=2
	v_bcnt_u32_b32 v0, v0, 0
	ds_store_b32 v35, v0
.LBB332_6:                              ;   in Loop: Header=BB332_4 Depth=2
	s_or_b32 exec_lo, exec_lo, s13
	v_lshrrev_b64 v[0:1], s16, v[20:21]
	; wave barrier
	s_delay_alu instid0(VALU_DEP_1)
	v_and_b32_e32 v2, 1, v0
	v_lshlrev_b32_e32 v3, 30, v0
	v_lshlrev_b32_e32 v4, 29, v0
	;; [unrolled: 1-line block ×4, first 2 shown]
	v_add_co_u32 v2, s13, v2, -1
	s_delay_alu instid0(VALU_DEP_1)
	v_cndmask_b32_e64 v6, 0, 1, s13
	v_not_b32_e32 v38, v3
	v_cmp_gt_i32_e64 s13, 0, v3
	v_not_b32_e32 v3, v4
	v_lshlrev_b32_e32 v36, 26, v0
	v_cmp_ne_u32_e32 vcc_lo, 0, v6
	v_ashrrev_i32_e32 v6, 31, v38
	v_lshlrev_b32_e32 v37, 25, v0
	v_ashrrev_i32_e32 v3, 31, v3
	v_and_b32_e32 v1, 0xff, v0
	v_xor_b32_e32 v2, vcc_lo, v2
	v_cmp_gt_i32_e32 vcc_lo, 0, v4
	v_not_b32_e32 v4, v5
	v_xor_b32_e32 v6, s13, v6
	v_cmp_gt_i32_e64 s13, 0, v5
	v_and_b32_e32 v2, exec_lo, v2
	v_not_b32_e32 v5, v7
	v_ashrrev_i32_e32 v4, 31, v4
	v_xor_b32_e32 v3, vcc_lo, v3
	v_cmp_gt_i32_e32 vcc_lo, 0, v7
	v_and_b32_e32 v2, v2, v6
	v_not_b32_e32 v6, v36
	v_ashrrev_i32_e32 v5, 31, v5
	v_xor_b32_e32 v4, s13, v4
	v_lshlrev_b32_e32 v0, 24, v0
	v_and_b32_e32 v2, v2, v3
	v_cmp_gt_i32_e64 s13, 0, v36
	v_not_b32_e32 v3, v37
	v_ashrrev_i32_e32 v6, 31, v6
	v_xor_b32_e32 v5, vcc_lo, v5
	v_and_b32_e32 v2, v2, v4
	v_cmp_gt_i32_e32 vcc_lo, 0, v37
	v_not_b32_e32 v4, v0
	v_ashrrev_i32_e32 v3, 31, v3
	v_xor_b32_e32 v6, s13, v6
	v_and_b32_e32 v2, v2, v5
	v_lshlrev_b32_e32 v1, 4, v1
	v_cmp_gt_i32_e64 s13, 0, v0
	v_ashrrev_i32_e32 v0, 31, v4
	v_xor_b32_e32 v3, vcc_lo, v3
	v_and_b32_e32 v2, v2, v6
	v_add_lshl_u32 v1, v1, v29, 2
	s_delay_alu instid0(VALU_DEP_4) | instskip(NEXT) | instid1(VALU_DEP_3)
	v_xor_b32_e32 v0, s13, v0
	v_and_b32_e32 v2, v2, v3
	ds_load_b32 v36, v1 offset:64
	v_add_nc_u32_e32 v38, 64, v1
	; wave barrier
	v_and_b32_e32 v0, v2, v0
	s_delay_alu instid0(VALU_DEP_1) | instskip(SKIP_1) | instid1(VALU_DEP_2)
	v_mbcnt_lo_u32_b32 v37, v0, 0
	v_cmp_ne_u32_e64 s13, 0, v0
	v_cmp_eq_u32_e32 vcc_lo, 0, v37
	s_delay_alu instid0(VALU_DEP_2) | instskip(NEXT) | instid1(SALU_CYCLE_1)
	s_and_b32 s20, s13, vcc_lo
	s_and_saveexec_b32 s13, s20
	s_cbranch_execz .LBB332_8
; %bb.7:                                ;   in Loop: Header=BB332_4 Depth=2
	s_waitcnt lgkmcnt(0)
	v_bcnt_u32_b32 v0, v0, v36
	ds_store_b32 v38, v0
.LBB332_8:                              ;   in Loop: Header=BB332_4 Depth=2
	s_or_b32 exec_lo, exec_lo, s13
	v_lshrrev_b64 v[0:1], s16, v[18:19]
	; wave barrier
	s_delay_alu instid0(VALU_DEP_1)
	v_and_b32_e32 v2, 1, v0
	v_lshlrev_b32_e32 v3, 30, v0
	v_lshlrev_b32_e32 v4, 29, v0
	;; [unrolled: 1-line block ×4, first 2 shown]
	v_add_co_u32 v2, s13, v2, -1
	s_delay_alu instid0(VALU_DEP_1)
	v_cndmask_b32_e64 v6, 0, 1, s13
	v_not_b32_e32 v41, v3
	v_cmp_gt_i32_e64 s13, 0, v3
	v_not_b32_e32 v3, v4
	v_lshlrev_b32_e32 v39, 26, v0
	v_cmp_ne_u32_e32 vcc_lo, 0, v6
	v_ashrrev_i32_e32 v6, 31, v41
	v_lshlrev_b32_e32 v40, 25, v0
	v_ashrrev_i32_e32 v3, 31, v3
	v_and_b32_e32 v1, 0xff, v0
	v_xor_b32_e32 v2, vcc_lo, v2
	v_cmp_gt_i32_e32 vcc_lo, 0, v4
	v_not_b32_e32 v4, v5
	v_xor_b32_e32 v6, s13, v6
	v_cmp_gt_i32_e64 s13, 0, v5
	v_and_b32_e32 v2, exec_lo, v2
	v_not_b32_e32 v5, v7
	v_ashrrev_i32_e32 v4, 31, v4
	v_xor_b32_e32 v3, vcc_lo, v3
	v_cmp_gt_i32_e32 vcc_lo, 0, v7
	v_and_b32_e32 v2, v2, v6
	v_not_b32_e32 v6, v39
	v_ashrrev_i32_e32 v5, 31, v5
	v_xor_b32_e32 v4, s13, v4
	v_lshlrev_b32_e32 v0, 24, v0
	v_and_b32_e32 v2, v2, v3
	v_cmp_gt_i32_e64 s13, 0, v39
	v_not_b32_e32 v3, v40
	v_ashrrev_i32_e32 v6, 31, v6
	v_xor_b32_e32 v5, vcc_lo, v5
	v_and_b32_e32 v2, v2, v4
	v_cmp_gt_i32_e32 vcc_lo, 0, v40
	v_not_b32_e32 v4, v0
	v_ashrrev_i32_e32 v3, 31, v3
	v_xor_b32_e32 v6, s13, v6
	v_and_b32_e32 v2, v2, v5
	v_lshlrev_b32_e32 v1, 4, v1
	v_cmp_gt_i32_e64 s13, 0, v0
	v_ashrrev_i32_e32 v0, 31, v4
	v_xor_b32_e32 v3, vcc_lo, v3
	v_and_b32_e32 v2, v2, v6
	v_add_lshl_u32 v1, v1, v29, 2
	s_delay_alu instid0(VALU_DEP_4) | instskip(NEXT) | instid1(VALU_DEP_3)
	v_xor_b32_e32 v0, s13, v0
	v_and_b32_e32 v2, v2, v3
	ds_load_b32 v39, v1 offset:64
	v_add_nc_u32_e32 v41, 64, v1
	; wave barrier
	v_and_b32_e32 v0, v2, v0
	s_delay_alu instid0(VALU_DEP_1) | instskip(SKIP_1) | instid1(VALU_DEP_2)
	v_mbcnt_lo_u32_b32 v40, v0, 0
	v_cmp_ne_u32_e64 s13, 0, v0
	v_cmp_eq_u32_e32 vcc_lo, 0, v40
	s_delay_alu instid0(VALU_DEP_2) | instskip(NEXT) | instid1(SALU_CYCLE_1)
	s_and_b32 s20, s13, vcc_lo
	s_and_saveexec_b32 s13, s20
	s_cbranch_execz .LBB332_10
; %bb.9:                                ;   in Loop: Header=BB332_4 Depth=2
	s_waitcnt lgkmcnt(0)
	v_bcnt_u32_b32 v0, v0, v39
	ds_store_b32 v41, v0
.LBB332_10:                             ;   in Loop: Header=BB332_4 Depth=2
	s_or_b32 exec_lo, exec_lo, s13
	v_lshrrev_b64 v[0:1], s16, v[16:17]
	; wave barrier
	s_delay_alu instid0(VALU_DEP_1)
	v_and_b32_e32 v2, 1, v0
	v_lshlrev_b32_e32 v3, 30, v0
	v_lshlrev_b32_e32 v4, 29, v0
	;; [unrolled: 1-line block ×4, first 2 shown]
	v_add_co_u32 v2, s13, v2, -1
	s_delay_alu instid0(VALU_DEP_1)
	v_cndmask_b32_e64 v6, 0, 1, s13
	v_not_b32_e32 v44, v3
	v_cmp_gt_i32_e64 s13, 0, v3
	v_not_b32_e32 v3, v4
	v_lshlrev_b32_e32 v42, 26, v0
	v_cmp_ne_u32_e32 vcc_lo, 0, v6
	v_ashrrev_i32_e32 v6, 31, v44
	v_lshlrev_b32_e32 v43, 25, v0
	v_ashrrev_i32_e32 v3, 31, v3
	v_and_b32_e32 v1, 0xff, v0
	v_xor_b32_e32 v2, vcc_lo, v2
	v_cmp_gt_i32_e32 vcc_lo, 0, v4
	v_not_b32_e32 v4, v5
	v_xor_b32_e32 v6, s13, v6
	v_cmp_gt_i32_e64 s13, 0, v5
	v_and_b32_e32 v2, exec_lo, v2
	v_not_b32_e32 v5, v7
	v_ashrrev_i32_e32 v4, 31, v4
	v_xor_b32_e32 v3, vcc_lo, v3
	v_cmp_gt_i32_e32 vcc_lo, 0, v7
	v_and_b32_e32 v2, v2, v6
	v_not_b32_e32 v6, v42
	v_ashrrev_i32_e32 v5, 31, v5
	v_xor_b32_e32 v4, s13, v4
	v_lshlrev_b32_e32 v0, 24, v0
	v_and_b32_e32 v2, v2, v3
	v_cmp_gt_i32_e64 s13, 0, v42
	v_not_b32_e32 v3, v43
	v_ashrrev_i32_e32 v6, 31, v6
	v_xor_b32_e32 v5, vcc_lo, v5
	v_and_b32_e32 v2, v2, v4
	v_cmp_gt_i32_e32 vcc_lo, 0, v43
	v_not_b32_e32 v4, v0
	v_ashrrev_i32_e32 v3, 31, v3
	v_xor_b32_e32 v6, s13, v6
	v_and_b32_e32 v2, v2, v5
	v_lshlrev_b32_e32 v1, 4, v1
	v_cmp_gt_i32_e64 s13, 0, v0
	v_ashrrev_i32_e32 v0, 31, v4
	v_xor_b32_e32 v3, vcc_lo, v3
	v_and_b32_e32 v2, v2, v6
	v_add_lshl_u32 v1, v1, v29, 2
	s_delay_alu instid0(VALU_DEP_4) | instskip(NEXT) | instid1(VALU_DEP_3)
	v_xor_b32_e32 v0, s13, v0
	v_and_b32_e32 v2, v2, v3
	ds_load_b32 v42, v1 offset:64
	v_add_nc_u32_e32 v44, 64, v1
	; wave barrier
	v_and_b32_e32 v0, v2, v0
	s_delay_alu instid0(VALU_DEP_1) | instskip(SKIP_1) | instid1(VALU_DEP_2)
	v_mbcnt_lo_u32_b32 v43, v0, 0
	v_cmp_ne_u32_e64 s13, 0, v0
	v_cmp_eq_u32_e32 vcc_lo, 0, v43
	s_delay_alu instid0(VALU_DEP_2) | instskip(NEXT) | instid1(SALU_CYCLE_1)
	s_and_b32 s20, s13, vcc_lo
	s_and_saveexec_b32 s13, s20
	s_cbranch_execz .LBB332_12
; %bb.11:                               ;   in Loop: Header=BB332_4 Depth=2
	s_waitcnt lgkmcnt(0)
	v_bcnt_u32_b32 v0, v0, v42
	ds_store_b32 v44, v0
.LBB332_12:                             ;   in Loop: Header=BB332_4 Depth=2
	s_or_b32 exec_lo, exec_lo, s13
	; wave barrier
	s_waitcnt lgkmcnt(0)
	s_barrier
	buffer_gl0_inv
	ds_load_2addr_b64 v[4:7], v22 offset0:8 offset1:9
	ds_load_2addr_b64 v[0:3], v28 offset0:2 offset1:3
	s_waitcnt lgkmcnt(1)
	v_add_nc_u32_e32 v45, v5, v4
	s_delay_alu instid0(VALU_DEP_1) | instskip(SKIP_1) | instid1(VALU_DEP_1)
	v_add3_u32 v45, v45, v6, v7
	s_waitcnt lgkmcnt(0)
	v_add3_u32 v45, v45, v0, v1
	s_delay_alu instid0(VALU_DEP_1) | instskip(NEXT) | instid1(VALU_DEP_1)
	v_add3_u32 v3, v45, v2, v3
	v_mov_b32_dpp v45, v3 row_shr:1 row_mask:0xf bank_mask:0xf
	s_delay_alu instid0(VALU_DEP_1) | instskip(NEXT) | instid1(VALU_DEP_1)
	v_cndmask_b32_e64 v45, v45, 0, s3
	v_add_nc_u32_e32 v3, v45, v3
	s_delay_alu instid0(VALU_DEP_1) | instskip(NEXT) | instid1(VALU_DEP_1)
	v_mov_b32_dpp v45, v3 row_shr:2 row_mask:0xf bank_mask:0xf
	v_cndmask_b32_e64 v45, 0, v45, s4
	s_delay_alu instid0(VALU_DEP_1) | instskip(NEXT) | instid1(VALU_DEP_1)
	v_add_nc_u32_e32 v3, v3, v45
	v_mov_b32_dpp v45, v3 row_shr:4 row_mask:0xf bank_mask:0xf
	s_delay_alu instid0(VALU_DEP_1) | instskip(NEXT) | instid1(VALU_DEP_1)
	v_cndmask_b32_e64 v45, 0, v45, s5
	v_add_nc_u32_e32 v3, v3, v45
	s_delay_alu instid0(VALU_DEP_1) | instskip(NEXT) | instid1(VALU_DEP_1)
	v_mov_b32_dpp v45, v3 row_shr:8 row_mask:0xf bank_mask:0xf
	v_cndmask_b32_e64 v45, 0, v45, s6
	s_delay_alu instid0(VALU_DEP_1) | instskip(SKIP_3) | instid1(VALU_DEP_1)
	v_add_nc_u32_e32 v3, v3, v45
	ds_swizzle_b32 v45, v3 offset:swizzle(BROADCAST,32,15)
	s_waitcnt lgkmcnt(0)
	v_cndmask_b32_e64 v45, v45, 0, s7
	v_add_nc_u32_e32 v3, v3, v45
	s_and_saveexec_b32 s13, s8
	s_cbranch_execz .LBB332_14
; %bb.13:                               ;   in Loop: Header=BB332_4 Depth=2
	ds_store_b32 v31, v3
.LBB332_14:                             ;   in Loop: Header=BB332_4 Depth=2
	s_or_b32 exec_lo, exec_lo, s13
	s_waitcnt lgkmcnt(0)
	s_barrier
	buffer_gl0_inv
	s_and_saveexec_b32 s13, s9
	s_cbranch_execz .LBB332_16
; %bb.15:                               ;   in Loop: Header=BB332_4 Depth=2
	ds_load_b32 v45, v32
	s_waitcnt lgkmcnt(0)
	v_mov_b32_dpp v46, v45 row_shr:1 row_mask:0xf bank_mask:0xf
	s_delay_alu instid0(VALU_DEP_1) | instskip(NEXT) | instid1(VALU_DEP_1)
	v_cndmask_b32_e64 v46, v46, 0, s3
	v_add_nc_u32_e32 v45, v46, v45
	s_delay_alu instid0(VALU_DEP_1) | instskip(NEXT) | instid1(VALU_DEP_1)
	v_mov_b32_dpp v46, v45 row_shr:2 row_mask:0xf bank_mask:0xf
	v_cndmask_b32_e64 v46, 0, v46, s4
	s_delay_alu instid0(VALU_DEP_1) | instskip(NEXT) | instid1(VALU_DEP_1)
	v_add_nc_u32_e32 v45, v45, v46
	v_mov_b32_dpp v46, v45 row_shr:4 row_mask:0xf bank_mask:0xf
	s_delay_alu instid0(VALU_DEP_1) | instskip(NEXT) | instid1(VALU_DEP_1)
	v_cndmask_b32_e64 v46, 0, v46, s5
	v_add_nc_u32_e32 v45, v45, v46
	s_delay_alu instid0(VALU_DEP_1) | instskip(NEXT) | instid1(VALU_DEP_1)
	v_mov_b32_dpp v46, v45 row_shr:8 row_mask:0xf bank_mask:0xf
	v_cndmask_b32_e64 v46, 0, v46, s6
	s_delay_alu instid0(VALU_DEP_1)
	v_add_nc_u32_e32 v45, v45, v46
	ds_store_b32 v32, v45
.LBB332_16:                             ;   in Loop: Header=BB332_4 Depth=2
	s_or_b32 exec_lo, exec_lo, s13
	v_mov_b32_e32 v45, 0
	s_waitcnt lgkmcnt(0)
	s_barrier
	buffer_gl0_inv
	s_and_saveexec_b32 s13, s10
	s_cbranch_execz .LBB332_18
; %bb.17:                               ;   in Loop: Header=BB332_4 Depth=2
	ds_load_b32 v45, v33
.LBB332_18:                             ;   in Loop: Header=BB332_4 Depth=2
	s_or_b32 exec_lo, exec_lo, s13
	s_waitcnt lgkmcnt(0)
	v_add_nc_u32_e32 v3, v45, v3
	s_cmp_gt_u32 s16, 55
	ds_bpermute_b32 v3, v30, v3
	s_waitcnt lgkmcnt(0)
	v_cndmask_b32_e64 v3, v3, v45, s11
	s_delay_alu instid0(VALU_DEP_1) | instskip(NEXT) | instid1(VALU_DEP_1)
	v_cndmask_b32_e64 v3, v3, 0, s12
	v_add_nc_u32_e32 v4, v3, v4
	s_delay_alu instid0(VALU_DEP_1) | instskip(NEXT) | instid1(VALU_DEP_1)
	v_add_nc_u32_e32 v5, v4, v5
	v_add_nc_u32_e32 v6, v5, v6
	s_delay_alu instid0(VALU_DEP_1) | instskip(NEXT) | instid1(VALU_DEP_1)
	v_add_nc_u32_e32 v45, v6, v7
	;; [unrolled: 3-line block ×3, first 2 shown]
	v_add_nc_u32_e32 v1, v0, v2
	ds_store_2addr_b64 v22, v[3:4], v[5:6] offset0:8 offset1:9
	ds_store_2addr_b64 v28, v[45:46], v[0:1] offset0:2 offset1:3
	s_waitcnt lgkmcnt(0)
	s_barrier
	buffer_gl0_inv
	ds_load_b32 v0, v35
	ds_load_b32 v1, v38
	;; [unrolled: 1-line block ×4, first 2 shown]
	s_waitcnt lgkmcnt(3)
	v_add_nc_u32_e32 v38, v0, v8
	s_waitcnt lgkmcnt(2)
	v_add3_u32 v36, v37, v36, v1
	s_waitcnt lgkmcnt(1)
	v_add3_u32 v35, v40, v39, v2
	;; [unrolled: 2-line block ×3, first 2 shown]
	s_cbranch_scc0 .LBB332_3
; %bb.19:                               ;   in Loop: Header=BB332_2 Depth=1
                                        ; implicit-def: $vgpr6_vgpr7
                                        ; implicit-def: $vgpr2_vgpr3
                                        ; implicit-def: $sgpr16_sgpr17
	s_branch .LBB332_1
.LBB332_20:
	v_lshlrev_b32_e32 v0, 3, v9
	s_add_u32 s0, s18, s14
	s_addc_u32 s1, s19, s15
	s_delay_alu instid0(VALU_DEP_1) | instskip(NEXT) | instid1(VALU_DEP_1)
	v_add_co_u32 v11, s2, s0, v0
	v_add_co_ci_u32_e64 v12, null, s1, 0, s2
	s_delay_alu instid0(VALU_DEP_2) | instskip(NEXT) | instid1(VALU_DEP_2)
	v_add_co_u32 v9, vcc_lo, v11, 0x2000
	v_add_co_ci_u32_e32 v10, vcc_lo, 0, v12, vcc_lo
	v_add_co_u32 v11, vcc_lo, 0x3000, v11
	v_add_co_ci_u32_e32 v12, vcc_lo, 0, v12, vcc_lo
	s_clause 0x3
	global_store_b64 v0, v[5:6], s[0:1]
	global_store_b64 v[9:10], v[1:2], off
	global_store_b64 v[9:10], v[7:8], off offset:-4096
	global_store_b64 v[11:12], v[3:4], off
	s_nop 0
	s_sendmsg sendmsg(MSG_DEALLOC_VGPRS)
	s_endpgm
	.section	.rodata,"a",@progbits
	.p2align	6, 0x0
	.amdhsa_kernel _Z16sort_keys_kernelI22helper_blocked_stripedxLj512ELj4ELj10EEvPKT0_PS1_
		.amdhsa_group_segment_fixed_size 16448
		.amdhsa_private_segment_fixed_size 0
		.amdhsa_kernarg_size 272
		.amdhsa_user_sgpr_count 15
		.amdhsa_user_sgpr_dispatch_ptr 0
		.amdhsa_user_sgpr_queue_ptr 0
		.amdhsa_user_sgpr_kernarg_segment_ptr 1
		.amdhsa_user_sgpr_dispatch_id 0
		.amdhsa_user_sgpr_private_segment_size 0
		.amdhsa_wavefront_size32 1
		.amdhsa_uses_dynamic_stack 0
		.amdhsa_enable_private_segment 0
		.amdhsa_system_sgpr_workgroup_id_x 1
		.amdhsa_system_sgpr_workgroup_id_y 0
		.amdhsa_system_sgpr_workgroup_id_z 0
		.amdhsa_system_sgpr_workgroup_info 0
		.amdhsa_system_vgpr_workitem_id 2
		.amdhsa_next_free_vgpr 49
		.amdhsa_next_free_sgpr 22
		.amdhsa_reserve_vcc 1
		.amdhsa_float_round_mode_32 0
		.amdhsa_float_round_mode_16_64 0
		.amdhsa_float_denorm_mode_32 3
		.amdhsa_float_denorm_mode_16_64 3
		.amdhsa_dx10_clamp 1
		.amdhsa_ieee_mode 1
		.amdhsa_fp16_overflow 0
		.amdhsa_workgroup_processor_mode 1
		.amdhsa_memory_ordered 1
		.amdhsa_forward_progress 0
		.amdhsa_shared_vgpr_count 0
		.amdhsa_exception_fp_ieee_invalid_op 0
		.amdhsa_exception_fp_denorm_src 0
		.amdhsa_exception_fp_ieee_div_zero 0
		.amdhsa_exception_fp_ieee_overflow 0
		.amdhsa_exception_fp_ieee_underflow 0
		.amdhsa_exception_fp_ieee_inexact 0
		.amdhsa_exception_int_div_zero 0
	.end_amdhsa_kernel
	.section	.text._Z16sort_keys_kernelI22helper_blocked_stripedxLj512ELj4ELj10EEvPKT0_PS1_,"axG",@progbits,_Z16sort_keys_kernelI22helper_blocked_stripedxLj512ELj4ELj10EEvPKT0_PS1_,comdat
.Lfunc_end332:
	.size	_Z16sort_keys_kernelI22helper_blocked_stripedxLj512ELj4ELj10EEvPKT0_PS1_, .Lfunc_end332-_Z16sort_keys_kernelI22helper_blocked_stripedxLj512ELj4ELj10EEvPKT0_PS1_
                                        ; -- End function
	.section	.AMDGPU.csdata,"",@progbits
; Kernel info:
; codeLenInByte = 3308
; NumSgprs: 24
; NumVgprs: 49
; ScratchSize: 0
; MemoryBound: 0
; FloatMode: 240
; IeeeMode: 1
; LDSByteSize: 16448 bytes/workgroup (compile time only)
; SGPRBlocks: 2
; VGPRBlocks: 6
; NumSGPRsForWavesPerEU: 24
; NumVGPRsForWavesPerEU: 49
; Occupancy: 16
; WaveLimiterHint : 1
; COMPUTE_PGM_RSRC2:SCRATCH_EN: 0
; COMPUTE_PGM_RSRC2:USER_SGPR: 15
; COMPUTE_PGM_RSRC2:TRAP_HANDLER: 0
; COMPUTE_PGM_RSRC2:TGID_X_EN: 1
; COMPUTE_PGM_RSRC2:TGID_Y_EN: 0
; COMPUTE_PGM_RSRC2:TGID_Z_EN: 0
; COMPUTE_PGM_RSRC2:TIDIG_COMP_CNT: 2
	.section	.text._Z17sort_pairs_kernelI22helper_blocked_stripedxLj512ELj4ELj10EEvPKT0_PS1_,"axG",@progbits,_Z17sort_pairs_kernelI22helper_blocked_stripedxLj512ELj4ELj10EEvPKT0_PS1_,comdat
	.protected	_Z17sort_pairs_kernelI22helper_blocked_stripedxLj512ELj4ELj10EEvPKT0_PS1_ ; -- Begin function _Z17sort_pairs_kernelI22helper_blocked_stripedxLj512ELj4ELj10EEvPKT0_PS1_
	.globl	_Z17sort_pairs_kernelI22helper_blocked_stripedxLj512ELj4ELj10EEvPKT0_PS1_
	.p2align	8
	.type	_Z17sort_pairs_kernelI22helper_blocked_stripedxLj512ELj4ELj10EEvPKT0_PS1_,@function
_Z17sort_pairs_kernelI22helper_blocked_stripedxLj512ELj4ELj10EEvPKT0_PS1_: ; @_Z17sort_pairs_kernelI22helper_blocked_stripedxLj512ELj4ELj10EEvPKT0_PS1_
; %bb.0:
	s_clause 0x1
	s_load_b128 s[16:19], s[0:1], 0x0
	s_load_b32 s12, s[0:1], 0x1c
	v_mbcnt_lo_u32_b32 v6, -1, 0
	v_and_b32_e32 v19, 0x3ff, v0
	s_mov_b32 s21, 0
	s_lshl_b32 s20, s15, 11
	v_bfe_u32 v7, v0, 10, 10
	v_add_nc_u32_e32 v10, -1, v6
	s_lshl_b64 s[14:15], s[20:21], 3
	v_and_b32_e32 v9, 16, v6
	v_bfe_u32 v0, v0, 20, 10
	v_and_b32_e32 v1, 3, v6
	v_cmp_gt_i32_e32 vcc_lo, 0, v10
	v_lshlrev_b32_e32 v34, 5, v19
	v_cmp_eq_u32_e64 s8, 0, v9
	v_and_b32_e32 v8, 15, v6
	v_dual_cndmask_b32 v9, v10, v6 :: v_dual_lshlrev_b32 v36, 2, v19
	v_lshrrev_b32_e32 v10, 3, v19
	v_cmp_eq_u32_e64 s2, 2, v1
	s_waitcnt lgkmcnt(0)
	s_add_u32 s0, s16, s14
	s_addc_u32 s1, s17, s15
	s_lshr_b32 s13, s12, 16
	s_clause 0x1
	global_load_b128 v[11:14], v34, s[0:1]
	global_load_b128 v[2:5], v34, s[0:1] offset:16
	v_mad_u32_u24 v7, v0, s13, v7
	s_and_b32 s12, s12, 0xffff
	v_cmp_eq_u32_e64 s1, 3, v1
	v_cmp_eq_u32_e64 s3, 1, v1
	;; [unrolled: 1-line block ×3, first 2 shown]
	v_cmp_lt_u32_e64 s5, 1, v8
	v_cmp_lt_u32_e64 s6, 3, v8
	;; [unrolled: 1-line block ×3, first 2 shown]
	v_or_b32_e32 v8, 31, v19
	v_mad_u64_u32 v[0:1], null, v7, s12, v[19:20]
	v_and_b32_e32 v35, 28, v6
	v_and_b32_e32 v41, 60, v10
	v_and_or_b32 v1, 0x780, v36, v6
	v_cmp_eq_u32_e64 s12, v8, v19
	v_lshlrev_b32_e32 v42, 2, v9
	v_cmp_eq_u32_e64 s0, 0, v6
	v_or_b32_e32 v37, 32, v35
	v_or_b32_e32 v38, 64, v35
	v_or_b32_e32 v39, 0x60, v35
	v_cmp_gt_u32_e64 s9, 16, v19
	v_cmp_lt_u32_e64 s10, 31, v19
	v_cmp_eq_u32_e64 s11, 0, v19
	v_add_nc_u32_e32 v40, 64, v34
	v_mad_i32_i24 v43, 0xffffffe4, v19, v34
	v_add_nc_u32_e32 v44, -4, v41
	v_lshlrev_b32_e32 v45, 3, v1
	v_lshrrev_b32_e32 v46, 5, v0
	s_mov_b32 s20, s21
	s_mov_b32 s16, s21
	;; [unrolled: 1-line block ×4, first 2 shown]
	s_waitcnt vmcnt(1)
	v_add_co_u32 v15, vcc_lo, v11, 1
	v_add_co_ci_u32_e32 v16, vcc_lo, 0, v12, vcc_lo
	v_add_co_u32 v17, vcc_lo, v13, 1
	v_add_co_ci_u32_e32 v18, vcc_lo, 0, v14, vcc_lo
	s_waitcnt vmcnt(0)
	v_add_co_u32 v7, vcc_lo, v2, 1
	v_add_co_ci_u32_e32 v8, vcc_lo, 0, v3, vcc_lo
	v_add_co_u32 v9, vcc_lo, v4, 1
	v_add_co_ci_u32_e32 v10, vcc_lo, 0, v5, vcc_lo
	s_branch .LBB333_2
.LBB333_1:                              ;   in Loop: Header=BB333_2 Depth=1
	v_lshlrev_b32_e32 v0, 3, v50
	s_delay_alu instid0(VALU_DEP_2)
	v_lshlrev_b32_e32 v7, 3, v18
	v_add_nc_u32_e32 v8, v43, v36
	v_lshlrev_b32_e32 v1, 3, v49
	v_lshlrev_b32_e32 v6, 3, v48
	s_barrier
	buffer_gl0_inv
	ds_store_b64 v0, v[16:17]
	ds_store_b64 v1, v[32:33]
	;; [unrolled: 1-line block ×4, first 2 shown]
	s_waitcnt lgkmcnt(0)
	s_barrier
	buffer_gl0_inv
	ds_load_2addr_stride64_b64 v[11:14], v8 offset1:8
	ds_load_2addr_stride64_b64 v[2:5], v8 offset0:16 offset1:24
	s_waitcnt lgkmcnt(0)
	s_barrier
	buffer_gl0_inv
	ds_store_b64 v0, v[24:25]
	ds_store_b64 v1, v[22:23]
	;; [unrolled: 1-line block ×4, first 2 shown]
	s_waitcnt lgkmcnt(0)
	s_barrier
	buffer_gl0_inv
	ds_load_2addr_stride64_b64 v[15:18], v8 offset1:8
	ds_load_2addr_stride64_b64 v[7:10], v8 offset0:16 offset1:24
	s_add_i32 s24, s24, 1
	s_delay_alu instid0(SALU_CYCLE_1)
	s_cmp_lg_u32 s24, 10
	v_xor_b32_e32 v12, 0x80000000, v12
	v_xor_b32_e32 v14, 0x80000000, v14
	v_xor_b32_e32 v3, 0x80000000, v3
	v_xor_b32_e32 v5, 0x80000000, v5
	s_cbranch_scc0 .LBB333_20
.LBB333_2:                              ; =>This Loop Header: Depth=1
                                        ;     Child Loop BB333_4 Depth 2
	v_xor_b32_e32 v6, 0x80000000, v12
	v_xor_b32_e32 v12, 0x80000000, v14
	ds_bpermute_b32 v0, v35, v11
	ds_bpermute_b32 v1, v35, v13
	v_xor_b32_e32 v3, 0x80000000, v3
	ds_bpermute_b32 v14, v35, v6
	ds_bpermute_b32 v20, v35, v12
	;; [unrolled: 1-line block ×6, first 2 shown]
	v_xor_b32_e32 v25, 0x80000000, v5
	ds_bpermute_b32 v5, v37, v11
	ds_bpermute_b32 v26, v37, v13
	;; [unrolled: 1-line block ×11, first 2 shown]
	s_waitcnt lgkmcnt(17)
	v_cndmask_b32_e64 v0, v0, v1, s3
	ds_bpermute_b32 v31, v37, v4
	ds_bpermute_b32 v48, v38, v4
	s_waitcnt lgkmcnt(17)
	v_cndmask_b32_e64 v1, v14, v20, s3
	ds_bpermute_b32 v14, v38, v6
	ds_bpermute_b32 v20, v38, v12
	s_waitcnt lgkmcnt(18)
	v_cndmask_b32_e64 v0, v0, v21, s2
	s_waitcnt lgkmcnt(15)
	v_cndmask_b32_e64 v21, v23, v24, s3
	v_cndmask_b32_e64 v1, v1, v22, s2
	ds_bpermute_b32 v22, v38, v3
	s_waitcnt lgkmcnt(14)
	v_cndmask_b32_e64 v5, v5, v26, s3
	s_waitcnt lgkmcnt(13)
	v_cndmask_b32_e64 v0, v0, v27, s1
	;; [unrolled: 2-line block ×4, first 2 shown]
	ds_bpermute_b32 v6, v39, v6
	ds_bpermute_b32 v12, v39, v12
	;; [unrolled: 1-line block ×10, first 2 shown]
	s_waitcnt lgkmcnt(19)
	v_cndmask_b32_e64 v2, v32, v33, s3
	ds_bpermute_b32 v32, v39, v4
	ds_bpermute_b32 v33, v35, v7
	;; [unrolled: 1-line block ×3, first 2 shown]
	s_waitcnt lgkmcnt(14)
	v_cndmask_b32_e64 v4, v14, v20, s3
	ds_bpermute_b32 v14, v37, v15
	ds_bpermute_b32 v20, v37, v17
	v_cndmask_b32_e64 v11, v11, v13, s3
	v_cndmask_b32_e64 v3, v5, v30, s2
	;; [unrolled: 1-line block ×3, first 2 shown]
	s_waitcnt lgkmcnt(15)
	v_cndmask_b32_e64 v22, v4, v22, s2
	s_waitcnt lgkmcnt(13)
	v_cndmask_b32_e64 v6, v6, v12, s3
	;; [unrolled: 2-line block ×3, first 2 shown]
	v_cndmask_b32_e64 v2, v3, v31, s1
	v_cndmask_b32_e64 v4, v5, v48, s1
	s_waitcnt lgkmcnt(9)
	v_cndmask_b32_e64 v12, v26, v28, s3
	s_waitcnt lgkmcnt(8)
	;; [unrolled: 2-line block ×5, first 2 shown]
	v_cndmask_b32_e64 v21, v6, v50, s2
	ds_bpermute_b32 v22, v39, v25
	s_waitcnt lgkmcnt(5)
	v_cndmask_b32_e64 v6, v11, v32, s1
	s_waitcnt lgkmcnt(4)
	v_cndmask_b32_e64 v11, v12, v33, s2
	;; [unrolled: 2-line block ×3, first 2 shown]
	ds_bpermute_b32 v13, v35, v9
	ds_bpermute_b32 v23, v35, v10
	;; [unrolled: 1-line block ×4, first 2 shown]
	s_waitcnt lgkmcnt(5)
	v_cndmask_b32_e64 v14, v14, v20, s3
	ds_bpermute_b32 v20, v37, v7
	ds_bpermute_b32 v27, v38, v15
	;; [unrolled: 1-line block ×20, first 2 shown]
	s_waitcnt lgkmcnt(20)
	v_cndmask_b32_e64 v10, v24, v25, s3
	v_cndmask_b32_e64 v9, v12, v23, s1
	;; [unrolled: 1-line block ×3, first 2 shown]
	s_waitcnt lgkmcnt(19)
	v_cndmask_b32_e64 v12, v14, v20, s2
	s_waitcnt lgkmcnt(15)
	v_cndmask_b32_e64 v13, v28, v30, s3
	v_cndmask_b32_e64 v14, v27, v29, s3
	;; [unrolled: 1-line block ×3, first 2 shown]
	s_waitcnt lgkmcnt(12)
	v_cndmask_b32_e64 v16, v16, v18, s3
	s_waitcnt lgkmcnt(11)
	v_cndmask_b32_e64 v15, v15, v17, s3
	;; [unrolled: 2-line block ×13, first 2 shown]
	s_mov_b64 s[22:23], 0
	s_barrier
	s_branch .LBB333_4
.LBB333_3:                              ;   in Loop: Header=BB333_4 Depth=2
	v_lshlrev_b32_e32 v8, 3, v50
	v_lshlrev_b32_e32 v9, 3, v49
	;; [unrolled: 1-line block ×4, first 2 shown]
	s_barrier
	buffer_gl0_inv
	ds_store_b64 v8, v[16:17]
	ds_store_b64 v9, v[32:33]
	;; [unrolled: 1-line block ×4, first 2 shown]
	s_waitcnt lgkmcnt(0)
	s_barrier
	buffer_gl0_inv
	ds_load_2addr_b64 v[0:3], v45 offset1:32
	ds_load_2addr_b64 v[4:7], v45 offset0:64 offset1:96
	s_waitcnt lgkmcnt(0)
	s_barrier
	buffer_gl0_inv
	ds_store_b64 v8, v[24:25]
	ds_store_b64 v9, v[22:23]
	;; [unrolled: 1-line block ×4, first 2 shown]
	s_waitcnt lgkmcnt(0)
	s_barrier
	buffer_gl0_inv
	ds_load_2addr_b64 v[8:11], v45 offset1:32
	ds_load_2addr_b64 v[12:15], v45 offset0:64 offset1:96
	s_add_u32 s22, s22, 8
	s_addc_u32 s23, s23, 0
	s_waitcnt lgkmcnt(0)
	s_barrier
	s_cbranch_execz .LBB333_1
.LBB333_4:                              ;   Parent Loop BB333_2 Depth=1
                                        ; =>  This Inner Loop Header: Depth=2
	v_dual_mov_b32 v17, v1 :: v_dual_mov_b32 v16, v0
	buffer_gl0_inv
	v_mov_b32_e32 v29, v7
	v_mov_b32_e32 v31, v5
	;; [unrolled: 1-line block ×3, first 2 shown]
	v_lshrrev_b64 v[47:48], s22, v[16:17]
	v_mov_b32_e32 v28, v6
	v_mov_b32_e32 v30, v4
	v_dual_mov_b32 v32, v2 :: v_dual_mov_b32 v27, v15
	v_mov_b32_e32 v26, v14
	v_and_b32_e32 v0, 1, v47
	v_lshlrev_b32_e32 v1, 30, v47
	v_lshlrev_b32_e32 v18, 29, v47
	;; [unrolled: 1-line block ×4, first 2 shown]
	v_add_co_u32 v0, s13, v0, -1
	s_delay_alu instid0(VALU_DEP_1)
	v_cndmask_b32_e64 v21, 0, 1, s13
	v_not_b32_e32 v25, v1
	v_cmp_gt_i32_e64 s13, 0, v1
	v_not_b32_e32 v1, v18
	v_lshlrev_b32_e32 v23, 26, v47
	v_cmp_ne_u32_e32 vcc_lo, 0, v21
	v_ashrrev_i32_e32 v25, 31, v25
	v_lshlrev_b32_e32 v24, 25, v47
	v_ashrrev_i32_e32 v1, 31, v1
	v_lshlrev_b32_e32 v21, 24, v47
	v_xor_b32_e32 v0, vcc_lo, v0
	v_cmp_gt_i32_e32 vcc_lo, 0, v18
	v_not_b32_e32 v18, v20
	v_xor_b32_e32 v25, s13, v25
	v_cmp_gt_i32_e64 s13, 0, v20
	v_and_b32_e32 v0, exec_lo, v0
	v_not_b32_e32 v20, v22
	v_ashrrev_i32_e32 v18, 31, v18
	v_xor_b32_e32 v1, vcc_lo, v1
	v_cmp_gt_i32_e32 vcc_lo, 0, v22
	v_and_b32_e32 v0, v0, v25
	v_not_b32_e32 v22, v23
	v_ashrrev_i32_e32 v20, 31, v20
	v_xor_b32_e32 v18, s13, v18
	v_cmp_gt_i32_e64 s13, 0, v23
	v_and_b32_e32 v0, v0, v1
	v_ashrrev_i32_e32 v22, 31, v22
	v_xor_b32_e32 v20, vcc_lo, v20
	v_and_b32_e32 v5, 0xff, v47
	s_delay_alu instid0(VALU_DEP_4) | instskip(NEXT) | instid1(VALU_DEP_4)
	v_and_b32_e32 v0, v0, v18
	v_xor_b32_e32 v22, s13, v22
	v_not_b32_e32 v18, v21
	v_cmp_gt_i32_e64 s13, 0, v21
	s_delay_alu instid0(VALU_DEP_4) | instskip(NEXT) | instid1(VALU_DEP_3)
	v_dual_mov_b32 v21, v13 :: v_dual_and_b32 v0, v0, v20
	v_ashrrev_i32_e32 v18, 31, v18
	v_mov_b32_e32 v20, v12
	s_delay_alu instid0(VALU_DEP_3) | instskip(SKIP_4) | instid1(VALU_DEP_4)
	v_dual_mov_b32 v23, v11 :: v_dual_and_b32 v0, v0, v22
	v_not_b32_e32 v1, v24
	v_cmp_gt_i32_e32 vcc_lo, 0, v24
	v_xor_b32_e32 v3, s13, v18
	v_dual_mov_b32 v25, v9 :: v_dual_mov_b32 v24, v8
	v_ashrrev_i32_e32 v1, 31, v1
	v_mov_b32_e32 v22, v10
	s_delay_alu instid0(VALU_DEP_2) | instskip(NEXT) | instid1(VALU_DEP_1)
	v_xor_b32_e32 v1, vcc_lo, v1
	v_dual_mov_b32 v1, s20 :: v_dual_and_b32 v0, v0, v1
	v_mov_b32_e32 v2, s21
	s_delay_alu instid0(VALU_DEP_2)
	v_dual_mov_b32 v3, s16 :: v_dual_and_b32 v0, v0, v3
	v_mov_b32_e32 v4, s17
	ds_store_2addr_b64 v34, v[1:2], v[3:4] offset0:8 offset1:9
	ds_store_2addr_b64 v40, v[1:2], v[3:4] offset0:2 offset1:3
	v_mbcnt_lo_u32_b32 v8, v0, 0
	v_lshl_add_u32 v1, v5, 4, v46
	v_cmp_ne_u32_e64 s13, 0, v0
	s_waitcnt lgkmcnt(0)
	s_barrier
	v_cmp_eq_u32_e32 vcc_lo, 0, v8
	v_lshl_add_u32 v9, v1, 2, 64
	buffer_gl0_inv
	; wave barrier
	s_and_b32 s25, s13, vcc_lo
	s_delay_alu instid0(SALU_CYCLE_1)
	s_and_saveexec_b32 s13, s25
	s_cbranch_execz .LBB333_6
; %bb.5:                                ;   in Loop: Header=BB333_4 Depth=2
	v_bcnt_u32_b32 v0, v0, 0
	ds_store_b32 v9, v0
.LBB333_6:                              ;   in Loop: Header=BB333_4 Depth=2
	s_or_b32 exec_lo, exec_lo, s13
	v_lshrrev_b64 v[0:1], s22, v[32:33]
	; wave barrier
	s_delay_alu instid0(VALU_DEP_1)
	v_and_b32_e32 v2, 1, v0
	v_lshlrev_b32_e32 v3, 30, v0
	v_lshlrev_b32_e32 v4, 29, v0
	;; [unrolled: 1-line block ×4, first 2 shown]
	v_add_co_u32 v2, s13, v2, -1
	s_delay_alu instid0(VALU_DEP_1)
	v_cndmask_b32_e64 v6, 0, 1, s13
	v_not_b32_e32 v12, v3
	v_cmp_gt_i32_e64 s13, 0, v3
	v_not_b32_e32 v3, v4
	v_lshlrev_b32_e32 v10, 26, v0
	v_cmp_ne_u32_e32 vcc_lo, 0, v6
	v_ashrrev_i32_e32 v6, 31, v12
	v_lshlrev_b32_e32 v11, 25, v0
	v_ashrrev_i32_e32 v3, 31, v3
	v_and_b32_e32 v1, 0xff, v0
	v_xor_b32_e32 v2, vcc_lo, v2
	v_cmp_gt_i32_e32 vcc_lo, 0, v4
	v_not_b32_e32 v4, v5
	v_xor_b32_e32 v6, s13, v6
	v_cmp_gt_i32_e64 s13, 0, v5
	v_and_b32_e32 v2, exec_lo, v2
	v_not_b32_e32 v5, v7
	v_ashrrev_i32_e32 v4, 31, v4
	v_xor_b32_e32 v3, vcc_lo, v3
	v_cmp_gt_i32_e32 vcc_lo, 0, v7
	v_and_b32_e32 v2, v2, v6
	v_not_b32_e32 v6, v10
	v_ashrrev_i32_e32 v5, 31, v5
	v_xor_b32_e32 v4, s13, v4
	v_lshlrev_b32_e32 v0, 24, v0
	v_and_b32_e32 v2, v2, v3
	v_cmp_gt_i32_e64 s13, 0, v10
	v_not_b32_e32 v3, v11
	v_ashrrev_i32_e32 v6, 31, v6
	v_xor_b32_e32 v5, vcc_lo, v5
	v_and_b32_e32 v2, v2, v4
	v_cmp_gt_i32_e32 vcc_lo, 0, v11
	v_not_b32_e32 v4, v0
	v_ashrrev_i32_e32 v3, 31, v3
	v_xor_b32_e32 v6, s13, v6
	v_and_b32_e32 v2, v2, v5
	v_lshlrev_b32_e32 v1, 4, v1
	v_cmp_gt_i32_e64 s13, 0, v0
	v_ashrrev_i32_e32 v0, 31, v4
	v_xor_b32_e32 v3, vcc_lo, v3
	v_and_b32_e32 v2, v2, v6
	v_add_lshl_u32 v1, v1, v46, 2
	s_delay_alu instid0(VALU_DEP_4) | instskip(NEXT) | instid1(VALU_DEP_3)
	v_xor_b32_e32 v0, s13, v0
	v_and_b32_e32 v2, v2, v3
	ds_load_b32 v10, v1 offset:64
	v_add_nc_u32_e32 v12, 64, v1
	; wave barrier
	v_and_b32_e32 v0, v2, v0
	s_delay_alu instid0(VALU_DEP_1) | instskip(SKIP_1) | instid1(VALU_DEP_2)
	v_mbcnt_lo_u32_b32 v11, v0, 0
	v_cmp_ne_u32_e64 s13, 0, v0
	v_cmp_eq_u32_e32 vcc_lo, 0, v11
	s_delay_alu instid0(VALU_DEP_2) | instskip(NEXT) | instid1(SALU_CYCLE_1)
	s_and_b32 s25, s13, vcc_lo
	s_and_saveexec_b32 s13, s25
	s_cbranch_execz .LBB333_8
; %bb.7:                                ;   in Loop: Header=BB333_4 Depth=2
	s_waitcnt lgkmcnt(0)
	v_bcnt_u32_b32 v0, v0, v10
	ds_store_b32 v12, v0
.LBB333_8:                              ;   in Loop: Header=BB333_4 Depth=2
	s_or_b32 exec_lo, exec_lo, s13
	v_lshrrev_b64 v[0:1], s22, v[30:31]
	; wave barrier
	s_delay_alu instid0(VALU_DEP_1)
	v_and_b32_e32 v2, 1, v0
	v_lshlrev_b32_e32 v3, 30, v0
	v_lshlrev_b32_e32 v4, 29, v0
	;; [unrolled: 1-line block ×4, first 2 shown]
	v_add_co_u32 v2, s13, v2, -1
	s_delay_alu instid0(VALU_DEP_1)
	v_cndmask_b32_e64 v6, 0, 1, s13
	v_not_b32_e32 v15, v3
	v_cmp_gt_i32_e64 s13, 0, v3
	v_not_b32_e32 v3, v4
	v_lshlrev_b32_e32 v13, 26, v0
	v_cmp_ne_u32_e32 vcc_lo, 0, v6
	v_ashrrev_i32_e32 v6, 31, v15
	v_lshlrev_b32_e32 v14, 25, v0
	v_ashrrev_i32_e32 v3, 31, v3
	v_and_b32_e32 v1, 0xff, v0
	v_xor_b32_e32 v2, vcc_lo, v2
	v_cmp_gt_i32_e32 vcc_lo, 0, v4
	v_not_b32_e32 v4, v5
	v_xor_b32_e32 v6, s13, v6
	v_cmp_gt_i32_e64 s13, 0, v5
	v_and_b32_e32 v2, exec_lo, v2
	v_not_b32_e32 v5, v7
	v_ashrrev_i32_e32 v4, 31, v4
	v_xor_b32_e32 v3, vcc_lo, v3
	v_cmp_gt_i32_e32 vcc_lo, 0, v7
	v_and_b32_e32 v2, v2, v6
	v_not_b32_e32 v6, v13
	v_ashrrev_i32_e32 v5, 31, v5
	v_xor_b32_e32 v4, s13, v4
	v_lshlrev_b32_e32 v0, 24, v0
	v_and_b32_e32 v2, v2, v3
	v_cmp_gt_i32_e64 s13, 0, v13
	v_not_b32_e32 v3, v14
	v_ashrrev_i32_e32 v6, 31, v6
	v_xor_b32_e32 v5, vcc_lo, v5
	v_and_b32_e32 v2, v2, v4
	v_cmp_gt_i32_e32 vcc_lo, 0, v14
	v_not_b32_e32 v4, v0
	v_ashrrev_i32_e32 v3, 31, v3
	v_xor_b32_e32 v6, s13, v6
	v_and_b32_e32 v2, v2, v5
	v_lshlrev_b32_e32 v1, 4, v1
	v_cmp_gt_i32_e64 s13, 0, v0
	v_ashrrev_i32_e32 v0, 31, v4
	v_xor_b32_e32 v3, vcc_lo, v3
	v_and_b32_e32 v2, v2, v6
	v_add_lshl_u32 v1, v1, v46, 2
	s_delay_alu instid0(VALU_DEP_4) | instskip(NEXT) | instid1(VALU_DEP_3)
	v_xor_b32_e32 v0, s13, v0
	v_and_b32_e32 v2, v2, v3
	ds_load_b32 v13, v1 offset:64
	v_add_nc_u32_e32 v15, 64, v1
	; wave barrier
	v_and_b32_e32 v0, v2, v0
	s_delay_alu instid0(VALU_DEP_1) | instskip(SKIP_1) | instid1(VALU_DEP_2)
	v_mbcnt_lo_u32_b32 v14, v0, 0
	v_cmp_ne_u32_e64 s13, 0, v0
	v_cmp_eq_u32_e32 vcc_lo, 0, v14
	s_delay_alu instid0(VALU_DEP_2) | instskip(NEXT) | instid1(SALU_CYCLE_1)
	s_and_b32 s25, s13, vcc_lo
	s_and_saveexec_b32 s13, s25
	s_cbranch_execz .LBB333_10
; %bb.9:                                ;   in Loop: Header=BB333_4 Depth=2
	s_waitcnt lgkmcnt(0)
	v_bcnt_u32_b32 v0, v0, v13
	ds_store_b32 v15, v0
.LBB333_10:                             ;   in Loop: Header=BB333_4 Depth=2
	s_or_b32 exec_lo, exec_lo, s13
	v_lshrrev_b64 v[0:1], s22, v[28:29]
	; wave barrier
	s_delay_alu instid0(VALU_DEP_1)
	v_and_b32_e32 v2, 1, v0
	v_lshlrev_b32_e32 v3, 30, v0
	v_lshlrev_b32_e32 v4, 29, v0
	;; [unrolled: 1-line block ×4, first 2 shown]
	v_add_co_u32 v2, s13, v2, -1
	s_delay_alu instid0(VALU_DEP_1)
	v_cndmask_b32_e64 v6, 0, 1, s13
	v_not_b32_e32 v48, v3
	v_cmp_gt_i32_e64 s13, 0, v3
	v_not_b32_e32 v3, v4
	v_lshlrev_b32_e32 v18, 26, v0
	v_cmp_ne_u32_e32 vcc_lo, 0, v6
	v_ashrrev_i32_e32 v6, 31, v48
	v_lshlrev_b32_e32 v47, 25, v0
	v_ashrrev_i32_e32 v3, 31, v3
	v_and_b32_e32 v1, 0xff, v0
	v_xor_b32_e32 v2, vcc_lo, v2
	v_cmp_gt_i32_e32 vcc_lo, 0, v4
	v_not_b32_e32 v4, v5
	v_xor_b32_e32 v6, s13, v6
	v_cmp_gt_i32_e64 s13, 0, v5
	v_and_b32_e32 v2, exec_lo, v2
	v_not_b32_e32 v5, v7
	v_ashrrev_i32_e32 v4, 31, v4
	v_xor_b32_e32 v3, vcc_lo, v3
	v_cmp_gt_i32_e32 vcc_lo, 0, v7
	v_and_b32_e32 v2, v2, v6
	v_not_b32_e32 v6, v18
	v_ashrrev_i32_e32 v5, 31, v5
	v_xor_b32_e32 v4, s13, v4
	v_lshlrev_b32_e32 v0, 24, v0
	v_and_b32_e32 v2, v2, v3
	v_cmp_gt_i32_e64 s13, 0, v18
	v_not_b32_e32 v3, v47
	v_ashrrev_i32_e32 v6, 31, v6
	v_xor_b32_e32 v5, vcc_lo, v5
	v_and_b32_e32 v2, v2, v4
	v_cmp_gt_i32_e32 vcc_lo, 0, v47
	v_not_b32_e32 v4, v0
	v_ashrrev_i32_e32 v3, 31, v3
	v_xor_b32_e32 v6, s13, v6
	v_and_b32_e32 v2, v2, v5
	v_lshlrev_b32_e32 v1, 4, v1
	v_cmp_gt_i32_e64 s13, 0, v0
	v_ashrrev_i32_e32 v0, 31, v4
	v_xor_b32_e32 v3, vcc_lo, v3
	v_and_b32_e32 v2, v2, v6
	v_add_lshl_u32 v1, v1, v46, 2
	s_delay_alu instid0(VALU_DEP_4) | instskip(NEXT) | instid1(VALU_DEP_3)
	v_xor_b32_e32 v0, s13, v0
	v_and_b32_e32 v2, v2, v3
	ds_load_b32 v18, v1 offset:64
	v_add_nc_u32_e32 v48, 64, v1
	; wave barrier
	v_and_b32_e32 v0, v2, v0
	s_delay_alu instid0(VALU_DEP_1) | instskip(SKIP_1) | instid1(VALU_DEP_2)
	v_mbcnt_lo_u32_b32 v47, v0, 0
	v_cmp_ne_u32_e64 s13, 0, v0
	v_cmp_eq_u32_e32 vcc_lo, 0, v47
	s_delay_alu instid0(VALU_DEP_2) | instskip(NEXT) | instid1(SALU_CYCLE_1)
	s_and_b32 s25, s13, vcc_lo
	s_and_saveexec_b32 s13, s25
	s_cbranch_execz .LBB333_12
; %bb.11:                               ;   in Loop: Header=BB333_4 Depth=2
	s_waitcnt lgkmcnt(0)
	v_bcnt_u32_b32 v0, v0, v18
	ds_store_b32 v48, v0
.LBB333_12:                             ;   in Loop: Header=BB333_4 Depth=2
	s_or_b32 exec_lo, exec_lo, s13
	; wave barrier
	s_waitcnt lgkmcnt(0)
	s_barrier
	buffer_gl0_inv
	ds_load_2addr_b64 v[4:7], v34 offset0:8 offset1:9
	ds_load_2addr_b64 v[0:3], v40 offset0:2 offset1:3
	s_waitcnt lgkmcnt(1)
	v_add_nc_u32_e32 v49, v5, v4
	s_delay_alu instid0(VALU_DEP_1) | instskip(SKIP_1) | instid1(VALU_DEP_1)
	v_add3_u32 v49, v49, v6, v7
	s_waitcnt lgkmcnt(0)
	v_add3_u32 v49, v49, v0, v1
	s_delay_alu instid0(VALU_DEP_1) | instskip(NEXT) | instid1(VALU_DEP_1)
	v_add3_u32 v3, v49, v2, v3
	v_mov_b32_dpp v49, v3 row_shr:1 row_mask:0xf bank_mask:0xf
	s_delay_alu instid0(VALU_DEP_1) | instskip(NEXT) | instid1(VALU_DEP_1)
	v_cndmask_b32_e64 v49, v49, 0, s4
	v_add_nc_u32_e32 v3, v49, v3
	s_delay_alu instid0(VALU_DEP_1) | instskip(NEXT) | instid1(VALU_DEP_1)
	v_mov_b32_dpp v49, v3 row_shr:2 row_mask:0xf bank_mask:0xf
	v_cndmask_b32_e64 v49, 0, v49, s5
	s_delay_alu instid0(VALU_DEP_1) | instskip(NEXT) | instid1(VALU_DEP_1)
	v_add_nc_u32_e32 v3, v3, v49
	v_mov_b32_dpp v49, v3 row_shr:4 row_mask:0xf bank_mask:0xf
	s_delay_alu instid0(VALU_DEP_1) | instskip(NEXT) | instid1(VALU_DEP_1)
	v_cndmask_b32_e64 v49, 0, v49, s6
	v_add_nc_u32_e32 v3, v3, v49
	s_delay_alu instid0(VALU_DEP_1) | instskip(NEXT) | instid1(VALU_DEP_1)
	v_mov_b32_dpp v49, v3 row_shr:8 row_mask:0xf bank_mask:0xf
	v_cndmask_b32_e64 v49, 0, v49, s7
	s_delay_alu instid0(VALU_DEP_1) | instskip(SKIP_3) | instid1(VALU_DEP_1)
	v_add_nc_u32_e32 v3, v3, v49
	ds_swizzle_b32 v49, v3 offset:swizzle(BROADCAST,32,15)
	s_waitcnt lgkmcnt(0)
	v_cndmask_b32_e64 v49, v49, 0, s8
	v_add_nc_u32_e32 v3, v3, v49
	s_and_saveexec_b32 s13, s12
	s_cbranch_execz .LBB333_14
; %bb.13:                               ;   in Loop: Header=BB333_4 Depth=2
	ds_store_b32 v41, v3
.LBB333_14:                             ;   in Loop: Header=BB333_4 Depth=2
	s_or_b32 exec_lo, exec_lo, s13
	s_waitcnt lgkmcnt(0)
	s_barrier
	buffer_gl0_inv
	s_and_saveexec_b32 s13, s9
	s_cbranch_execz .LBB333_16
; %bb.15:                               ;   in Loop: Header=BB333_4 Depth=2
	ds_load_b32 v49, v43
	s_waitcnt lgkmcnt(0)
	v_mov_b32_dpp v50, v49 row_shr:1 row_mask:0xf bank_mask:0xf
	s_delay_alu instid0(VALU_DEP_1) | instskip(NEXT) | instid1(VALU_DEP_1)
	v_cndmask_b32_e64 v50, v50, 0, s4
	v_add_nc_u32_e32 v49, v50, v49
	s_delay_alu instid0(VALU_DEP_1) | instskip(NEXT) | instid1(VALU_DEP_1)
	v_mov_b32_dpp v50, v49 row_shr:2 row_mask:0xf bank_mask:0xf
	v_cndmask_b32_e64 v50, 0, v50, s5
	s_delay_alu instid0(VALU_DEP_1) | instskip(NEXT) | instid1(VALU_DEP_1)
	v_add_nc_u32_e32 v49, v49, v50
	v_mov_b32_dpp v50, v49 row_shr:4 row_mask:0xf bank_mask:0xf
	s_delay_alu instid0(VALU_DEP_1) | instskip(NEXT) | instid1(VALU_DEP_1)
	v_cndmask_b32_e64 v50, 0, v50, s6
	v_add_nc_u32_e32 v49, v49, v50
	s_delay_alu instid0(VALU_DEP_1) | instskip(NEXT) | instid1(VALU_DEP_1)
	v_mov_b32_dpp v50, v49 row_shr:8 row_mask:0xf bank_mask:0xf
	v_cndmask_b32_e64 v50, 0, v50, s7
	s_delay_alu instid0(VALU_DEP_1)
	v_add_nc_u32_e32 v49, v49, v50
	ds_store_b32 v43, v49
.LBB333_16:                             ;   in Loop: Header=BB333_4 Depth=2
	s_or_b32 exec_lo, exec_lo, s13
	v_mov_b32_e32 v49, 0
	s_waitcnt lgkmcnt(0)
	s_barrier
	buffer_gl0_inv
	s_and_saveexec_b32 s13, s10
	s_cbranch_execz .LBB333_18
; %bb.17:                               ;   in Loop: Header=BB333_4 Depth=2
	ds_load_b32 v49, v44
.LBB333_18:                             ;   in Loop: Header=BB333_4 Depth=2
	s_or_b32 exec_lo, exec_lo, s13
	s_waitcnt lgkmcnt(0)
	v_add_nc_u32_e32 v3, v49, v3
	s_cmp_gt_u32 s22, 55
	ds_bpermute_b32 v3, v42, v3
	s_waitcnt lgkmcnt(0)
	v_cndmask_b32_e64 v3, v3, v49, s0
	s_delay_alu instid0(VALU_DEP_1) | instskip(NEXT) | instid1(VALU_DEP_1)
	v_cndmask_b32_e64 v3, v3, 0, s11
	v_add_nc_u32_e32 v4, v3, v4
	s_delay_alu instid0(VALU_DEP_1) | instskip(NEXT) | instid1(VALU_DEP_1)
	v_add_nc_u32_e32 v5, v4, v5
	v_add_nc_u32_e32 v6, v5, v6
	s_delay_alu instid0(VALU_DEP_1) | instskip(NEXT) | instid1(VALU_DEP_1)
	v_add_nc_u32_e32 v49, v6, v7
	v_add_nc_u32_e32 v50, v49, v0
	s_delay_alu instid0(VALU_DEP_1) | instskip(NEXT) | instid1(VALU_DEP_1)
	v_add_nc_u32_e32 v0, v50, v1
	v_add_nc_u32_e32 v1, v0, v2
	ds_store_2addr_b64 v34, v[3:4], v[5:6] offset0:8 offset1:9
	ds_store_2addr_b64 v40, v[49:50], v[0:1] offset0:2 offset1:3
	s_waitcnt lgkmcnt(0)
	s_barrier
	buffer_gl0_inv
	ds_load_b32 v0, v9
	ds_load_b32 v1, v12
	ds_load_b32 v2, v15
	ds_load_b32 v3, v48
	s_waitcnt lgkmcnt(3)
	v_add_nc_u32_e32 v50, v0, v8
	s_waitcnt lgkmcnt(2)
	v_add3_u32 v49, v11, v10, v1
	s_waitcnt lgkmcnt(1)
	v_add3_u32 v48, v14, v13, v2
	;; [unrolled: 2-line block ×3, first 2 shown]
	s_cbranch_scc0 .LBB333_3
; %bb.19:                               ;   in Loop: Header=BB333_2 Depth=1
                                        ; implicit-def: $vgpr6_vgpr7
                                        ; implicit-def: $vgpr2_vgpr3
                                        ; implicit-def: $vgpr8_vgpr9
                                        ; implicit-def: $vgpr12_vgpr13
                                        ; implicit-def: $sgpr22_sgpr23
	s_branch .LBB333_1
.LBB333_20:
	s_waitcnt lgkmcnt(1)
	v_add_co_u32 v0, vcc_lo, v15, v11
	v_add_co_ci_u32_e32 v1, vcc_lo, v16, v12, vcc_lo
	v_add_co_u32 v11, vcc_lo, v17, v13
	v_lshlrev_b32_e32 v13, 3, v19
	v_add_co_ci_u32_e32 v12, vcc_lo, v18, v14, vcc_lo
	s_waitcnt lgkmcnt(0)
	v_add_co_u32 v2, vcc_lo, v7, v2
	s_add_u32 s0, s18, s14
	v_add_co_ci_u32_e32 v3, vcc_lo, v8, v3, vcc_lo
	s_addc_u32 s1, s19, s15
	v_add_co_u32 v8, s2, s0, v13
	s_delay_alu instid0(VALU_DEP_1) | instskip(SKIP_2) | instid1(VALU_DEP_4)
	v_add_co_ci_u32_e64 v14, null, s1, 0, s2
	v_add_co_u32 v4, vcc_lo, v9, v4
	v_add_co_ci_u32_e32 v5, vcc_lo, v10, v5, vcc_lo
	v_add_co_u32 v6, vcc_lo, v8, 0x2000
	s_delay_alu instid0(VALU_DEP_4)
	v_add_co_ci_u32_e32 v7, vcc_lo, 0, v14, vcc_lo
	v_add_co_u32 v8, vcc_lo, 0x3000, v8
	v_add_co_ci_u32_e32 v9, vcc_lo, 0, v14, vcc_lo
	s_clause 0x3
	global_store_b64 v13, v[0:1], s[0:1]
	global_store_b64 v[6:7], v[2:3], off
	global_store_b64 v[6:7], v[11:12], off offset:-4096
	global_store_b64 v[8:9], v[4:5], off
	s_nop 0
	s_sendmsg sendmsg(MSG_DEALLOC_VGPRS)
	s_endpgm
	.section	.rodata,"a",@progbits
	.p2align	6, 0x0
	.amdhsa_kernel _Z17sort_pairs_kernelI22helper_blocked_stripedxLj512ELj4ELj10EEvPKT0_PS1_
		.amdhsa_group_segment_fixed_size 16448
		.amdhsa_private_segment_fixed_size 0
		.amdhsa_kernarg_size 272
		.amdhsa_user_sgpr_count 15
		.amdhsa_user_sgpr_dispatch_ptr 0
		.amdhsa_user_sgpr_queue_ptr 0
		.amdhsa_user_sgpr_kernarg_segment_ptr 1
		.amdhsa_user_sgpr_dispatch_id 0
		.amdhsa_user_sgpr_private_segment_size 0
		.amdhsa_wavefront_size32 1
		.amdhsa_uses_dynamic_stack 0
		.amdhsa_enable_private_segment 0
		.amdhsa_system_sgpr_workgroup_id_x 1
		.amdhsa_system_sgpr_workgroup_id_y 0
		.amdhsa_system_sgpr_workgroup_id_z 0
		.amdhsa_system_sgpr_workgroup_info 0
		.amdhsa_system_vgpr_workitem_id 2
		.amdhsa_next_free_vgpr 54
		.amdhsa_next_free_sgpr 26
		.amdhsa_reserve_vcc 1
		.amdhsa_float_round_mode_32 0
		.amdhsa_float_round_mode_16_64 0
		.amdhsa_float_denorm_mode_32 3
		.amdhsa_float_denorm_mode_16_64 3
		.amdhsa_dx10_clamp 1
		.amdhsa_ieee_mode 1
		.amdhsa_fp16_overflow 0
		.amdhsa_workgroup_processor_mode 1
		.amdhsa_memory_ordered 1
		.amdhsa_forward_progress 0
		.amdhsa_shared_vgpr_count 0
		.amdhsa_exception_fp_ieee_invalid_op 0
		.amdhsa_exception_fp_denorm_src 0
		.amdhsa_exception_fp_ieee_div_zero 0
		.amdhsa_exception_fp_ieee_overflow 0
		.amdhsa_exception_fp_ieee_underflow 0
		.amdhsa_exception_fp_ieee_inexact 0
		.amdhsa_exception_int_div_zero 0
	.end_amdhsa_kernel
	.section	.text._Z17sort_pairs_kernelI22helper_blocked_stripedxLj512ELj4ELj10EEvPKT0_PS1_,"axG",@progbits,_Z17sort_pairs_kernelI22helper_blocked_stripedxLj512ELj4ELj10EEvPKT0_PS1_,comdat
.Lfunc_end333:
	.size	_Z17sort_pairs_kernelI22helper_blocked_stripedxLj512ELj4ELj10EEvPKT0_PS1_, .Lfunc_end333-_Z17sort_pairs_kernelI22helper_blocked_stripedxLj512ELj4ELj10EEvPKT0_PS1_
                                        ; -- End function
	.section	.AMDGPU.csdata,"",@progbits
; Kernel info:
; codeLenInByte = 4156
; NumSgprs: 28
; NumVgprs: 54
; ScratchSize: 0
; MemoryBound: 0
; FloatMode: 240
; IeeeMode: 1
; LDSByteSize: 16448 bytes/workgroup (compile time only)
; SGPRBlocks: 3
; VGPRBlocks: 6
; NumSGPRsForWavesPerEU: 28
; NumVGPRsForWavesPerEU: 54
; Occupancy: 16
; WaveLimiterHint : 1
; COMPUTE_PGM_RSRC2:SCRATCH_EN: 0
; COMPUTE_PGM_RSRC2:USER_SGPR: 15
; COMPUTE_PGM_RSRC2:TRAP_HANDLER: 0
; COMPUTE_PGM_RSRC2:TGID_X_EN: 1
; COMPUTE_PGM_RSRC2:TGID_Y_EN: 0
; COMPUTE_PGM_RSRC2:TGID_Z_EN: 0
; COMPUTE_PGM_RSRC2:TIDIG_COMP_CNT: 2
	.section	.text._Z16sort_keys_kernelI22helper_blocked_stripedxLj512ELj8ELj10EEvPKT0_PS1_,"axG",@progbits,_Z16sort_keys_kernelI22helper_blocked_stripedxLj512ELj8ELj10EEvPKT0_PS1_,comdat
	.protected	_Z16sort_keys_kernelI22helper_blocked_stripedxLj512ELj8ELj10EEvPKT0_PS1_ ; -- Begin function _Z16sort_keys_kernelI22helper_blocked_stripedxLj512ELj8ELj10EEvPKT0_PS1_
	.globl	_Z16sort_keys_kernelI22helper_blocked_stripedxLj512ELj8ELj10EEvPKT0_PS1_
	.p2align	8
	.type	_Z16sort_keys_kernelI22helper_blocked_stripedxLj512ELj8ELj10EEvPKT0_PS1_,@function
_Z16sort_keys_kernelI22helper_blocked_stripedxLj512ELj8ELj10EEvPKT0_PS1_: ; @_Z16sort_keys_kernelI22helper_blocked_stripedxLj512ELj8ELj10EEvPKT0_PS1_
; %bb.0:
	s_clause 0x1
	s_load_b128 s[16:19], s[0:1], 0x0
	s_load_b32 s2, s[0:1], 0x1c
	v_and_b32_e32 v17, 0x3ff, v0
	s_mov_b32 s13, 0
	s_lshl_b32 s12, s15, 12
	v_mbcnt_lo_u32_b32 v20, -1, 0
	s_lshl_b64 s[14:15], s[12:13], 3
	v_lshlrev_b32_e32 v13, 6, v17
	v_bfe_u32 v18, v0, 10, 10
	v_bfe_u32 v0, v0, 20, 10
	v_lshlrev_b32_e32 v32, 3, v17
	v_and_b32_e32 v21, 0x1e0, v17
	v_lshlrev_b32_e32 v33, 5, v17
	v_cmp_gt_u32_e64 s6, 16, v17
	v_cmp_lt_u32_e64 s7, 31, v17
	v_cmp_eq_u32_e64 s8, 0, v20
	v_or_b32_e32 v22, v20, v21
	v_mad_i32_i24 v40, 0xffffffe4, v17, v33
	v_add_nc_u32_e32 v36, 64, v33
	v_cmp_eq_u32_e64 s9, 0, v17
	s_waitcnt lgkmcnt(0)
	s_add_u32 s0, s16, s14
	s_addc_u32 s1, s17, s15
	v_lshlrev_b32_e32 v34, 6, v22
	s_clause 0x3
	global_load_b128 v[1:4], v13, s[0:1] offset:48
	global_load_b128 v[5:8], v13, s[0:1] offset:32
	;; [unrolled: 1-line block ×3, first 2 shown]
	global_load_b128 v[13:16], v13, s[0:1]
	s_lshr_b32 s0, s2, 16
	s_mov_b32 s12, s13
	v_mad_u32_u24 v0, v0, s0, v18
	s_and_b32 s0, s2, 0xffff
	s_mov_b32 s16, s13
	s_mov_b32 s17, s13
	s_mov_b32 s11, s13
	v_mad_u64_u32 v[18:19], null, v0, s0, v[17:18]
	v_and_or_b32 v0, 0xf00, v32, v20
	v_and_b32_e32 v19, 15, v20
	s_delay_alu instid0(VALU_DEP_2) | instskip(NEXT) | instid1(VALU_DEP_4)
	v_lshlrev_b32_e32 v35, 3, v0
	v_lshrrev_b32_e32 v37, 5, v18
	v_add_nc_u32_e32 v18, -1, v20
	v_and_b32_e32 v0, 16, v20
	v_cmp_eq_u32_e64 s0, 0, v19
	v_cmp_lt_u32_e64 s1, 1, v19
	v_cmp_lt_u32_e64 s2, 3, v19
	v_cmp_gt_i32_e32 vcc_lo, 0, v18
	v_cmp_eq_u32_e64 s4, 0, v0
	v_cmp_lt_u32_e64 s3, 7, v19
	v_or_b32_e32 v19, 31, v21
	v_cndmask_b32_e32 v0, v18, v20, vcc_lo
	v_lshrrev_b32_e32 v18, 3, v17
	s_delay_alu instid0(VALU_DEP_3) | instskip(NEXT) | instid1(VALU_DEP_3)
	v_cmp_eq_u32_e64 s5, v19, v17
	v_lshlrev_b32_e32 v38, 2, v0
	s_delay_alu instid0(VALU_DEP_3) | instskip(SKIP_1) | instid1(VALU_DEP_2)
	v_and_b32_e32 v39, 60, v18
	v_lshlrev_b32_e32 v0, 2, v17
	v_add_nc_u32_e32 v41, -4, v39
	s_delay_alu instid0(VALU_DEP_2)
	v_add_nc_u32_e32 v42, v40, v0
	s_branch .LBB334_2
.LBB334_1:                              ;   in Loop: Header=BB334_2 Depth=1
	v_lshlrev_b32_e32 v0, 3, v57
	v_lshlrev_b32_e32 v1, 3, v54
	;; [unrolled: 1-line block ×3, first 2 shown]
	s_barrier
	buffer_gl0_inv
	ds_store_b64 v0, v[16:17]
	ds_store_b64 v1, v[30:31]
	;; [unrolled: 1-line block ×3, first 2 shown]
	v_lshlrev_b32_e32 v0, 3, v48
	v_lshlrev_b32_e32 v1, 3, v46
	;; [unrolled: 1-line block ×5, first 2 shown]
	ds_store_b64 v0, v[26:27]
	ds_store_b64 v1, v[24:25]
	ds_store_b64 v2, v[22:23]
	ds_store_b64 v3, v[20:21]
	ds_store_b64 v4, v[18:19]
	s_waitcnt lgkmcnt(0)
	s_barrier
	buffer_gl0_inv
	ds_load_2addr_stride64_b64 v[13:16], v42 offset1:8
	ds_load_2addr_stride64_b64 v[9:12], v42 offset0:16 offset1:24
	ds_load_2addr_stride64_b64 v[5:8], v42 offset0:32 offset1:40
	;; [unrolled: 1-line block ×3, first 2 shown]
	s_add_i32 s11, s11, 1
	s_delay_alu instid0(SALU_CYCLE_1)
	s_cmp_eq_u32 s11, 10
	s_waitcnt lgkmcnt(3)
	v_xor_b32_e32 v14, 0x80000000, v14
	v_xor_b32_e32 v16, 0x80000000, v16
	s_waitcnt lgkmcnt(2)
	v_xor_b32_e32 v10, 0x80000000, v10
	v_xor_b32_e32 v12, 0x80000000, v12
	;; [unrolled: 3-line block ×4, first 2 shown]
	s_cbranch_scc1 .LBB334_28
.LBB334_2:                              ; =>This Loop Header: Depth=1
                                        ;     Child Loop BB334_4 Depth 2
	s_waitcnt vmcnt(0)
	v_xor_b32_e32 v14, 0x80000000, v14
	v_xor_b32_e32 v16, 0x80000000, v16
	;; [unrolled: 1-line block ×8, first 2 shown]
	ds_store_2addr_b64 v34, v[13:14], v[15:16] offset1:1
	ds_store_2addr_b64 v34, v[9:10], v[11:12] offset0:2 offset1:3
	ds_store_2addr_b64 v34, v[5:6], v[7:8] offset0:4 offset1:5
	;; [unrolled: 1-line block ×3, first 2 shown]
	; wave barrier
	ds_load_2addr_b64 v[0:3], v35 offset1:32
	ds_load_2addr_b64 v[4:7], v35 offset0:64 offset1:96
	ds_load_2addr_b64 v[8:11], v35 offset0:128 offset1:160
	;; [unrolled: 1-line block ×3, first 2 shown]
	s_mov_b64 s[20:21], 0
	s_waitcnt lgkmcnt(0)
	s_barrier
	buffer_gl0_inv
	; wave barrier
	s_barrier
	s_branch .LBB334_4
.LBB334_3:                              ;   in Loop: Header=BB334_4 Depth=2
	v_lshlrev_b32_e32 v0, 3, v57
	v_lshlrev_b32_e32 v1, 3, v54
	;; [unrolled: 1-line block ×3, first 2 shown]
	s_barrier
	buffer_gl0_inv
	ds_store_b64 v0, v[16:17]
	ds_store_b64 v1, v[30:31]
	ds_store_b64 v2, v[28:29]
	v_lshlrev_b32_e32 v0, 3, v48
	v_lshlrev_b32_e32 v1, 3, v46
	v_lshlrev_b32_e32 v2, 3, v45
	v_lshlrev_b32_e32 v3, 3, v44
	v_lshlrev_b32_e32 v4, 3, v43
	ds_store_b64 v0, v[26:27]
	ds_store_b64 v1, v[24:25]
	;; [unrolled: 1-line block ×5, first 2 shown]
	s_waitcnt lgkmcnt(0)
	s_barrier
	buffer_gl0_inv
	ds_load_2addr_b64 v[0:3], v35 offset1:32
	ds_load_2addr_b64 v[4:7], v35 offset0:64 offset1:96
	ds_load_2addr_b64 v[8:11], v35 offset0:128 offset1:160
	;; [unrolled: 1-line block ×3, first 2 shown]
	s_add_u32 s20, s20, 8
	s_addc_u32 s21, s21, 0
	s_waitcnt lgkmcnt(0)
	s_barrier
	s_cbranch_execz .LBB334_1
.LBB334_4:                              ;   Parent Loop BB334_2 Depth=1
                                        ; =>  This Inner Loop Header: Depth=2
	v_dual_mov_b32 v17, v1 :: v_dual_mov_b32 v16, v0
	buffer_gl0_inv
	v_mov_b32_e32 v27, v7
	v_dual_mov_b32 v29, v5 :: v_dual_mov_b32 v28, v4
	v_lshrrev_b64 v[43:44], s20, v[16:17]
	v_mov_b32_e32 v4, s12
	v_mov_b32_e32 v26, v6
	v_dual_mov_b32 v6, s16 :: v_dual_mov_b32 v5, s13
	s_delay_alu instid0(VALU_DEP_4)
	v_dual_mov_b32 v7, s17 :: v_dual_and_b32 v0, 1, v43
	v_lshlrev_b32_e32 v1, 30, v43
	v_lshlrev_b32_e32 v18, 29, v43
	;; [unrolled: 1-line block ×4, first 2 shown]
	v_add_co_u32 v0, s10, v0, -1
	s_delay_alu instid0(VALU_DEP_1)
	v_cndmask_b32_e64 v20, 0, 1, s10
	v_not_b32_e32 v24, v1
	v_cmp_gt_i32_e64 s10, 0, v1
	v_not_b32_e32 v1, v18
	v_lshlrev_b32_e32 v22, 26, v43
	v_cmp_ne_u32_e32 vcc_lo, 0, v20
	v_ashrrev_i32_e32 v24, 31, v24
	v_lshlrev_b32_e32 v23, 25, v43
	v_ashrrev_i32_e32 v1, 31, v1
	v_lshlrev_b32_e32 v20, 24, v43
	v_xor_b32_e32 v0, vcc_lo, v0
	v_cmp_gt_i32_e32 vcc_lo, 0, v18
	v_not_b32_e32 v18, v19
	v_xor_b32_e32 v24, s10, v24
	v_cmp_gt_i32_e64 s10, 0, v19
	v_and_b32_e32 v0, exec_lo, v0
	v_not_b32_e32 v19, v21
	v_ashrrev_i32_e32 v18, 31, v18
	v_xor_b32_e32 v1, vcc_lo, v1
	v_cmp_gt_i32_e32 vcc_lo, 0, v21
	v_and_b32_e32 v0, v0, v24
	v_not_b32_e32 v21, v22
	v_ashrrev_i32_e32 v19, 31, v19
	v_xor_b32_e32 v18, s10, v18
	v_cmp_gt_i32_e64 s10, 0, v22
	v_and_b32_e32 v0, v0, v1
	v_not_b32_e32 v1, v23
	v_ashrrev_i32_e32 v21, 31, v21
	v_xor_b32_e32 v19, vcc_lo, v19
	v_cmp_gt_i32_e32 vcc_lo, 0, v23
	v_and_b32_e32 v0, v0, v18
	v_ashrrev_i32_e32 v1, 31, v1
	v_xor_b32_e32 v21, s10, v21
	v_mov_b32_e32 v23, v11
	v_not_b32_e32 v18, v20
	v_dual_mov_b32 v31, v3 :: v_dual_and_b32 v0, v0, v19
	v_cmp_gt_i32_e64 s10, 0, v20
	v_xor_b32_e32 v1, vcc_lo, v1
	s_delay_alu instid0(VALU_DEP_4) | instskip(NEXT) | instid1(VALU_DEP_4)
	v_ashrrev_i32_e32 v24, 31, v18
	v_and_b32_e32 v0, v0, v21
	v_dual_mov_b32 v22, v10 :: v_dual_mov_b32 v19, v15
	v_mov_b32_e32 v21, v13
	s_delay_alu instid0(VALU_DEP_4) | instskip(NEXT) | instid1(VALU_DEP_4)
	v_xor_b32_e32 v10, s10, v24
	v_and_b32_e32 v0, v0, v1
	v_and_b32_e32 v1, 0xff, v43
	v_dual_mov_b32 v25, v9 :: v_dual_mov_b32 v24, v8
	v_mov_b32_e32 v18, v14
	s_delay_alu instid0(VALU_DEP_4) | instskip(NEXT) | instid1(VALU_DEP_4)
	v_and_b32_e32 v0, v0, v10
	v_lshl_add_u32 v1, v1, 4, v37
	v_mov_b32_e32 v20, v12
	v_mov_b32_e32 v30, v2
	ds_store_2addr_b64 v33, v[4:5], v[6:7] offset0:8 offset1:9
	ds_store_2addr_b64 v36, v[4:5], v[6:7] offset0:2 offset1:3
	v_mbcnt_lo_u32_b32 v8, v0, 0
	v_cmp_ne_u32_e64 s10, 0, v0
	v_lshl_add_u32 v9, v1, 2, 64
	s_waitcnt lgkmcnt(0)
	s_barrier
	v_cmp_eq_u32_e32 vcc_lo, 0, v8
	buffer_gl0_inv
	; wave barrier
	s_and_b32 s22, s10, vcc_lo
	s_delay_alu instid0(SALU_CYCLE_1)
	s_and_saveexec_b32 s10, s22
	s_cbranch_execz .LBB334_6
; %bb.5:                                ;   in Loop: Header=BB334_4 Depth=2
	v_bcnt_u32_b32 v0, v0, 0
	ds_store_b32 v9, v0
.LBB334_6:                              ;   in Loop: Header=BB334_4 Depth=2
	s_or_b32 exec_lo, exec_lo, s10
	v_lshrrev_b64 v[0:1], s20, v[30:31]
	; wave barrier
	s_delay_alu instid0(VALU_DEP_1)
	v_and_b32_e32 v2, 1, v0
	v_lshlrev_b32_e32 v3, 30, v0
	v_lshlrev_b32_e32 v4, 29, v0
	;; [unrolled: 1-line block ×4, first 2 shown]
	v_add_co_u32 v2, s10, v2, -1
	s_delay_alu instid0(VALU_DEP_1)
	v_cndmask_b32_e64 v6, 0, 1, s10
	v_not_b32_e32 v12, v3
	v_cmp_gt_i32_e64 s10, 0, v3
	v_not_b32_e32 v3, v4
	v_lshlrev_b32_e32 v10, 26, v0
	v_cmp_ne_u32_e32 vcc_lo, 0, v6
	v_ashrrev_i32_e32 v6, 31, v12
	v_lshlrev_b32_e32 v11, 25, v0
	v_ashrrev_i32_e32 v3, 31, v3
	v_and_b32_e32 v1, 0xff, v0
	v_xor_b32_e32 v2, vcc_lo, v2
	v_cmp_gt_i32_e32 vcc_lo, 0, v4
	v_not_b32_e32 v4, v5
	v_xor_b32_e32 v6, s10, v6
	v_cmp_gt_i32_e64 s10, 0, v5
	v_and_b32_e32 v2, exec_lo, v2
	v_not_b32_e32 v5, v7
	v_ashrrev_i32_e32 v4, 31, v4
	v_xor_b32_e32 v3, vcc_lo, v3
	v_cmp_gt_i32_e32 vcc_lo, 0, v7
	v_and_b32_e32 v2, v2, v6
	v_not_b32_e32 v6, v10
	v_ashrrev_i32_e32 v5, 31, v5
	v_xor_b32_e32 v4, s10, v4
	v_lshlrev_b32_e32 v0, 24, v0
	v_and_b32_e32 v2, v2, v3
	v_cmp_gt_i32_e64 s10, 0, v10
	v_not_b32_e32 v3, v11
	v_ashrrev_i32_e32 v6, 31, v6
	v_xor_b32_e32 v5, vcc_lo, v5
	v_and_b32_e32 v2, v2, v4
	v_cmp_gt_i32_e32 vcc_lo, 0, v11
	v_not_b32_e32 v4, v0
	v_ashrrev_i32_e32 v3, 31, v3
	v_xor_b32_e32 v6, s10, v6
	v_and_b32_e32 v2, v2, v5
	v_lshlrev_b32_e32 v1, 4, v1
	v_cmp_gt_i32_e64 s10, 0, v0
	v_ashrrev_i32_e32 v0, 31, v4
	v_xor_b32_e32 v3, vcc_lo, v3
	v_and_b32_e32 v2, v2, v6
	v_add_lshl_u32 v1, v1, v37, 2
	s_delay_alu instid0(VALU_DEP_4) | instskip(NEXT) | instid1(VALU_DEP_3)
	v_xor_b32_e32 v0, s10, v0
	v_and_b32_e32 v2, v2, v3
	ds_load_b32 v10, v1 offset:64
	v_add_nc_u32_e32 v12, 64, v1
	; wave barrier
	v_and_b32_e32 v0, v2, v0
	s_delay_alu instid0(VALU_DEP_1) | instskip(SKIP_1) | instid1(VALU_DEP_2)
	v_mbcnt_lo_u32_b32 v11, v0, 0
	v_cmp_ne_u32_e64 s10, 0, v0
	v_cmp_eq_u32_e32 vcc_lo, 0, v11
	s_delay_alu instid0(VALU_DEP_2) | instskip(NEXT) | instid1(SALU_CYCLE_1)
	s_and_b32 s22, s10, vcc_lo
	s_and_saveexec_b32 s10, s22
	s_cbranch_execz .LBB334_8
; %bb.7:                                ;   in Loop: Header=BB334_4 Depth=2
	s_waitcnt lgkmcnt(0)
	v_bcnt_u32_b32 v0, v0, v10
	ds_store_b32 v12, v0
.LBB334_8:                              ;   in Loop: Header=BB334_4 Depth=2
	s_or_b32 exec_lo, exec_lo, s10
	v_lshrrev_b64 v[0:1], s20, v[28:29]
	; wave barrier
	s_delay_alu instid0(VALU_DEP_1)
	v_and_b32_e32 v2, 1, v0
	v_lshlrev_b32_e32 v3, 30, v0
	v_lshlrev_b32_e32 v4, 29, v0
	;; [unrolled: 1-line block ×4, first 2 shown]
	v_add_co_u32 v2, s10, v2, -1
	s_delay_alu instid0(VALU_DEP_1)
	v_cndmask_b32_e64 v6, 0, 1, s10
	v_not_b32_e32 v15, v3
	v_cmp_gt_i32_e64 s10, 0, v3
	v_not_b32_e32 v3, v4
	v_lshlrev_b32_e32 v13, 26, v0
	v_cmp_ne_u32_e32 vcc_lo, 0, v6
	v_ashrrev_i32_e32 v6, 31, v15
	v_lshlrev_b32_e32 v14, 25, v0
	v_ashrrev_i32_e32 v3, 31, v3
	v_and_b32_e32 v1, 0xff, v0
	v_xor_b32_e32 v2, vcc_lo, v2
	v_cmp_gt_i32_e32 vcc_lo, 0, v4
	v_not_b32_e32 v4, v5
	v_xor_b32_e32 v6, s10, v6
	v_cmp_gt_i32_e64 s10, 0, v5
	v_and_b32_e32 v2, exec_lo, v2
	v_not_b32_e32 v5, v7
	v_ashrrev_i32_e32 v4, 31, v4
	v_xor_b32_e32 v3, vcc_lo, v3
	v_cmp_gt_i32_e32 vcc_lo, 0, v7
	v_and_b32_e32 v2, v2, v6
	v_not_b32_e32 v6, v13
	v_ashrrev_i32_e32 v5, 31, v5
	v_xor_b32_e32 v4, s10, v4
	v_lshlrev_b32_e32 v0, 24, v0
	v_and_b32_e32 v2, v2, v3
	v_cmp_gt_i32_e64 s10, 0, v13
	v_not_b32_e32 v3, v14
	v_ashrrev_i32_e32 v6, 31, v6
	v_xor_b32_e32 v5, vcc_lo, v5
	v_and_b32_e32 v2, v2, v4
	v_cmp_gt_i32_e32 vcc_lo, 0, v14
	v_not_b32_e32 v4, v0
	v_ashrrev_i32_e32 v3, 31, v3
	v_xor_b32_e32 v6, s10, v6
	v_and_b32_e32 v2, v2, v5
	v_lshlrev_b32_e32 v1, 4, v1
	v_cmp_gt_i32_e64 s10, 0, v0
	v_ashrrev_i32_e32 v0, 31, v4
	v_xor_b32_e32 v3, vcc_lo, v3
	v_and_b32_e32 v2, v2, v6
	v_add_lshl_u32 v1, v1, v37, 2
	s_delay_alu instid0(VALU_DEP_4) | instskip(NEXT) | instid1(VALU_DEP_3)
	v_xor_b32_e32 v0, s10, v0
	v_and_b32_e32 v2, v2, v3
	ds_load_b32 v13, v1 offset:64
	v_add_nc_u32_e32 v15, 64, v1
	; wave barrier
	v_and_b32_e32 v0, v2, v0
	s_delay_alu instid0(VALU_DEP_1) | instskip(SKIP_1) | instid1(VALU_DEP_2)
	v_mbcnt_lo_u32_b32 v14, v0, 0
	v_cmp_ne_u32_e64 s10, 0, v0
	v_cmp_eq_u32_e32 vcc_lo, 0, v14
	s_delay_alu instid0(VALU_DEP_2) | instskip(NEXT) | instid1(SALU_CYCLE_1)
	s_and_b32 s22, s10, vcc_lo
	s_and_saveexec_b32 s10, s22
	s_cbranch_execz .LBB334_10
; %bb.9:                                ;   in Loop: Header=BB334_4 Depth=2
	s_waitcnt lgkmcnt(0)
	v_bcnt_u32_b32 v0, v0, v13
	ds_store_b32 v15, v0
.LBB334_10:                             ;   in Loop: Header=BB334_4 Depth=2
	s_or_b32 exec_lo, exec_lo, s10
	v_lshrrev_b64 v[0:1], s20, v[26:27]
	; wave barrier
	s_delay_alu instid0(VALU_DEP_1)
	v_and_b32_e32 v2, 1, v0
	v_lshlrev_b32_e32 v3, 30, v0
	v_lshlrev_b32_e32 v4, 29, v0
	;; [unrolled: 1-line block ×4, first 2 shown]
	v_add_co_u32 v2, s10, v2, -1
	s_delay_alu instid0(VALU_DEP_1)
	v_cndmask_b32_e64 v6, 0, 1, s10
	v_not_b32_e32 v45, v3
	v_cmp_gt_i32_e64 s10, 0, v3
	v_not_b32_e32 v3, v4
	v_lshlrev_b32_e32 v43, 26, v0
	v_cmp_ne_u32_e32 vcc_lo, 0, v6
	v_ashrrev_i32_e32 v6, 31, v45
	v_lshlrev_b32_e32 v44, 25, v0
	v_ashrrev_i32_e32 v3, 31, v3
	v_and_b32_e32 v1, 0xff, v0
	v_xor_b32_e32 v2, vcc_lo, v2
	v_cmp_gt_i32_e32 vcc_lo, 0, v4
	v_not_b32_e32 v4, v5
	v_xor_b32_e32 v6, s10, v6
	v_cmp_gt_i32_e64 s10, 0, v5
	v_and_b32_e32 v2, exec_lo, v2
	v_not_b32_e32 v5, v7
	v_ashrrev_i32_e32 v4, 31, v4
	v_xor_b32_e32 v3, vcc_lo, v3
	v_cmp_gt_i32_e32 vcc_lo, 0, v7
	v_and_b32_e32 v2, v2, v6
	v_not_b32_e32 v6, v43
	v_ashrrev_i32_e32 v5, 31, v5
	v_xor_b32_e32 v4, s10, v4
	v_lshlrev_b32_e32 v0, 24, v0
	v_and_b32_e32 v2, v2, v3
	v_cmp_gt_i32_e64 s10, 0, v43
	v_not_b32_e32 v3, v44
	v_ashrrev_i32_e32 v6, 31, v6
	v_xor_b32_e32 v5, vcc_lo, v5
	v_and_b32_e32 v2, v2, v4
	v_cmp_gt_i32_e32 vcc_lo, 0, v44
	v_not_b32_e32 v4, v0
	v_ashrrev_i32_e32 v3, 31, v3
	v_xor_b32_e32 v6, s10, v6
	v_and_b32_e32 v2, v2, v5
	v_lshlrev_b32_e32 v1, 4, v1
	v_cmp_gt_i32_e64 s10, 0, v0
	v_ashrrev_i32_e32 v0, 31, v4
	v_xor_b32_e32 v3, vcc_lo, v3
	v_and_b32_e32 v2, v2, v6
	v_add_lshl_u32 v1, v1, v37, 2
	s_delay_alu instid0(VALU_DEP_4) | instskip(NEXT) | instid1(VALU_DEP_3)
	v_xor_b32_e32 v0, s10, v0
	v_and_b32_e32 v2, v2, v3
	ds_load_b32 v43, v1 offset:64
	v_add_nc_u32_e32 v45, 64, v1
	; wave barrier
	v_and_b32_e32 v0, v2, v0
	s_delay_alu instid0(VALU_DEP_1) | instskip(SKIP_1) | instid1(VALU_DEP_2)
	v_mbcnt_lo_u32_b32 v44, v0, 0
	v_cmp_ne_u32_e64 s10, 0, v0
	v_cmp_eq_u32_e32 vcc_lo, 0, v44
	s_delay_alu instid0(VALU_DEP_2) | instskip(NEXT) | instid1(SALU_CYCLE_1)
	s_and_b32 s22, s10, vcc_lo
	s_and_saveexec_b32 s10, s22
	s_cbranch_execz .LBB334_12
; %bb.11:                               ;   in Loop: Header=BB334_4 Depth=2
	s_waitcnt lgkmcnt(0)
	v_bcnt_u32_b32 v0, v0, v43
	ds_store_b32 v45, v0
.LBB334_12:                             ;   in Loop: Header=BB334_4 Depth=2
	s_or_b32 exec_lo, exec_lo, s10
	v_lshrrev_b64 v[0:1], s20, v[24:25]
	; wave barrier
	s_delay_alu instid0(VALU_DEP_1)
	v_and_b32_e32 v2, 1, v0
	v_lshlrev_b32_e32 v3, 30, v0
	v_lshlrev_b32_e32 v4, 29, v0
	v_lshlrev_b32_e32 v5, 28, v0
	v_lshlrev_b32_e32 v7, 27, v0
	v_add_co_u32 v2, s10, v2, -1
	s_delay_alu instid0(VALU_DEP_1)
	v_cndmask_b32_e64 v6, 0, 1, s10
	v_not_b32_e32 v48, v3
	v_cmp_gt_i32_e64 s10, 0, v3
	v_not_b32_e32 v3, v4
	v_lshlrev_b32_e32 v46, 26, v0
	v_cmp_ne_u32_e32 vcc_lo, 0, v6
	v_ashrrev_i32_e32 v6, 31, v48
	v_lshlrev_b32_e32 v47, 25, v0
	v_ashrrev_i32_e32 v3, 31, v3
	v_and_b32_e32 v1, 0xff, v0
	v_xor_b32_e32 v2, vcc_lo, v2
	v_cmp_gt_i32_e32 vcc_lo, 0, v4
	v_not_b32_e32 v4, v5
	v_xor_b32_e32 v6, s10, v6
	v_cmp_gt_i32_e64 s10, 0, v5
	v_and_b32_e32 v2, exec_lo, v2
	v_not_b32_e32 v5, v7
	v_ashrrev_i32_e32 v4, 31, v4
	v_xor_b32_e32 v3, vcc_lo, v3
	v_cmp_gt_i32_e32 vcc_lo, 0, v7
	v_and_b32_e32 v2, v2, v6
	v_not_b32_e32 v6, v46
	v_ashrrev_i32_e32 v5, 31, v5
	v_xor_b32_e32 v4, s10, v4
	v_lshlrev_b32_e32 v0, 24, v0
	v_and_b32_e32 v2, v2, v3
	v_cmp_gt_i32_e64 s10, 0, v46
	v_not_b32_e32 v3, v47
	v_ashrrev_i32_e32 v6, 31, v6
	v_xor_b32_e32 v5, vcc_lo, v5
	v_and_b32_e32 v2, v2, v4
	v_cmp_gt_i32_e32 vcc_lo, 0, v47
	v_not_b32_e32 v4, v0
	v_ashrrev_i32_e32 v3, 31, v3
	v_xor_b32_e32 v6, s10, v6
	v_and_b32_e32 v2, v2, v5
	v_lshlrev_b32_e32 v1, 4, v1
	v_cmp_gt_i32_e64 s10, 0, v0
	v_ashrrev_i32_e32 v0, 31, v4
	v_xor_b32_e32 v3, vcc_lo, v3
	v_and_b32_e32 v2, v2, v6
	v_add_lshl_u32 v1, v1, v37, 2
	s_delay_alu instid0(VALU_DEP_4) | instskip(NEXT) | instid1(VALU_DEP_3)
	v_xor_b32_e32 v0, s10, v0
	v_and_b32_e32 v2, v2, v3
	ds_load_b32 v46, v1 offset:64
	v_add_nc_u32_e32 v48, 64, v1
	; wave barrier
	v_and_b32_e32 v0, v2, v0
	s_delay_alu instid0(VALU_DEP_1) | instskip(SKIP_1) | instid1(VALU_DEP_2)
	v_mbcnt_lo_u32_b32 v47, v0, 0
	v_cmp_ne_u32_e64 s10, 0, v0
	v_cmp_eq_u32_e32 vcc_lo, 0, v47
	s_delay_alu instid0(VALU_DEP_2) | instskip(NEXT) | instid1(SALU_CYCLE_1)
	s_and_b32 s22, s10, vcc_lo
	s_and_saveexec_b32 s10, s22
	s_cbranch_execz .LBB334_14
; %bb.13:                               ;   in Loop: Header=BB334_4 Depth=2
	s_waitcnt lgkmcnt(0)
	v_bcnt_u32_b32 v0, v0, v46
	ds_store_b32 v48, v0
.LBB334_14:                             ;   in Loop: Header=BB334_4 Depth=2
	s_or_b32 exec_lo, exec_lo, s10
	v_lshrrev_b64 v[0:1], s20, v[22:23]
	; wave barrier
	s_delay_alu instid0(VALU_DEP_1)
	v_and_b32_e32 v2, 1, v0
	v_lshlrev_b32_e32 v3, 30, v0
	v_lshlrev_b32_e32 v4, 29, v0
	;; [unrolled: 1-line block ×4, first 2 shown]
	v_add_co_u32 v2, s10, v2, -1
	s_delay_alu instid0(VALU_DEP_1)
	v_cndmask_b32_e64 v6, 0, 1, s10
	v_not_b32_e32 v51, v3
	v_cmp_gt_i32_e64 s10, 0, v3
	v_not_b32_e32 v3, v4
	v_lshlrev_b32_e32 v49, 26, v0
	v_cmp_ne_u32_e32 vcc_lo, 0, v6
	v_ashrrev_i32_e32 v6, 31, v51
	v_lshlrev_b32_e32 v50, 25, v0
	v_ashrrev_i32_e32 v3, 31, v3
	v_and_b32_e32 v1, 0xff, v0
	v_xor_b32_e32 v2, vcc_lo, v2
	v_cmp_gt_i32_e32 vcc_lo, 0, v4
	v_not_b32_e32 v4, v5
	v_xor_b32_e32 v6, s10, v6
	v_cmp_gt_i32_e64 s10, 0, v5
	v_and_b32_e32 v2, exec_lo, v2
	v_not_b32_e32 v5, v7
	v_ashrrev_i32_e32 v4, 31, v4
	v_xor_b32_e32 v3, vcc_lo, v3
	v_cmp_gt_i32_e32 vcc_lo, 0, v7
	v_and_b32_e32 v2, v2, v6
	v_not_b32_e32 v6, v49
	v_ashrrev_i32_e32 v5, 31, v5
	v_xor_b32_e32 v4, s10, v4
	v_lshlrev_b32_e32 v0, 24, v0
	v_and_b32_e32 v2, v2, v3
	v_cmp_gt_i32_e64 s10, 0, v49
	v_not_b32_e32 v3, v50
	v_ashrrev_i32_e32 v6, 31, v6
	v_xor_b32_e32 v5, vcc_lo, v5
	v_and_b32_e32 v2, v2, v4
	v_cmp_gt_i32_e32 vcc_lo, 0, v50
	v_not_b32_e32 v4, v0
	v_ashrrev_i32_e32 v3, 31, v3
	v_xor_b32_e32 v6, s10, v6
	v_and_b32_e32 v2, v2, v5
	v_lshlrev_b32_e32 v1, 4, v1
	v_cmp_gt_i32_e64 s10, 0, v0
	v_ashrrev_i32_e32 v0, 31, v4
	v_xor_b32_e32 v3, vcc_lo, v3
	v_and_b32_e32 v2, v2, v6
	v_add_lshl_u32 v1, v1, v37, 2
	s_delay_alu instid0(VALU_DEP_4) | instskip(NEXT) | instid1(VALU_DEP_3)
	v_xor_b32_e32 v0, s10, v0
	v_and_b32_e32 v2, v2, v3
	ds_load_b32 v49, v1 offset:64
	v_add_nc_u32_e32 v51, 64, v1
	; wave barrier
	v_and_b32_e32 v0, v2, v0
	s_delay_alu instid0(VALU_DEP_1) | instskip(SKIP_1) | instid1(VALU_DEP_2)
	v_mbcnt_lo_u32_b32 v50, v0, 0
	v_cmp_ne_u32_e64 s10, 0, v0
	v_cmp_eq_u32_e32 vcc_lo, 0, v50
	s_delay_alu instid0(VALU_DEP_2) | instskip(NEXT) | instid1(SALU_CYCLE_1)
	s_and_b32 s22, s10, vcc_lo
	s_and_saveexec_b32 s10, s22
	s_cbranch_execz .LBB334_16
; %bb.15:                               ;   in Loop: Header=BB334_4 Depth=2
	s_waitcnt lgkmcnt(0)
	v_bcnt_u32_b32 v0, v0, v49
	ds_store_b32 v51, v0
.LBB334_16:                             ;   in Loop: Header=BB334_4 Depth=2
	s_or_b32 exec_lo, exec_lo, s10
	v_lshrrev_b64 v[0:1], s20, v[20:21]
	; wave barrier
	s_delay_alu instid0(VALU_DEP_1)
	v_and_b32_e32 v2, 1, v0
	v_lshlrev_b32_e32 v3, 30, v0
	v_lshlrev_b32_e32 v4, 29, v0
	;; [unrolled: 1-line block ×4, first 2 shown]
	v_add_co_u32 v2, s10, v2, -1
	s_delay_alu instid0(VALU_DEP_1)
	v_cndmask_b32_e64 v6, 0, 1, s10
	v_not_b32_e32 v54, v3
	v_cmp_gt_i32_e64 s10, 0, v3
	v_not_b32_e32 v3, v4
	v_lshlrev_b32_e32 v52, 26, v0
	v_cmp_ne_u32_e32 vcc_lo, 0, v6
	v_ashrrev_i32_e32 v6, 31, v54
	v_lshlrev_b32_e32 v53, 25, v0
	v_ashrrev_i32_e32 v3, 31, v3
	v_and_b32_e32 v1, 0xff, v0
	v_xor_b32_e32 v2, vcc_lo, v2
	v_cmp_gt_i32_e32 vcc_lo, 0, v4
	v_not_b32_e32 v4, v5
	v_xor_b32_e32 v6, s10, v6
	v_cmp_gt_i32_e64 s10, 0, v5
	v_and_b32_e32 v2, exec_lo, v2
	v_not_b32_e32 v5, v7
	v_ashrrev_i32_e32 v4, 31, v4
	v_xor_b32_e32 v3, vcc_lo, v3
	v_cmp_gt_i32_e32 vcc_lo, 0, v7
	v_and_b32_e32 v2, v2, v6
	v_not_b32_e32 v6, v52
	v_ashrrev_i32_e32 v5, 31, v5
	v_xor_b32_e32 v4, s10, v4
	v_lshlrev_b32_e32 v0, 24, v0
	v_and_b32_e32 v2, v2, v3
	v_cmp_gt_i32_e64 s10, 0, v52
	v_not_b32_e32 v3, v53
	v_ashrrev_i32_e32 v6, 31, v6
	v_xor_b32_e32 v5, vcc_lo, v5
	v_and_b32_e32 v2, v2, v4
	v_cmp_gt_i32_e32 vcc_lo, 0, v53
	v_not_b32_e32 v4, v0
	v_ashrrev_i32_e32 v3, 31, v3
	v_xor_b32_e32 v6, s10, v6
	v_and_b32_e32 v2, v2, v5
	v_lshlrev_b32_e32 v1, 4, v1
	v_cmp_gt_i32_e64 s10, 0, v0
	v_ashrrev_i32_e32 v0, 31, v4
	v_xor_b32_e32 v3, vcc_lo, v3
	v_and_b32_e32 v2, v2, v6
	v_add_lshl_u32 v1, v1, v37, 2
	s_delay_alu instid0(VALU_DEP_4) | instskip(NEXT) | instid1(VALU_DEP_3)
	v_xor_b32_e32 v0, s10, v0
	v_and_b32_e32 v2, v2, v3
	ds_load_b32 v52, v1 offset:64
	v_add_nc_u32_e32 v54, 64, v1
	; wave barrier
	v_and_b32_e32 v0, v2, v0
	s_delay_alu instid0(VALU_DEP_1) | instskip(SKIP_1) | instid1(VALU_DEP_2)
	v_mbcnt_lo_u32_b32 v53, v0, 0
	v_cmp_ne_u32_e64 s10, 0, v0
	v_cmp_eq_u32_e32 vcc_lo, 0, v53
	s_delay_alu instid0(VALU_DEP_2) | instskip(NEXT) | instid1(SALU_CYCLE_1)
	s_and_b32 s22, s10, vcc_lo
	s_and_saveexec_b32 s10, s22
	s_cbranch_execz .LBB334_18
; %bb.17:                               ;   in Loop: Header=BB334_4 Depth=2
	s_waitcnt lgkmcnt(0)
	v_bcnt_u32_b32 v0, v0, v52
	ds_store_b32 v54, v0
.LBB334_18:                             ;   in Loop: Header=BB334_4 Depth=2
	s_or_b32 exec_lo, exec_lo, s10
	v_lshrrev_b64 v[0:1], s20, v[18:19]
	; wave barrier
	s_delay_alu instid0(VALU_DEP_1)
	v_and_b32_e32 v2, 1, v0
	v_lshlrev_b32_e32 v3, 30, v0
	v_lshlrev_b32_e32 v4, 29, v0
	;; [unrolled: 1-line block ×4, first 2 shown]
	v_add_co_u32 v2, s10, v2, -1
	s_delay_alu instid0(VALU_DEP_1)
	v_cndmask_b32_e64 v6, 0, 1, s10
	v_not_b32_e32 v57, v3
	v_cmp_gt_i32_e64 s10, 0, v3
	v_not_b32_e32 v3, v4
	v_lshlrev_b32_e32 v55, 26, v0
	v_cmp_ne_u32_e32 vcc_lo, 0, v6
	v_ashrrev_i32_e32 v6, 31, v57
	v_lshlrev_b32_e32 v56, 25, v0
	v_ashrrev_i32_e32 v3, 31, v3
	v_and_b32_e32 v1, 0xff, v0
	v_xor_b32_e32 v2, vcc_lo, v2
	v_cmp_gt_i32_e32 vcc_lo, 0, v4
	v_not_b32_e32 v4, v5
	v_xor_b32_e32 v6, s10, v6
	v_cmp_gt_i32_e64 s10, 0, v5
	v_and_b32_e32 v2, exec_lo, v2
	v_not_b32_e32 v5, v7
	v_ashrrev_i32_e32 v4, 31, v4
	v_xor_b32_e32 v3, vcc_lo, v3
	v_cmp_gt_i32_e32 vcc_lo, 0, v7
	v_and_b32_e32 v2, v2, v6
	v_not_b32_e32 v6, v55
	v_ashrrev_i32_e32 v5, 31, v5
	v_xor_b32_e32 v4, s10, v4
	v_lshlrev_b32_e32 v0, 24, v0
	v_and_b32_e32 v2, v2, v3
	v_cmp_gt_i32_e64 s10, 0, v55
	v_not_b32_e32 v3, v56
	v_ashrrev_i32_e32 v6, 31, v6
	v_xor_b32_e32 v5, vcc_lo, v5
	v_and_b32_e32 v2, v2, v4
	v_cmp_gt_i32_e32 vcc_lo, 0, v56
	v_not_b32_e32 v4, v0
	v_ashrrev_i32_e32 v3, 31, v3
	v_xor_b32_e32 v6, s10, v6
	v_and_b32_e32 v2, v2, v5
	v_lshlrev_b32_e32 v1, 4, v1
	v_cmp_gt_i32_e64 s10, 0, v0
	v_ashrrev_i32_e32 v0, 31, v4
	v_xor_b32_e32 v3, vcc_lo, v3
	v_and_b32_e32 v2, v2, v6
	v_add_lshl_u32 v1, v1, v37, 2
	s_delay_alu instid0(VALU_DEP_4) | instskip(NEXT) | instid1(VALU_DEP_3)
	v_xor_b32_e32 v0, s10, v0
	v_and_b32_e32 v2, v2, v3
	ds_load_b32 v55, v1 offset:64
	v_add_nc_u32_e32 v57, 64, v1
	; wave barrier
	v_and_b32_e32 v0, v2, v0
	s_delay_alu instid0(VALU_DEP_1) | instskip(SKIP_1) | instid1(VALU_DEP_2)
	v_mbcnt_lo_u32_b32 v56, v0, 0
	v_cmp_ne_u32_e64 s10, 0, v0
	v_cmp_eq_u32_e32 vcc_lo, 0, v56
	s_delay_alu instid0(VALU_DEP_2) | instskip(NEXT) | instid1(SALU_CYCLE_1)
	s_and_b32 s22, s10, vcc_lo
	s_and_saveexec_b32 s10, s22
	s_cbranch_execz .LBB334_20
; %bb.19:                               ;   in Loop: Header=BB334_4 Depth=2
	s_waitcnt lgkmcnt(0)
	v_bcnt_u32_b32 v0, v0, v55
	ds_store_b32 v57, v0
.LBB334_20:                             ;   in Loop: Header=BB334_4 Depth=2
	s_or_b32 exec_lo, exec_lo, s10
	; wave barrier
	s_waitcnt lgkmcnt(0)
	s_barrier
	buffer_gl0_inv
	ds_load_2addr_b64 v[4:7], v33 offset0:8 offset1:9
	ds_load_2addr_b64 v[0:3], v36 offset0:2 offset1:3
	s_waitcnt lgkmcnt(1)
	v_add_nc_u32_e32 v58, v5, v4
	s_delay_alu instid0(VALU_DEP_1) | instskip(SKIP_1) | instid1(VALU_DEP_1)
	v_add3_u32 v58, v58, v6, v7
	s_waitcnt lgkmcnt(0)
	v_add3_u32 v58, v58, v0, v1
	s_delay_alu instid0(VALU_DEP_1) | instskip(NEXT) | instid1(VALU_DEP_1)
	v_add3_u32 v3, v58, v2, v3
	v_mov_b32_dpp v58, v3 row_shr:1 row_mask:0xf bank_mask:0xf
	s_delay_alu instid0(VALU_DEP_1) | instskip(NEXT) | instid1(VALU_DEP_1)
	v_cndmask_b32_e64 v58, v58, 0, s0
	v_add_nc_u32_e32 v3, v58, v3
	s_delay_alu instid0(VALU_DEP_1) | instskip(NEXT) | instid1(VALU_DEP_1)
	v_mov_b32_dpp v58, v3 row_shr:2 row_mask:0xf bank_mask:0xf
	v_cndmask_b32_e64 v58, 0, v58, s1
	s_delay_alu instid0(VALU_DEP_1) | instskip(NEXT) | instid1(VALU_DEP_1)
	v_add_nc_u32_e32 v3, v3, v58
	v_mov_b32_dpp v58, v3 row_shr:4 row_mask:0xf bank_mask:0xf
	s_delay_alu instid0(VALU_DEP_1) | instskip(NEXT) | instid1(VALU_DEP_1)
	v_cndmask_b32_e64 v58, 0, v58, s2
	v_add_nc_u32_e32 v3, v3, v58
	s_delay_alu instid0(VALU_DEP_1) | instskip(NEXT) | instid1(VALU_DEP_1)
	v_mov_b32_dpp v58, v3 row_shr:8 row_mask:0xf bank_mask:0xf
	v_cndmask_b32_e64 v58, 0, v58, s3
	s_delay_alu instid0(VALU_DEP_1) | instskip(SKIP_3) | instid1(VALU_DEP_1)
	v_add_nc_u32_e32 v3, v3, v58
	ds_swizzle_b32 v58, v3 offset:swizzle(BROADCAST,32,15)
	s_waitcnt lgkmcnt(0)
	v_cndmask_b32_e64 v58, v58, 0, s4
	v_add_nc_u32_e32 v3, v3, v58
	s_and_saveexec_b32 s10, s5
	s_cbranch_execz .LBB334_22
; %bb.21:                               ;   in Loop: Header=BB334_4 Depth=2
	ds_store_b32 v39, v3
.LBB334_22:                             ;   in Loop: Header=BB334_4 Depth=2
	s_or_b32 exec_lo, exec_lo, s10
	s_waitcnt lgkmcnt(0)
	s_barrier
	buffer_gl0_inv
	s_and_saveexec_b32 s10, s6
	s_cbranch_execz .LBB334_24
; %bb.23:                               ;   in Loop: Header=BB334_4 Depth=2
	ds_load_b32 v58, v40
	s_waitcnt lgkmcnt(0)
	v_mov_b32_dpp v59, v58 row_shr:1 row_mask:0xf bank_mask:0xf
	s_delay_alu instid0(VALU_DEP_1) | instskip(NEXT) | instid1(VALU_DEP_1)
	v_cndmask_b32_e64 v59, v59, 0, s0
	v_add_nc_u32_e32 v58, v59, v58
	s_delay_alu instid0(VALU_DEP_1) | instskip(NEXT) | instid1(VALU_DEP_1)
	v_mov_b32_dpp v59, v58 row_shr:2 row_mask:0xf bank_mask:0xf
	v_cndmask_b32_e64 v59, 0, v59, s1
	s_delay_alu instid0(VALU_DEP_1) | instskip(NEXT) | instid1(VALU_DEP_1)
	v_add_nc_u32_e32 v58, v58, v59
	v_mov_b32_dpp v59, v58 row_shr:4 row_mask:0xf bank_mask:0xf
	s_delay_alu instid0(VALU_DEP_1) | instskip(NEXT) | instid1(VALU_DEP_1)
	v_cndmask_b32_e64 v59, 0, v59, s2
	v_add_nc_u32_e32 v58, v58, v59
	s_delay_alu instid0(VALU_DEP_1) | instskip(NEXT) | instid1(VALU_DEP_1)
	v_mov_b32_dpp v59, v58 row_shr:8 row_mask:0xf bank_mask:0xf
	v_cndmask_b32_e64 v59, 0, v59, s3
	s_delay_alu instid0(VALU_DEP_1)
	v_add_nc_u32_e32 v58, v58, v59
	ds_store_b32 v40, v58
.LBB334_24:                             ;   in Loop: Header=BB334_4 Depth=2
	s_or_b32 exec_lo, exec_lo, s10
	v_mov_b32_e32 v58, 0
	s_waitcnt lgkmcnt(0)
	s_barrier
	buffer_gl0_inv
	s_and_saveexec_b32 s10, s7
	s_cbranch_execz .LBB334_26
; %bb.25:                               ;   in Loop: Header=BB334_4 Depth=2
	ds_load_b32 v58, v41
.LBB334_26:                             ;   in Loop: Header=BB334_4 Depth=2
	s_or_b32 exec_lo, exec_lo, s10
	s_waitcnt lgkmcnt(0)
	v_add_nc_u32_e32 v3, v58, v3
	s_cmp_gt_u32 s20, 55
	ds_bpermute_b32 v3, v38, v3
	s_waitcnt lgkmcnt(0)
	v_cndmask_b32_e64 v3, v3, v58, s8
	s_delay_alu instid0(VALU_DEP_1) | instskip(NEXT) | instid1(VALU_DEP_1)
	v_cndmask_b32_e64 v3, v3, 0, s9
	v_add_nc_u32_e32 v4, v3, v4
	s_delay_alu instid0(VALU_DEP_1) | instskip(NEXT) | instid1(VALU_DEP_1)
	v_add_nc_u32_e32 v5, v4, v5
	v_add_nc_u32_e32 v6, v5, v6
	s_delay_alu instid0(VALU_DEP_1) | instskip(NEXT) | instid1(VALU_DEP_1)
	v_add_nc_u32_e32 v58, v6, v7
	v_add_nc_u32_e32 v59, v58, v0
	s_delay_alu instid0(VALU_DEP_1) | instskip(NEXT) | instid1(VALU_DEP_1)
	v_add_nc_u32_e32 v0, v59, v1
	v_add_nc_u32_e32 v1, v0, v2
	ds_store_2addr_b64 v33, v[3:4], v[5:6] offset0:8 offset1:9
	ds_store_2addr_b64 v36, v[58:59], v[0:1] offset0:2 offset1:3
	s_waitcnt lgkmcnt(0)
	s_barrier
	buffer_gl0_inv
	ds_load_b32 v0, v9
	ds_load_b32 v1, v12
	;; [unrolled: 1-line block ×8, first 2 shown]
	s_waitcnt lgkmcnt(7)
	v_add_nc_u32_e32 v57, v0, v8
	s_waitcnt lgkmcnt(6)
	v_add3_u32 v54, v11, v10, v1
	s_waitcnt lgkmcnt(5)
	v_add3_u32 v51, v14, v13, v2
	;; [unrolled: 2-line block ×7, first 2 shown]
	s_cbranch_scc0 .LBB334_3
; %bb.27:                               ;   in Loop: Header=BB334_2 Depth=1
                                        ; implicit-def: $vgpr14_vgpr15
                                        ; implicit-def: $vgpr10_vgpr11
                                        ; implicit-def: $vgpr6_vgpr7
                                        ; implicit-def: $vgpr2_vgpr3
                                        ; implicit-def: $sgpr20_sgpr21
	s_branch .LBB334_1
.LBB334_28:
	s_add_u32 s0, s18, s14
	s_addc_u32 s1, s19, s15
	v_add_co_u32 v0, s2, s0, v32
	s_delay_alu instid0(VALU_DEP_1) | instskip(NEXT) | instid1(VALU_DEP_2)
	v_add_co_ci_u32_e64 v24, null, s1, 0, s2
	v_add_co_u32 v17, vcc_lo, v0, 0x2000
	s_delay_alu instid0(VALU_DEP_2)
	v_add_co_ci_u32_e32 v18, vcc_lo, 0, v24, vcc_lo
	v_add_co_u32 v19, vcc_lo, v0, 0x4000
	v_add_co_ci_u32_e32 v20, vcc_lo, 0, v24, vcc_lo
	v_add_co_u32 v21, vcc_lo, v0, 0x6000
	;; [unrolled: 2-line block ×3, first 2 shown]
	v_add_co_ci_u32_e32 v24, vcc_lo, 0, v24, vcc_lo
	s_clause 0x7
	global_store_b64 v32, v[13:14], s[0:1]
	global_store_b64 v[17:18], v[9:10], off
	global_store_b64 v[19:20], v[11:12], off offset:-4096
	global_store_b64 v[19:20], v[5:6], off
	global_store_b64 v[21:22], v[7:8], off offset:-4096
	;; [unrolled: 2-line block ×3, first 2 shown]
	global_store_b64 v[23:24], v[3:4], off
	s_nop 0
	s_sendmsg sendmsg(MSG_DEALLOC_VGPRS)
	s_endpgm
	.section	.rodata,"a",@progbits
	.p2align	6, 0x0
	.amdhsa_kernel _Z16sort_keys_kernelI22helper_blocked_stripedxLj512ELj8ELj10EEvPKT0_PS1_
		.amdhsa_group_segment_fixed_size 32768
		.amdhsa_private_segment_fixed_size 0
		.amdhsa_kernarg_size 272
		.amdhsa_user_sgpr_count 15
		.amdhsa_user_sgpr_dispatch_ptr 0
		.amdhsa_user_sgpr_queue_ptr 0
		.amdhsa_user_sgpr_kernarg_segment_ptr 1
		.amdhsa_user_sgpr_dispatch_id 0
		.amdhsa_user_sgpr_private_segment_size 0
		.amdhsa_wavefront_size32 1
		.amdhsa_uses_dynamic_stack 0
		.amdhsa_enable_private_segment 0
		.amdhsa_system_sgpr_workgroup_id_x 1
		.amdhsa_system_sgpr_workgroup_id_y 0
		.amdhsa_system_sgpr_workgroup_id_z 0
		.amdhsa_system_sgpr_workgroup_info 0
		.amdhsa_system_vgpr_workitem_id 2
		.amdhsa_next_free_vgpr 60
		.amdhsa_next_free_sgpr 23
		.amdhsa_reserve_vcc 1
		.amdhsa_float_round_mode_32 0
		.amdhsa_float_round_mode_16_64 0
		.amdhsa_float_denorm_mode_32 3
		.amdhsa_float_denorm_mode_16_64 3
		.amdhsa_dx10_clamp 1
		.amdhsa_ieee_mode 1
		.amdhsa_fp16_overflow 0
		.amdhsa_workgroup_processor_mode 1
		.amdhsa_memory_ordered 1
		.amdhsa_forward_progress 0
		.amdhsa_shared_vgpr_count 0
		.amdhsa_exception_fp_ieee_invalid_op 0
		.amdhsa_exception_fp_denorm_src 0
		.amdhsa_exception_fp_ieee_div_zero 0
		.amdhsa_exception_fp_ieee_overflow 0
		.amdhsa_exception_fp_ieee_underflow 0
		.amdhsa_exception_fp_ieee_inexact 0
		.amdhsa_exception_int_div_zero 0
	.end_amdhsa_kernel
	.section	.text._Z16sort_keys_kernelI22helper_blocked_stripedxLj512ELj8ELj10EEvPKT0_PS1_,"axG",@progbits,_Z16sort_keys_kernelI22helper_blocked_stripedxLj512ELj8ELj10EEvPKT0_PS1_,comdat
.Lfunc_end334:
	.size	_Z16sort_keys_kernelI22helper_blocked_stripedxLj512ELj8ELj10EEvPKT0_PS1_, .Lfunc_end334-_Z16sort_keys_kernelI22helper_blocked_stripedxLj512ELj8ELj10EEvPKT0_PS1_
                                        ; -- End function
	.section	.AMDGPU.csdata,"",@progbits
; Kernel info:
; codeLenInByte = 4596
; NumSgprs: 25
; NumVgprs: 60
; ScratchSize: 0
; MemoryBound: 0
; FloatMode: 240
; IeeeMode: 1
; LDSByteSize: 32768 bytes/workgroup (compile time only)
; SGPRBlocks: 3
; VGPRBlocks: 7
; NumSGPRsForWavesPerEU: 25
; NumVGPRsForWavesPerEU: 60
; Occupancy: 16
; WaveLimiterHint : 1
; COMPUTE_PGM_RSRC2:SCRATCH_EN: 0
; COMPUTE_PGM_RSRC2:USER_SGPR: 15
; COMPUTE_PGM_RSRC2:TRAP_HANDLER: 0
; COMPUTE_PGM_RSRC2:TGID_X_EN: 1
; COMPUTE_PGM_RSRC2:TGID_Y_EN: 0
; COMPUTE_PGM_RSRC2:TGID_Z_EN: 0
; COMPUTE_PGM_RSRC2:TIDIG_COMP_CNT: 2
	.section	.text._Z17sort_pairs_kernelI22helper_blocked_stripedxLj512ELj8ELj10EEvPKT0_PS1_,"axG",@progbits,_Z17sort_pairs_kernelI22helper_blocked_stripedxLj512ELj8ELj10EEvPKT0_PS1_,comdat
	.protected	_Z17sort_pairs_kernelI22helper_blocked_stripedxLj512ELj8ELj10EEvPKT0_PS1_ ; -- Begin function _Z17sort_pairs_kernelI22helper_blocked_stripedxLj512ELj8ELj10EEvPKT0_PS1_
	.globl	_Z17sort_pairs_kernelI22helper_blocked_stripedxLj512ELj8ELj10EEvPKT0_PS1_
	.p2align	8
	.type	_Z17sort_pairs_kernelI22helper_blocked_stripedxLj512ELj8ELj10EEvPKT0_PS1_,@function
_Z17sort_pairs_kernelI22helper_blocked_stripedxLj512ELj8ELj10EEvPKT0_PS1_: ; @_Z17sort_pairs_kernelI22helper_blocked_stripedxLj512ELj8ELj10EEvPKT0_PS1_
; %bb.0:
	s_clause 0x1
	s_load_b128 s[16:19], s[0:1], 0x0
	s_load_b32 s9, s[0:1], 0x1c
	v_mbcnt_lo_u32_b32 v18, -1, 0
	s_mov_b32 s21, 0
	s_lshl_b32 s20, s15, 12
	v_bfe_u32 v19, v0, 10, 10
	s_lshl_b64 s[12:13], s[20:21], 3
	v_add_nc_u32_e32 v22, -1, v18
	v_and_b32_e32 v20, 15, v18
	v_and_b32_e32 v21, 16, v18
	s_mov_b32 s20, s21
	s_mov_b32 s14, s21
	v_cmp_gt_i32_e32 vcc_lo, 0, v22
	v_and_b32_e32 v17, 0x3ff, v0
	v_cmp_lt_u32_e64 s2, 1, v20
	v_cmp_lt_u32_e64 s3, 3, v20
	;; [unrolled: 1-line block ×3, first 2 shown]
	v_bfe_u32 v0, v0, 20, 10
	v_lshlrev_b32_e32 v1, 6, v17
	v_cmp_eq_u32_e64 s5, 0, v21
	s_waitcnt lgkmcnt(0)
	s_add_u32 s0, s16, s12
	s_addc_u32 s1, s17, s13
	s_lshr_b32 s10, s9, 16
	s_clause 0x3
	global_load_b128 v[13:16], v1, s[0:1]
	global_load_b128 v[9:12], v1, s[0:1] offset:16
	global_load_b128 v[5:8], v1, s[0:1] offset:32
	;; [unrolled: 1-line block ×3, first 2 shown]
	v_cmp_eq_u32_e64 s1, 0, v20
	v_dual_cndmask_b32 v20, v22, v18 :: v_dual_lshlrev_b32 v65, 3, v17
	v_and_b32_e32 v23, 0x1e0, v17
	v_mad_u32_u24 v0, v0, s10, v19
	s_and_b32 s9, s9, 0xffff
	v_cmp_eq_u32_e64 s0, 0, v18
	v_and_or_b32 v25, 0xf00, v65, v18
	v_or_b32_e32 v24, v18, v23
	v_mad_u64_u32 v[18:19], null, v0, s9, v[17:18]
	v_lshlrev_b32_e32 v66, 5, v17
	v_lshrrev_b32_e32 v21, 3, v17
	v_or_b32_e32 v23, 31, v23
	v_cmp_gt_u32_e64 s6, 16, v17
	v_cmp_lt_u32_e64 s7, 31, v17
	v_cmp_eq_u32_e64 s8, 0, v17
	v_lshlrev_b32_e32 v22, 2, v17
	v_and_b32_e32 v69, 60, v21
	v_mad_i32_i24 v70, 0xffffffe4, v17, v66
	v_cmp_eq_u32_e64 s9, v23, v17
	v_lshrrev_b32_e32 v74, 5, v18
	v_add_nc_u32_e32 v67, 64, v66
	v_lshlrev_b32_e32 v68, 2, v20
	v_lshlrev_b32_e32 v71, 6, v24
	;; [unrolled: 1-line block ×3, first 2 shown]
	v_add_nc_u32_e32 v73, -4, v69
	v_add_nc_u32_e32 v75, v70, v22
	s_mov_b32 s15, s21
	s_mov_b32 s11, s21
	s_waitcnt vmcnt(3)
	v_add_co_u32 v41, vcc_lo, v13, 1
	v_add_co_ci_u32_e32 v42, vcc_lo, 0, v14, vcc_lo
	v_add_co_u32 v43, vcc_lo, v15, 1
	v_add_co_ci_u32_e32 v44, vcc_lo, 0, v16, vcc_lo
	s_waitcnt vmcnt(2)
	v_add_co_u32 v37, vcc_lo, v9, 1
	v_add_co_ci_u32_e32 v38, vcc_lo, 0, v10, vcc_lo
	v_add_co_u32 v39, vcc_lo, v11, 1
	v_add_co_ci_u32_e32 v40, vcc_lo, 0, v12, vcc_lo
	;; [unrolled: 5-line block ×4, first 2 shown]
	s_branch .LBB335_2
.LBB335_1:                              ;   in Loop: Header=BB335_2 Depth=1
	v_lshlrev_b32_e32 v0, 3, v82
	v_lshlrev_b32_e32 v23, 3, v79
	;; [unrolled: 1-line block ×8, first 2 shown]
	s_barrier
	buffer_gl0_inv
	ds_store_b64 v0, v[29:30]
	ds_store_b64 v21, v[43:44]
	;; [unrolled: 1-line block ×8, first 2 shown]
	s_waitcnt lgkmcnt(0)
	s_barrier
	buffer_gl0_inv
	ds_load_2addr_stride64_b64 v[13:16], v75 offset1:8
	ds_load_2addr_stride64_b64 v[9:12], v75 offset0:16 offset1:24
	ds_load_2addr_stride64_b64 v[5:8], v75 offset0:32 offset1:40
	ds_load_2addr_stride64_b64 v[1:4], v75 offset0:48 offset1:56
	s_waitcnt lgkmcnt(0)
	s_barrier
	buffer_gl0_inv
	ds_store_b64 v0, v[63:64]
	ds_store_b64 v21, v[61:62]
	;; [unrolled: 1-line block ×8, first 2 shown]
	s_waitcnt lgkmcnt(0)
	s_barrier
	buffer_gl0_inv
	ds_load_2addr_stride64_b64 v[41:44], v75 offset1:8
	ds_load_2addr_stride64_b64 v[37:40], v75 offset0:16 offset1:24
	ds_load_2addr_stride64_b64 v[29:32], v75 offset0:32 offset1:40
	;; [unrolled: 1-line block ×3, first 2 shown]
	s_add_i32 s11, s11, 1
	s_delay_alu instid0(SALU_CYCLE_1)
	s_cmp_eq_u32 s11, 10
	v_xor_b32_e32 v14, 0x80000000, v14
	v_xor_b32_e32 v16, 0x80000000, v16
	v_xor_b32_e32 v10, 0x80000000, v10
	v_xor_b32_e32 v12, 0x80000000, v12
	v_xor_b32_e32 v6, 0x80000000, v6
	v_xor_b32_e32 v8, 0x80000000, v8
	v_xor_b32_e32 v2, 0x80000000, v2
	v_xor_b32_e32 v4, 0x80000000, v4
	s_cbranch_scc1 .LBB335_28
.LBB335_2:                              ; =>This Loop Header: Depth=1
                                        ;     Child Loop BB335_4 Depth 2
	v_xor_b32_e32 v14, 0x80000000, v14
	v_xor_b32_e32 v16, 0x80000000, v16
	;; [unrolled: 1-line block ×8, first 2 shown]
	ds_store_2addr_b64 v71, v[13:14], v[15:16] offset1:1
	ds_store_2addr_b64 v71, v[9:10], v[11:12] offset0:2 offset1:3
	ds_store_2addr_b64 v71, v[5:6], v[7:8] offset0:4 offset1:5
	;; [unrolled: 1-line block ×3, first 2 shown]
	; wave barrier
	ds_load_2addr_b64 v[21:24], v72 offset1:32
	ds_load_2addr_b64 v[25:28], v72 offset0:64 offset1:96
	ds_load_2addr_b64 v[33:36], v72 offset0:128 offset1:160
	;; [unrolled: 1-line block ×3, first 2 shown]
	; wave barrier
	s_waitcnt lgkmcnt(11)
	ds_store_2addr_b64 v71, v[41:42], v[43:44] offset1:1
	s_waitcnt lgkmcnt(11)
	ds_store_2addr_b64 v71, v[37:38], v[39:40] offset0:2 offset1:3
	s_waitcnt lgkmcnt(11)
	ds_store_2addr_b64 v71, v[29:30], v[31:32] offset0:4 offset1:5
	;; [unrolled: 2-line block ×3, first 2 shown]
	; wave barrier
	ds_load_2addr_b64 v[0:3], v72 offset1:32
	ds_load_2addr_b64 v[4:7], v72 offset0:64 offset1:96
	ds_load_2addr_b64 v[8:11], v72 offset0:128 offset1:160
	;; [unrolled: 1-line block ×3, first 2 shown]
	s_mov_b64 s[16:17], 0
	s_waitcnt lgkmcnt(0)
	s_barrier
	s_branch .LBB335_4
.LBB335_3:                              ;   in Loop: Header=BB335_4 Depth=2
	v_lshlrev_b32_e32 v0, 3, v82
	v_lshlrev_b32_e32 v3, 3, v79
	;; [unrolled: 1-line block ×8, first 2 shown]
	s_barrier
	buffer_gl0_inv
	ds_store_b64 v0, v[29:30]
	ds_store_b64 v1, v[43:44]
	;; [unrolled: 1-line block ×8, first 2 shown]
	s_waitcnt lgkmcnt(0)
	s_barrier
	buffer_gl0_inv
	ds_load_2addr_b64 v[21:24], v72 offset1:32
	ds_load_2addr_b64 v[25:28], v72 offset0:64 offset1:96
	ds_load_2addr_b64 v[33:36], v72 offset0:128 offset1:160
	ds_load_2addr_b64 v[45:48], v72 offset0:192 offset1:224
	s_waitcnt lgkmcnt(0)
	s_barrier
	buffer_gl0_inv
	ds_store_b64 v0, v[63:64]
	ds_store_b64 v1, v[61:62]
	;; [unrolled: 1-line block ×8, first 2 shown]
	s_waitcnt lgkmcnt(0)
	s_barrier
	buffer_gl0_inv
	ds_load_2addr_b64 v[0:3], v72 offset1:32
	ds_load_2addr_b64 v[4:7], v72 offset0:64 offset1:96
	ds_load_2addr_b64 v[8:11], v72 offset0:128 offset1:160
	;; [unrolled: 1-line block ×3, first 2 shown]
	s_add_u32 s16, s16, 8
	s_addc_u32 s17, s17, 0
	s_waitcnt lgkmcnt(0)
	s_barrier
	s_cbranch_execz .LBB335_1
.LBB335_4:                              ;   Parent Loop BB335_2 Depth=1
                                        ; =>  This Inner Loop Header: Depth=2
	v_dual_mov_b32 v30, v22 :: v_dual_mov_b32 v29, v21
	v_dual_mov_b32 v42, v26 :: v_dual_mov_b32 v41, v25
	;; [unrolled: 1-line block ×3, first 2 shown]
	s_delay_alu instid0(VALU_DEP_3) | instskip(SKIP_2) | instid1(VALU_DEP_3)
	v_lshrrev_b64 v[20:21], s16, v[29:30]
	v_dual_mov_b32 v44, v24 :: v_dual_mov_b32 v43, v23
	v_dual_mov_b32 v40, v28 :: v_dual_mov_b32 v39, v27
	v_dual_mov_b32 v50, v15 :: v_dual_and_b32 v21, 1, v20
	v_dual_mov_b32 v49, v14 :: v_dual_lshlrev_b32 v22, 30, v20
	v_dual_mov_b32 v52, v13 :: v_dual_lshlrev_b32 v23, 29, v20
	s_delay_alu instid0(VALU_DEP_3) | instskip(NEXT) | instid1(VALU_DEP_1)
	v_add_co_u32 v21, s10, v21, -1
	v_cndmask_b32_e64 v25, 0, 1, s10
	s_delay_alu instid0(VALU_DEP_4) | instskip(SKIP_2) | instid1(VALU_DEP_4)
	v_not_b32_e32 v33, v22
	v_dual_mov_b32 v51, v12 :: v_dual_lshlrev_b32 v24, 28, v20
	v_cmp_gt_i32_e64 s10, 0, v22
	v_cmp_ne_u32_e32 vcc_lo, 0, v25
	v_not_b32_e32 v22, v23
	v_ashrrev_i32_e32 v33, 31, v33
	v_lshlrev_b32_e32 v26, 27, v20
	v_dual_mov_b32 v54, v11 :: v_dual_lshlrev_b32 v27, 26, v20
	v_xor_b32_e32 v21, vcc_lo, v21
	v_cmp_gt_i32_e32 vcc_lo, 0, v23
	v_not_b32_e32 v23, v24
	v_ashrrev_i32_e32 v22, 31, v22
	v_xor_b32_e32 v33, s10, v33
	v_dual_mov_b32 v58, v7 :: v_dual_and_b32 v21, exec_lo, v21
	v_cmp_gt_i32_e64 s10, 0, v24
	v_ashrrev_i32_e32 v23, 31, v23
	v_xor_b32_e32 v22, vcc_lo, v22
	s_delay_alu instid0(VALU_DEP_4)
	v_dual_mov_b32 v62, v3 :: v_dual_and_b32 v21, v21, v33
	v_mov_b32_e32 v53, v10
	v_not_b32_e32 v24, v26
	v_lshlrev_b32_e32 v28, 25, v20
	v_cmp_gt_i32_e32 vcc_lo, 0, v26
	v_not_b32_e32 v26, v27
	v_xor_b32_e32 v23, s10, v23
	v_ashrrev_i32_e32 v24, 31, v24
	v_and_b32_e32 v21, v21, v22
	v_dual_mov_b32 v57, v6 :: v_dual_mov_b32 v60, v5
	v_dual_mov_b32 v56, v9 :: v_dual_lshlrev_b32 v25, 24, v20
	v_mov_b32_e32 v59, v4
	v_dual_mov_b32 v61, v2 :: v_dual_mov_b32 v64, v1
	v_mov_b32_e32 v3, s20
	v_cmp_gt_i32_e64 s10, 0, v27
	v_ashrrev_i32_e32 v26, 31, v26
	v_xor_b32_e32 v24, vcc_lo, v24
	v_mov_b32_e32 v55, v8
	v_not_b32_e32 v22, v28
	v_dual_mov_b32 v4, s21 :: v_dual_and_b32 v21, v21, v23
	v_dual_mov_b32 v5, s14 :: v_dual_mov_b32 v6, s15
	v_cmp_gt_i32_e32 vcc_lo, 0, v28
	v_not_b32_e32 v23, v25
	v_ashrrev_i32_e32 v22, 31, v22
	v_xor_b32_e32 v26, s10, v26
	v_and_b32_e32 v21, v21, v24
	v_cmp_gt_i32_e64 s10, 0, v25
	v_ashrrev_i32_e32 v14, 31, v23
	v_xor_b32_e32 v15, vcc_lo, v22
	v_mov_b32_e32 v63, v0
	v_and_b32_e32 v21, v21, v26
	v_and_b32_e32 v0, 0xff, v20
	v_xor_b32_e32 v8, s10, v14
	v_dual_mov_b32 v16, v47 :: v_dual_mov_b32 v17, v48
	s_delay_alu instid0(VALU_DEP_4) | instskip(NEXT) | instid1(VALU_DEP_4)
	v_and_b32_e32 v9, v21, v15
	v_lshl_add_u32 v0, v0, 4, v74
	v_dual_mov_b32 v18, v45 :: v_dual_mov_b32 v19, v46
	v_dual_mov_b32 v31, v35 :: v_dual_mov_b32 v32, v36
	s_delay_alu instid0(VALU_DEP_4) | instskip(NEXT) | instid1(VALU_DEP_4)
	v_and_b32_e32 v2, v9, v8
	v_lshl_add_u32 v9, v0, 2, 64
	buffer_gl0_inv
	ds_store_2addr_b64 v66, v[3:4], v[5:6] offset0:8 offset1:9
	ds_store_2addr_b64 v67, v[3:4], v[5:6] offset0:2 offset1:3
	s_waitcnt lgkmcnt(0)
	v_mbcnt_lo_u32_b32 v8, v2, 0
	v_cmp_ne_u32_e64 s10, 0, v2
	s_barrier
	buffer_gl0_inv
	v_cmp_eq_u32_e32 vcc_lo, 0, v8
	; wave barrier
	s_and_b32 s22, s10, vcc_lo
	s_delay_alu instid0(SALU_CYCLE_1)
	s_and_saveexec_b32 s10, s22
	s_cbranch_execz .LBB335_6
; %bb.5:                                ;   in Loop: Header=BB335_4 Depth=2
	v_bcnt_u32_b32 v0, v2, 0
	ds_store_b32 v9, v0
.LBB335_6:                              ;   in Loop: Header=BB335_4 Depth=2
	s_or_b32 exec_lo, exec_lo, s10
	v_lshrrev_b64 v[0:1], s16, v[43:44]
	; wave barrier
	s_delay_alu instid0(VALU_DEP_1)
	v_and_b32_e32 v2, 1, v0
	v_lshlrev_b32_e32 v3, 30, v0
	v_lshlrev_b32_e32 v4, 29, v0
	;; [unrolled: 1-line block ×4, first 2 shown]
	v_add_co_u32 v2, s10, v2, -1
	s_delay_alu instid0(VALU_DEP_1)
	v_cndmask_b32_e64 v6, 0, 1, s10
	v_not_b32_e32 v12, v3
	v_cmp_gt_i32_e64 s10, 0, v3
	v_not_b32_e32 v3, v4
	v_lshlrev_b32_e32 v10, 26, v0
	v_cmp_ne_u32_e32 vcc_lo, 0, v6
	v_ashrrev_i32_e32 v6, 31, v12
	v_lshlrev_b32_e32 v11, 25, v0
	v_ashrrev_i32_e32 v3, 31, v3
	v_and_b32_e32 v1, 0xff, v0
	v_xor_b32_e32 v2, vcc_lo, v2
	v_cmp_gt_i32_e32 vcc_lo, 0, v4
	v_not_b32_e32 v4, v5
	v_xor_b32_e32 v6, s10, v6
	v_cmp_gt_i32_e64 s10, 0, v5
	v_and_b32_e32 v2, exec_lo, v2
	v_not_b32_e32 v5, v7
	v_ashrrev_i32_e32 v4, 31, v4
	v_xor_b32_e32 v3, vcc_lo, v3
	v_cmp_gt_i32_e32 vcc_lo, 0, v7
	v_and_b32_e32 v2, v2, v6
	v_not_b32_e32 v6, v10
	v_ashrrev_i32_e32 v5, 31, v5
	v_xor_b32_e32 v4, s10, v4
	v_lshlrev_b32_e32 v0, 24, v0
	v_and_b32_e32 v2, v2, v3
	v_cmp_gt_i32_e64 s10, 0, v10
	v_not_b32_e32 v3, v11
	v_ashrrev_i32_e32 v6, 31, v6
	v_xor_b32_e32 v5, vcc_lo, v5
	v_and_b32_e32 v2, v2, v4
	v_cmp_gt_i32_e32 vcc_lo, 0, v11
	v_not_b32_e32 v4, v0
	v_ashrrev_i32_e32 v3, 31, v3
	v_xor_b32_e32 v6, s10, v6
	v_and_b32_e32 v2, v2, v5
	v_lshlrev_b32_e32 v1, 4, v1
	v_cmp_gt_i32_e64 s10, 0, v0
	v_ashrrev_i32_e32 v0, 31, v4
	v_xor_b32_e32 v3, vcc_lo, v3
	v_and_b32_e32 v2, v2, v6
	v_add_lshl_u32 v1, v1, v74, 2
	s_delay_alu instid0(VALU_DEP_4) | instskip(NEXT) | instid1(VALU_DEP_3)
	v_xor_b32_e32 v0, s10, v0
	v_and_b32_e32 v2, v2, v3
	ds_load_b32 v10, v1 offset:64
	v_add_nc_u32_e32 v12, 64, v1
	; wave barrier
	v_and_b32_e32 v0, v2, v0
	s_delay_alu instid0(VALU_DEP_1) | instskip(SKIP_1) | instid1(VALU_DEP_2)
	v_mbcnt_lo_u32_b32 v11, v0, 0
	v_cmp_ne_u32_e64 s10, 0, v0
	v_cmp_eq_u32_e32 vcc_lo, 0, v11
	s_delay_alu instid0(VALU_DEP_2) | instskip(NEXT) | instid1(SALU_CYCLE_1)
	s_and_b32 s22, s10, vcc_lo
	s_and_saveexec_b32 s10, s22
	s_cbranch_execz .LBB335_8
; %bb.7:                                ;   in Loop: Header=BB335_4 Depth=2
	s_waitcnt lgkmcnt(0)
	v_bcnt_u32_b32 v0, v0, v10
	ds_store_b32 v12, v0
.LBB335_8:                              ;   in Loop: Header=BB335_4 Depth=2
	s_or_b32 exec_lo, exec_lo, s10
	v_lshrrev_b64 v[0:1], s16, v[41:42]
	; wave barrier
	s_delay_alu instid0(VALU_DEP_1)
	v_and_b32_e32 v2, 1, v0
	v_lshlrev_b32_e32 v3, 30, v0
	v_lshlrev_b32_e32 v4, 29, v0
	;; [unrolled: 1-line block ×4, first 2 shown]
	v_add_co_u32 v2, s10, v2, -1
	s_delay_alu instid0(VALU_DEP_1)
	v_cndmask_b32_e64 v6, 0, 1, s10
	v_not_b32_e32 v15, v3
	v_cmp_gt_i32_e64 s10, 0, v3
	v_not_b32_e32 v3, v4
	v_lshlrev_b32_e32 v13, 26, v0
	v_cmp_ne_u32_e32 vcc_lo, 0, v6
	v_ashrrev_i32_e32 v6, 31, v15
	v_lshlrev_b32_e32 v14, 25, v0
	v_ashrrev_i32_e32 v3, 31, v3
	v_and_b32_e32 v1, 0xff, v0
	v_xor_b32_e32 v2, vcc_lo, v2
	v_cmp_gt_i32_e32 vcc_lo, 0, v4
	v_not_b32_e32 v4, v5
	v_xor_b32_e32 v6, s10, v6
	v_cmp_gt_i32_e64 s10, 0, v5
	v_and_b32_e32 v2, exec_lo, v2
	v_not_b32_e32 v5, v7
	v_ashrrev_i32_e32 v4, 31, v4
	v_xor_b32_e32 v3, vcc_lo, v3
	v_cmp_gt_i32_e32 vcc_lo, 0, v7
	v_and_b32_e32 v2, v2, v6
	v_not_b32_e32 v6, v13
	v_ashrrev_i32_e32 v5, 31, v5
	v_xor_b32_e32 v4, s10, v4
	v_lshlrev_b32_e32 v0, 24, v0
	v_and_b32_e32 v2, v2, v3
	v_cmp_gt_i32_e64 s10, 0, v13
	v_not_b32_e32 v3, v14
	v_ashrrev_i32_e32 v6, 31, v6
	v_xor_b32_e32 v5, vcc_lo, v5
	v_and_b32_e32 v2, v2, v4
	v_cmp_gt_i32_e32 vcc_lo, 0, v14
	v_not_b32_e32 v4, v0
	v_ashrrev_i32_e32 v3, 31, v3
	v_xor_b32_e32 v6, s10, v6
	v_and_b32_e32 v2, v2, v5
	v_lshlrev_b32_e32 v1, 4, v1
	v_cmp_gt_i32_e64 s10, 0, v0
	v_ashrrev_i32_e32 v0, 31, v4
	v_xor_b32_e32 v3, vcc_lo, v3
	v_and_b32_e32 v2, v2, v6
	v_add_lshl_u32 v1, v1, v74, 2
	s_delay_alu instid0(VALU_DEP_4) | instskip(NEXT) | instid1(VALU_DEP_3)
	v_xor_b32_e32 v0, s10, v0
	v_and_b32_e32 v2, v2, v3
	ds_load_b32 v13, v1 offset:64
	v_add_nc_u32_e32 v15, 64, v1
	; wave barrier
	v_and_b32_e32 v0, v2, v0
	s_delay_alu instid0(VALU_DEP_1) | instskip(SKIP_1) | instid1(VALU_DEP_2)
	v_mbcnt_lo_u32_b32 v14, v0, 0
	v_cmp_ne_u32_e64 s10, 0, v0
	v_cmp_eq_u32_e32 vcc_lo, 0, v14
	s_delay_alu instid0(VALU_DEP_2) | instskip(NEXT) | instid1(SALU_CYCLE_1)
	s_and_b32 s22, s10, vcc_lo
	s_and_saveexec_b32 s10, s22
	s_cbranch_execz .LBB335_10
; %bb.9:                                ;   in Loop: Header=BB335_4 Depth=2
	s_waitcnt lgkmcnt(0)
	v_bcnt_u32_b32 v0, v0, v13
	ds_store_b32 v15, v0
.LBB335_10:                             ;   in Loop: Header=BB335_4 Depth=2
	s_or_b32 exec_lo, exec_lo, s10
	v_lshrrev_b64 v[0:1], s16, v[39:40]
	; wave barrier
	s_delay_alu instid0(VALU_DEP_1)
	v_and_b32_e32 v2, 1, v0
	v_lshlrev_b32_e32 v3, 30, v0
	v_lshlrev_b32_e32 v4, 29, v0
	;; [unrolled: 1-line block ×4, first 2 shown]
	v_add_co_u32 v2, s10, v2, -1
	s_delay_alu instid0(VALU_DEP_1)
	v_cndmask_b32_e64 v6, 0, 1, s10
	v_not_b32_e32 v22, v3
	v_cmp_gt_i32_e64 s10, 0, v3
	v_not_b32_e32 v3, v4
	v_lshlrev_b32_e32 v20, 26, v0
	v_cmp_ne_u32_e32 vcc_lo, 0, v6
	v_ashrrev_i32_e32 v6, 31, v22
	v_lshlrev_b32_e32 v21, 25, v0
	v_ashrrev_i32_e32 v3, 31, v3
	v_and_b32_e32 v1, 0xff, v0
	v_xor_b32_e32 v2, vcc_lo, v2
	v_cmp_gt_i32_e32 vcc_lo, 0, v4
	v_not_b32_e32 v4, v5
	v_xor_b32_e32 v6, s10, v6
	v_cmp_gt_i32_e64 s10, 0, v5
	v_and_b32_e32 v2, exec_lo, v2
	v_not_b32_e32 v5, v7
	v_ashrrev_i32_e32 v4, 31, v4
	v_xor_b32_e32 v3, vcc_lo, v3
	v_cmp_gt_i32_e32 vcc_lo, 0, v7
	v_and_b32_e32 v2, v2, v6
	v_not_b32_e32 v6, v20
	v_ashrrev_i32_e32 v5, 31, v5
	v_xor_b32_e32 v4, s10, v4
	v_lshlrev_b32_e32 v0, 24, v0
	v_and_b32_e32 v2, v2, v3
	v_cmp_gt_i32_e64 s10, 0, v20
	v_not_b32_e32 v3, v21
	v_ashrrev_i32_e32 v6, 31, v6
	v_xor_b32_e32 v5, vcc_lo, v5
	v_and_b32_e32 v2, v2, v4
	v_cmp_gt_i32_e32 vcc_lo, 0, v21
	v_not_b32_e32 v4, v0
	v_ashrrev_i32_e32 v3, 31, v3
	v_xor_b32_e32 v6, s10, v6
	v_and_b32_e32 v2, v2, v5
	v_lshlrev_b32_e32 v1, 4, v1
	v_cmp_gt_i32_e64 s10, 0, v0
	v_ashrrev_i32_e32 v0, 31, v4
	v_xor_b32_e32 v3, vcc_lo, v3
	v_and_b32_e32 v2, v2, v6
	v_add_lshl_u32 v1, v1, v74, 2
	s_delay_alu instid0(VALU_DEP_4) | instskip(NEXT) | instid1(VALU_DEP_3)
	v_xor_b32_e32 v0, s10, v0
	v_and_b32_e32 v2, v2, v3
	ds_load_b32 v20, v1 offset:64
	v_add_nc_u32_e32 v22, 64, v1
	; wave barrier
	v_and_b32_e32 v0, v2, v0
	s_delay_alu instid0(VALU_DEP_1) | instskip(SKIP_1) | instid1(VALU_DEP_2)
	v_mbcnt_lo_u32_b32 v21, v0, 0
	v_cmp_ne_u32_e64 s10, 0, v0
	v_cmp_eq_u32_e32 vcc_lo, 0, v21
	s_delay_alu instid0(VALU_DEP_2) | instskip(NEXT) | instid1(SALU_CYCLE_1)
	s_and_b32 s22, s10, vcc_lo
	s_and_saveexec_b32 s10, s22
	s_cbranch_execz .LBB335_12
; %bb.11:                               ;   in Loop: Header=BB335_4 Depth=2
	s_waitcnt lgkmcnt(0)
	v_bcnt_u32_b32 v0, v0, v20
	ds_store_b32 v22, v0
.LBB335_12:                             ;   in Loop: Header=BB335_4 Depth=2
	s_or_b32 exec_lo, exec_lo, s10
	v_lshrrev_b64 v[0:1], s16, v[37:38]
	; wave barrier
	s_delay_alu instid0(VALU_DEP_1)
	v_and_b32_e32 v2, 1, v0
	v_lshlrev_b32_e32 v3, 30, v0
	v_lshlrev_b32_e32 v4, 29, v0
	;; [unrolled: 1-line block ×4, first 2 shown]
	v_add_co_u32 v2, s10, v2, -1
	s_delay_alu instid0(VALU_DEP_1)
	v_cndmask_b32_e64 v6, 0, 1, s10
	v_not_b32_e32 v25, v3
	v_cmp_gt_i32_e64 s10, 0, v3
	v_not_b32_e32 v3, v4
	v_lshlrev_b32_e32 v23, 26, v0
	v_cmp_ne_u32_e32 vcc_lo, 0, v6
	v_ashrrev_i32_e32 v6, 31, v25
	v_lshlrev_b32_e32 v24, 25, v0
	v_ashrrev_i32_e32 v3, 31, v3
	v_and_b32_e32 v1, 0xff, v0
	v_xor_b32_e32 v2, vcc_lo, v2
	v_cmp_gt_i32_e32 vcc_lo, 0, v4
	v_not_b32_e32 v4, v5
	v_xor_b32_e32 v6, s10, v6
	v_cmp_gt_i32_e64 s10, 0, v5
	v_and_b32_e32 v2, exec_lo, v2
	v_not_b32_e32 v5, v7
	v_ashrrev_i32_e32 v4, 31, v4
	v_xor_b32_e32 v3, vcc_lo, v3
	v_cmp_gt_i32_e32 vcc_lo, 0, v7
	v_and_b32_e32 v2, v2, v6
	v_not_b32_e32 v6, v23
	v_ashrrev_i32_e32 v5, 31, v5
	v_xor_b32_e32 v4, s10, v4
	v_lshlrev_b32_e32 v0, 24, v0
	v_and_b32_e32 v2, v2, v3
	v_cmp_gt_i32_e64 s10, 0, v23
	v_not_b32_e32 v3, v24
	v_ashrrev_i32_e32 v6, 31, v6
	v_xor_b32_e32 v5, vcc_lo, v5
	v_and_b32_e32 v2, v2, v4
	v_cmp_gt_i32_e32 vcc_lo, 0, v24
	v_not_b32_e32 v4, v0
	v_ashrrev_i32_e32 v3, 31, v3
	v_xor_b32_e32 v6, s10, v6
	v_and_b32_e32 v2, v2, v5
	v_lshlrev_b32_e32 v1, 4, v1
	v_cmp_gt_i32_e64 s10, 0, v0
	v_ashrrev_i32_e32 v0, 31, v4
	v_xor_b32_e32 v3, vcc_lo, v3
	v_and_b32_e32 v2, v2, v6
	v_add_lshl_u32 v1, v1, v74, 2
	s_delay_alu instid0(VALU_DEP_4) | instskip(NEXT) | instid1(VALU_DEP_3)
	v_xor_b32_e32 v0, s10, v0
	v_and_b32_e32 v2, v2, v3
	ds_load_b32 v23, v1 offset:64
	v_add_nc_u32_e32 v25, 64, v1
	; wave barrier
	v_and_b32_e32 v0, v2, v0
	s_delay_alu instid0(VALU_DEP_1) | instskip(SKIP_1) | instid1(VALU_DEP_2)
	v_mbcnt_lo_u32_b32 v24, v0, 0
	v_cmp_ne_u32_e64 s10, 0, v0
	v_cmp_eq_u32_e32 vcc_lo, 0, v24
	s_delay_alu instid0(VALU_DEP_2) | instskip(NEXT) | instid1(SALU_CYCLE_1)
	s_and_b32 s22, s10, vcc_lo
	s_and_saveexec_b32 s10, s22
	s_cbranch_execz .LBB335_14
; %bb.13:                               ;   in Loop: Header=BB335_4 Depth=2
	s_waitcnt lgkmcnt(0)
	v_bcnt_u32_b32 v0, v0, v23
	ds_store_b32 v25, v0
.LBB335_14:                             ;   in Loop: Header=BB335_4 Depth=2
	s_or_b32 exec_lo, exec_lo, s10
	v_lshrrev_b64 v[0:1], s16, v[31:32]
	; wave barrier
	s_delay_alu instid0(VALU_DEP_1)
	v_and_b32_e32 v2, 1, v0
	v_lshlrev_b32_e32 v3, 30, v0
	v_lshlrev_b32_e32 v4, 29, v0
	;; [unrolled: 1-line block ×4, first 2 shown]
	v_add_co_u32 v2, s10, v2, -1
	s_delay_alu instid0(VALU_DEP_1)
	v_cndmask_b32_e64 v6, 0, 1, s10
	v_not_b32_e32 v28, v3
	v_cmp_gt_i32_e64 s10, 0, v3
	v_not_b32_e32 v3, v4
	v_lshlrev_b32_e32 v26, 26, v0
	v_cmp_ne_u32_e32 vcc_lo, 0, v6
	v_ashrrev_i32_e32 v6, 31, v28
	v_lshlrev_b32_e32 v27, 25, v0
	v_ashrrev_i32_e32 v3, 31, v3
	v_and_b32_e32 v1, 0xff, v0
	v_xor_b32_e32 v2, vcc_lo, v2
	v_cmp_gt_i32_e32 vcc_lo, 0, v4
	v_not_b32_e32 v4, v5
	v_xor_b32_e32 v6, s10, v6
	v_cmp_gt_i32_e64 s10, 0, v5
	v_and_b32_e32 v2, exec_lo, v2
	v_not_b32_e32 v5, v7
	v_ashrrev_i32_e32 v4, 31, v4
	v_xor_b32_e32 v3, vcc_lo, v3
	v_cmp_gt_i32_e32 vcc_lo, 0, v7
	v_and_b32_e32 v2, v2, v6
	v_not_b32_e32 v6, v26
	v_ashrrev_i32_e32 v5, 31, v5
	v_xor_b32_e32 v4, s10, v4
	v_lshlrev_b32_e32 v0, 24, v0
	v_and_b32_e32 v2, v2, v3
	v_cmp_gt_i32_e64 s10, 0, v26
	v_not_b32_e32 v3, v27
	v_ashrrev_i32_e32 v6, 31, v6
	v_xor_b32_e32 v5, vcc_lo, v5
	v_and_b32_e32 v2, v2, v4
	v_cmp_gt_i32_e32 vcc_lo, 0, v27
	v_not_b32_e32 v4, v0
	v_ashrrev_i32_e32 v3, 31, v3
	v_xor_b32_e32 v6, s10, v6
	v_and_b32_e32 v2, v2, v5
	v_lshlrev_b32_e32 v1, 4, v1
	v_cmp_gt_i32_e64 s10, 0, v0
	v_ashrrev_i32_e32 v0, 31, v4
	v_xor_b32_e32 v3, vcc_lo, v3
	v_and_b32_e32 v2, v2, v6
	v_add_lshl_u32 v1, v1, v74, 2
	s_delay_alu instid0(VALU_DEP_4) | instskip(NEXT) | instid1(VALU_DEP_3)
	v_xor_b32_e32 v0, s10, v0
	v_and_b32_e32 v2, v2, v3
	ds_load_b32 v26, v1 offset:64
	v_add_nc_u32_e32 v28, 64, v1
	; wave barrier
	v_and_b32_e32 v0, v2, v0
	s_delay_alu instid0(VALU_DEP_1) | instskip(SKIP_1) | instid1(VALU_DEP_2)
	v_mbcnt_lo_u32_b32 v27, v0, 0
	v_cmp_ne_u32_e64 s10, 0, v0
	v_cmp_eq_u32_e32 vcc_lo, 0, v27
	s_delay_alu instid0(VALU_DEP_2) | instskip(NEXT) | instid1(SALU_CYCLE_1)
	s_and_b32 s22, s10, vcc_lo
	s_and_saveexec_b32 s10, s22
	s_cbranch_execz .LBB335_16
; %bb.15:                               ;   in Loop: Header=BB335_4 Depth=2
	s_waitcnt lgkmcnt(0)
	v_bcnt_u32_b32 v0, v0, v26
	ds_store_b32 v28, v0
.LBB335_16:                             ;   in Loop: Header=BB335_4 Depth=2
	s_or_b32 exec_lo, exec_lo, s10
	v_lshrrev_b64 v[0:1], s16, v[18:19]
	; wave barrier
	s_delay_alu instid0(VALU_DEP_1)
	v_and_b32_e32 v2, 1, v0
	v_lshlrev_b32_e32 v3, 30, v0
	v_lshlrev_b32_e32 v4, 29, v0
	;; [unrolled: 1-line block ×4, first 2 shown]
	v_add_co_u32 v2, s10, v2, -1
	s_delay_alu instid0(VALU_DEP_1)
	v_cndmask_b32_e64 v6, 0, 1, s10
	v_not_b32_e32 v35, v3
	v_cmp_gt_i32_e64 s10, 0, v3
	v_not_b32_e32 v3, v4
	v_lshlrev_b32_e32 v33, 26, v0
	v_cmp_ne_u32_e32 vcc_lo, 0, v6
	v_ashrrev_i32_e32 v6, 31, v35
	v_lshlrev_b32_e32 v34, 25, v0
	v_ashrrev_i32_e32 v3, 31, v3
	v_and_b32_e32 v1, 0xff, v0
	v_xor_b32_e32 v2, vcc_lo, v2
	v_cmp_gt_i32_e32 vcc_lo, 0, v4
	v_not_b32_e32 v4, v5
	v_xor_b32_e32 v6, s10, v6
	v_cmp_gt_i32_e64 s10, 0, v5
	v_and_b32_e32 v2, exec_lo, v2
	v_not_b32_e32 v5, v7
	v_ashrrev_i32_e32 v4, 31, v4
	v_xor_b32_e32 v3, vcc_lo, v3
	v_cmp_gt_i32_e32 vcc_lo, 0, v7
	v_and_b32_e32 v2, v2, v6
	v_not_b32_e32 v6, v33
	v_ashrrev_i32_e32 v5, 31, v5
	v_xor_b32_e32 v4, s10, v4
	v_lshlrev_b32_e32 v0, 24, v0
	v_and_b32_e32 v2, v2, v3
	v_cmp_gt_i32_e64 s10, 0, v33
	v_not_b32_e32 v3, v34
	v_ashrrev_i32_e32 v6, 31, v6
	v_xor_b32_e32 v5, vcc_lo, v5
	v_and_b32_e32 v2, v2, v4
	v_cmp_gt_i32_e32 vcc_lo, 0, v34
	v_not_b32_e32 v4, v0
	v_ashrrev_i32_e32 v3, 31, v3
	v_xor_b32_e32 v6, s10, v6
	v_and_b32_e32 v2, v2, v5
	v_lshlrev_b32_e32 v1, 4, v1
	v_cmp_gt_i32_e64 s10, 0, v0
	v_ashrrev_i32_e32 v0, 31, v4
	v_xor_b32_e32 v3, vcc_lo, v3
	v_and_b32_e32 v2, v2, v6
	v_add_lshl_u32 v1, v1, v74, 2
	s_delay_alu instid0(VALU_DEP_4) | instskip(NEXT) | instid1(VALU_DEP_3)
	v_xor_b32_e32 v0, s10, v0
	v_and_b32_e32 v2, v2, v3
	ds_load_b32 v33, v1 offset:64
	v_add_nc_u32_e32 v35, 64, v1
	; wave barrier
	v_and_b32_e32 v0, v2, v0
	s_delay_alu instid0(VALU_DEP_1) | instskip(SKIP_1) | instid1(VALU_DEP_2)
	v_mbcnt_lo_u32_b32 v34, v0, 0
	v_cmp_ne_u32_e64 s10, 0, v0
	v_cmp_eq_u32_e32 vcc_lo, 0, v34
	s_delay_alu instid0(VALU_DEP_2) | instskip(NEXT) | instid1(SALU_CYCLE_1)
	s_and_b32 s22, s10, vcc_lo
	s_and_saveexec_b32 s10, s22
	s_cbranch_execz .LBB335_18
; %bb.17:                               ;   in Loop: Header=BB335_4 Depth=2
	s_waitcnt lgkmcnt(0)
	v_bcnt_u32_b32 v0, v0, v33
	ds_store_b32 v35, v0
.LBB335_18:                             ;   in Loop: Header=BB335_4 Depth=2
	s_or_b32 exec_lo, exec_lo, s10
	v_lshrrev_b64 v[0:1], s16, v[16:17]
	; wave barrier
	s_delay_alu instid0(VALU_DEP_1)
	v_and_b32_e32 v2, 1, v0
	v_lshlrev_b32_e32 v3, 30, v0
	v_lshlrev_b32_e32 v4, 29, v0
	;; [unrolled: 1-line block ×4, first 2 shown]
	v_add_co_u32 v2, s10, v2, -1
	s_delay_alu instid0(VALU_DEP_1)
	v_cndmask_b32_e64 v6, 0, 1, s10
	v_not_b32_e32 v46, v3
	v_cmp_gt_i32_e64 s10, 0, v3
	v_not_b32_e32 v3, v4
	v_lshlrev_b32_e32 v36, 26, v0
	v_cmp_ne_u32_e32 vcc_lo, 0, v6
	v_ashrrev_i32_e32 v6, 31, v46
	v_lshlrev_b32_e32 v45, 25, v0
	v_ashrrev_i32_e32 v3, 31, v3
	v_and_b32_e32 v1, 0xff, v0
	v_xor_b32_e32 v2, vcc_lo, v2
	v_cmp_gt_i32_e32 vcc_lo, 0, v4
	v_not_b32_e32 v4, v5
	v_xor_b32_e32 v6, s10, v6
	v_cmp_gt_i32_e64 s10, 0, v5
	v_and_b32_e32 v2, exec_lo, v2
	v_not_b32_e32 v5, v7
	v_ashrrev_i32_e32 v4, 31, v4
	v_xor_b32_e32 v3, vcc_lo, v3
	v_cmp_gt_i32_e32 vcc_lo, 0, v7
	v_and_b32_e32 v2, v2, v6
	v_not_b32_e32 v6, v36
	v_ashrrev_i32_e32 v5, 31, v5
	v_xor_b32_e32 v4, s10, v4
	v_lshlrev_b32_e32 v0, 24, v0
	v_and_b32_e32 v2, v2, v3
	v_cmp_gt_i32_e64 s10, 0, v36
	v_not_b32_e32 v3, v45
	v_ashrrev_i32_e32 v6, 31, v6
	v_xor_b32_e32 v5, vcc_lo, v5
	v_and_b32_e32 v2, v2, v4
	v_cmp_gt_i32_e32 vcc_lo, 0, v45
	v_not_b32_e32 v4, v0
	v_ashrrev_i32_e32 v3, 31, v3
	v_xor_b32_e32 v6, s10, v6
	v_and_b32_e32 v2, v2, v5
	v_lshlrev_b32_e32 v1, 4, v1
	v_cmp_gt_i32_e64 s10, 0, v0
	v_ashrrev_i32_e32 v0, 31, v4
	v_xor_b32_e32 v3, vcc_lo, v3
	v_and_b32_e32 v2, v2, v6
	v_add_lshl_u32 v1, v1, v74, 2
	s_delay_alu instid0(VALU_DEP_4) | instskip(NEXT) | instid1(VALU_DEP_3)
	v_xor_b32_e32 v0, s10, v0
	v_and_b32_e32 v2, v2, v3
	ds_load_b32 v36, v1 offset:64
	v_add_nc_u32_e32 v46, 64, v1
	; wave barrier
	v_and_b32_e32 v0, v2, v0
	s_delay_alu instid0(VALU_DEP_1) | instskip(SKIP_1) | instid1(VALU_DEP_2)
	v_mbcnt_lo_u32_b32 v45, v0, 0
	v_cmp_ne_u32_e64 s10, 0, v0
	v_cmp_eq_u32_e32 vcc_lo, 0, v45
	s_delay_alu instid0(VALU_DEP_2) | instskip(NEXT) | instid1(SALU_CYCLE_1)
	s_and_b32 s22, s10, vcc_lo
	s_and_saveexec_b32 s10, s22
	s_cbranch_execz .LBB335_20
; %bb.19:                               ;   in Loop: Header=BB335_4 Depth=2
	s_waitcnt lgkmcnt(0)
	v_bcnt_u32_b32 v0, v0, v36
	ds_store_b32 v46, v0
.LBB335_20:                             ;   in Loop: Header=BB335_4 Depth=2
	s_or_b32 exec_lo, exec_lo, s10
	; wave barrier
	s_waitcnt lgkmcnt(0)
	s_barrier
	buffer_gl0_inv
	ds_load_2addr_b64 v[4:7], v66 offset0:8 offset1:9
	ds_load_2addr_b64 v[0:3], v67 offset0:2 offset1:3
	s_waitcnt lgkmcnt(1)
	v_add_nc_u32_e32 v47, v5, v4
	s_delay_alu instid0(VALU_DEP_1) | instskip(SKIP_1) | instid1(VALU_DEP_1)
	v_add3_u32 v47, v47, v6, v7
	s_waitcnt lgkmcnt(0)
	v_add3_u32 v47, v47, v0, v1
	s_delay_alu instid0(VALU_DEP_1) | instskip(NEXT) | instid1(VALU_DEP_1)
	v_add3_u32 v3, v47, v2, v3
	v_mov_b32_dpp v47, v3 row_shr:1 row_mask:0xf bank_mask:0xf
	s_delay_alu instid0(VALU_DEP_1) | instskip(NEXT) | instid1(VALU_DEP_1)
	v_cndmask_b32_e64 v47, v47, 0, s1
	v_add_nc_u32_e32 v3, v47, v3
	s_delay_alu instid0(VALU_DEP_1) | instskip(NEXT) | instid1(VALU_DEP_1)
	v_mov_b32_dpp v47, v3 row_shr:2 row_mask:0xf bank_mask:0xf
	v_cndmask_b32_e64 v47, 0, v47, s2
	s_delay_alu instid0(VALU_DEP_1) | instskip(NEXT) | instid1(VALU_DEP_1)
	v_add_nc_u32_e32 v3, v3, v47
	v_mov_b32_dpp v47, v3 row_shr:4 row_mask:0xf bank_mask:0xf
	s_delay_alu instid0(VALU_DEP_1) | instskip(NEXT) | instid1(VALU_DEP_1)
	v_cndmask_b32_e64 v47, 0, v47, s3
	v_add_nc_u32_e32 v3, v3, v47
	s_delay_alu instid0(VALU_DEP_1) | instskip(NEXT) | instid1(VALU_DEP_1)
	v_mov_b32_dpp v47, v3 row_shr:8 row_mask:0xf bank_mask:0xf
	v_cndmask_b32_e64 v47, 0, v47, s4
	s_delay_alu instid0(VALU_DEP_1) | instskip(SKIP_3) | instid1(VALU_DEP_1)
	v_add_nc_u32_e32 v3, v3, v47
	ds_swizzle_b32 v47, v3 offset:swizzle(BROADCAST,32,15)
	s_waitcnt lgkmcnt(0)
	v_cndmask_b32_e64 v47, v47, 0, s5
	v_add_nc_u32_e32 v3, v3, v47
	s_and_saveexec_b32 s10, s9
	s_cbranch_execz .LBB335_22
; %bb.21:                               ;   in Loop: Header=BB335_4 Depth=2
	ds_store_b32 v69, v3
.LBB335_22:                             ;   in Loop: Header=BB335_4 Depth=2
	s_or_b32 exec_lo, exec_lo, s10
	s_waitcnt lgkmcnt(0)
	s_barrier
	buffer_gl0_inv
	s_and_saveexec_b32 s10, s6
	s_cbranch_execz .LBB335_24
; %bb.23:                               ;   in Loop: Header=BB335_4 Depth=2
	ds_load_b32 v47, v70
	s_waitcnt lgkmcnt(0)
	v_mov_b32_dpp v48, v47 row_shr:1 row_mask:0xf bank_mask:0xf
	s_delay_alu instid0(VALU_DEP_1) | instskip(NEXT) | instid1(VALU_DEP_1)
	v_cndmask_b32_e64 v48, v48, 0, s1
	v_add_nc_u32_e32 v47, v48, v47
	s_delay_alu instid0(VALU_DEP_1) | instskip(NEXT) | instid1(VALU_DEP_1)
	v_mov_b32_dpp v48, v47 row_shr:2 row_mask:0xf bank_mask:0xf
	v_cndmask_b32_e64 v48, 0, v48, s2
	s_delay_alu instid0(VALU_DEP_1) | instskip(NEXT) | instid1(VALU_DEP_1)
	v_add_nc_u32_e32 v47, v47, v48
	v_mov_b32_dpp v48, v47 row_shr:4 row_mask:0xf bank_mask:0xf
	s_delay_alu instid0(VALU_DEP_1) | instskip(NEXT) | instid1(VALU_DEP_1)
	v_cndmask_b32_e64 v48, 0, v48, s3
	v_add_nc_u32_e32 v47, v47, v48
	s_delay_alu instid0(VALU_DEP_1) | instskip(NEXT) | instid1(VALU_DEP_1)
	v_mov_b32_dpp v48, v47 row_shr:8 row_mask:0xf bank_mask:0xf
	v_cndmask_b32_e64 v48, 0, v48, s4
	s_delay_alu instid0(VALU_DEP_1)
	v_add_nc_u32_e32 v47, v47, v48
	ds_store_b32 v70, v47
.LBB335_24:                             ;   in Loop: Header=BB335_4 Depth=2
	s_or_b32 exec_lo, exec_lo, s10
	v_mov_b32_e32 v47, 0
	s_waitcnt lgkmcnt(0)
	s_barrier
	buffer_gl0_inv
	s_and_saveexec_b32 s10, s7
	s_cbranch_execz .LBB335_26
; %bb.25:                               ;   in Loop: Header=BB335_4 Depth=2
	ds_load_b32 v47, v73
.LBB335_26:                             ;   in Loop: Header=BB335_4 Depth=2
	s_or_b32 exec_lo, exec_lo, s10
	s_waitcnt lgkmcnt(0)
	v_add_nc_u32_e32 v3, v47, v3
	s_cmp_gt_u32 s16, 55
	ds_bpermute_b32 v3, v68, v3
	s_waitcnt lgkmcnt(0)
	v_cndmask_b32_e64 v3, v3, v47, s0
	s_delay_alu instid0(VALU_DEP_1) | instskip(NEXT) | instid1(VALU_DEP_1)
	v_cndmask_b32_e64 v3, v3, 0, s8
	v_add_nc_u32_e32 v4, v3, v4
	s_delay_alu instid0(VALU_DEP_1) | instskip(NEXT) | instid1(VALU_DEP_1)
	v_add_nc_u32_e32 v5, v4, v5
	v_add_nc_u32_e32 v6, v5, v6
	s_delay_alu instid0(VALU_DEP_1) | instskip(NEXT) | instid1(VALU_DEP_1)
	v_add_nc_u32_e32 v47, v6, v7
	;; [unrolled: 3-line block ×3, first 2 shown]
	v_add_nc_u32_e32 v1, v0, v2
	ds_store_2addr_b64 v66, v[3:4], v[5:6] offset0:8 offset1:9
	ds_store_2addr_b64 v67, v[47:48], v[0:1] offset0:2 offset1:3
	s_waitcnt lgkmcnt(0)
	s_barrier
	buffer_gl0_inv
	ds_load_b32 v0, v9
	ds_load_b32 v1, v12
	;; [unrolled: 1-line block ×8, first 2 shown]
	s_waitcnt lgkmcnt(7)
	v_add_nc_u32_e32 v82, v0, v8
	s_waitcnt lgkmcnt(6)
	v_add3_u32 v81, v11, v10, v1
	s_waitcnt lgkmcnt(5)
	v_add3_u32 v80, v14, v13, v2
	s_waitcnt lgkmcnt(4)
	v_add3_u32 v79, v21, v20, v3
	s_waitcnt lgkmcnt(3)
	v_add3_u32 v78, v24, v23, v4
	s_waitcnt lgkmcnt(2)
	v_add3_u32 v77, v27, v26, v5
	s_waitcnt lgkmcnt(1)
	v_add3_u32 v76, v34, v33, v6
	s_waitcnt lgkmcnt(0)
	v_add3_u32 v20, v45, v36, v7
	s_cbranch_scc0 .LBB335_3
; %bb.27:                               ;   in Loop: Header=BB335_2 Depth=1
                                        ; implicit-def: $vgpr47_vgpr48
                                        ; implicit-def: $vgpr35_vgpr36
                                        ; implicit-def: $vgpr27_vgpr28
                                        ; implicit-def: $vgpr23_vgpr24
                                        ; implicit-def: $vgpr14_vgpr15
                                        ; implicit-def: $vgpr10_vgpr11
                                        ; implicit-def: $vgpr6_vgpr7
                                        ; implicit-def: $vgpr2_vgpr3
                                        ; implicit-def: $sgpr16_sgpr17
	s_branch .LBB335_1
.LBB335_28:
	s_waitcnt lgkmcnt(3)
	v_add_co_u32 v13, vcc_lo, v13, v41
	v_add_co_ci_u32_e32 v14, vcc_lo, v14, v42, vcc_lo
	v_add_co_u32 v15, vcc_lo, v15, v43
	v_add_co_ci_u32_e32 v16, vcc_lo, v16, v44, vcc_lo
	s_waitcnt lgkmcnt(2)
	v_add_co_u32 v9, vcc_lo, v9, v37
	v_add_co_ci_u32_e32 v10, vcc_lo, v10, v38, vcc_lo
	v_add_co_u32 v11, vcc_lo, v11, v39
	v_add_co_ci_u32_e32 v12, vcc_lo, v12, v40, vcc_lo
	;; [unrolled: 5-line block ×3, first 2 shown]
	s_add_u32 s0, s18, s12
	s_waitcnt lgkmcnt(0)
	v_add_co_u32 v0, vcc_lo, v1, v17
	s_addc_u32 s1, s19, s13
	v_add_co_u32 v23, s2, s0, v65
	v_add_co_ci_u32_e32 v1, vcc_lo, v2, v18, vcc_lo
	v_add_co_ci_u32_e64 v24, null, s1, 0, s2
	v_add_co_u32 v2, vcc_lo, v3, v19
	v_add_co_ci_u32_e32 v3, vcc_lo, v4, v20, vcc_lo
	v_add_co_u32 v17, vcc_lo, v23, 0x2000
	s_delay_alu instid0(VALU_DEP_4)
	v_add_co_ci_u32_e32 v18, vcc_lo, 0, v24, vcc_lo
	v_add_co_u32 v19, vcc_lo, v23, 0x4000
	v_add_co_ci_u32_e32 v20, vcc_lo, 0, v24, vcc_lo
	v_add_co_u32 v21, vcc_lo, v23, 0x6000
	;; [unrolled: 2-line block ×3, first 2 shown]
	v_add_co_ci_u32_e32 v24, vcc_lo, 0, v24, vcc_lo
	s_clause 0x7
	global_store_b64 v65, v[13:14], s[0:1]
	global_store_b64 v[17:18], v[9:10], off
	global_store_b64 v[19:20], v[11:12], off offset:-4096
	global_store_b64 v[19:20], v[5:6], off
	global_store_b64 v[21:22], v[7:8], off offset:-4096
	;; [unrolled: 2-line block ×3, first 2 shown]
	global_store_b64 v[23:24], v[2:3], off
	s_nop 0
	s_sendmsg sendmsg(MSG_DEALLOC_VGPRS)
	s_endpgm
	.section	.rodata,"a",@progbits
	.p2align	6, 0x0
	.amdhsa_kernel _Z17sort_pairs_kernelI22helper_blocked_stripedxLj512ELj8ELj10EEvPKT0_PS1_
		.amdhsa_group_segment_fixed_size 32768
		.amdhsa_private_segment_fixed_size 0
		.amdhsa_kernarg_size 272
		.amdhsa_user_sgpr_count 15
		.amdhsa_user_sgpr_dispatch_ptr 0
		.amdhsa_user_sgpr_queue_ptr 0
		.amdhsa_user_sgpr_kernarg_segment_ptr 1
		.amdhsa_user_sgpr_dispatch_id 0
		.amdhsa_user_sgpr_private_segment_size 0
		.amdhsa_wavefront_size32 1
		.amdhsa_uses_dynamic_stack 0
		.amdhsa_enable_private_segment 0
		.amdhsa_system_sgpr_workgroup_id_x 1
		.amdhsa_system_sgpr_workgroup_id_y 0
		.amdhsa_system_sgpr_workgroup_id_z 0
		.amdhsa_system_sgpr_workgroup_info 0
		.amdhsa_system_vgpr_workitem_id 2
		.amdhsa_next_free_vgpr 83
		.amdhsa_next_free_sgpr 23
		.amdhsa_reserve_vcc 1
		.amdhsa_float_round_mode_32 0
		.amdhsa_float_round_mode_16_64 0
		.amdhsa_float_denorm_mode_32 3
		.amdhsa_float_denorm_mode_16_64 3
		.amdhsa_dx10_clamp 1
		.amdhsa_ieee_mode 1
		.amdhsa_fp16_overflow 0
		.amdhsa_workgroup_processor_mode 1
		.amdhsa_memory_ordered 1
		.amdhsa_forward_progress 0
		.amdhsa_shared_vgpr_count 0
		.amdhsa_exception_fp_ieee_invalid_op 0
		.amdhsa_exception_fp_denorm_src 0
		.amdhsa_exception_fp_ieee_div_zero 0
		.amdhsa_exception_fp_ieee_overflow 0
		.amdhsa_exception_fp_ieee_underflow 0
		.amdhsa_exception_fp_ieee_inexact 0
		.amdhsa_exception_int_div_zero 0
	.end_amdhsa_kernel
	.section	.text._Z17sort_pairs_kernelI22helper_blocked_stripedxLj512ELj8ELj10EEvPKT0_PS1_,"axG",@progbits,_Z17sort_pairs_kernelI22helper_blocked_stripedxLj512ELj8ELj10EEvPKT0_PS1_,comdat
.Lfunc_end335:
	.size	_Z17sort_pairs_kernelI22helper_blocked_stripedxLj512ELj8ELj10EEvPKT0_PS1_, .Lfunc_end335-_Z17sort_pairs_kernelI22helper_blocked_stripedxLj512ELj8ELj10EEvPKT0_PS1_
                                        ; -- End function
	.section	.AMDGPU.csdata,"",@progbits
; Kernel info:
; codeLenInByte = 5172
; NumSgprs: 25
; NumVgprs: 83
; ScratchSize: 0
; MemoryBound: 0
; FloatMode: 240
; IeeeMode: 1
; LDSByteSize: 32768 bytes/workgroup (compile time only)
; SGPRBlocks: 3
; VGPRBlocks: 10
; NumSGPRsForWavesPerEU: 25
; NumVGPRsForWavesPerEU: 83
; Occupancy: 16
; WaveLimiterHint : 1
; COMPUTE_PGM_RSRC2:SCRATCH_EN: 0
; COMPUTE_PGM_RSRC2:USER_SGPR: 15
; COMPUTE_PGM_RSRC2:TRAP_HANDLER: 0
; COMPUTE_PGM_RSRC2:TGID_X_EN: 1
; COMPUTE_PGM_RSRC2:TGID_Y_EN: 0
; COMPUTE_PGM_RSRC2:TGID_Z_EN: 0
; COMPUTE_PGM_RSRC2:TIDIG_COMP_CNT: 2
	.section	.text._Z16sort_keys_kernelI22helper_blocked_stripedN15benchmark_utils11custom_typeIiiEELj64ELj1ELj10EEvPKT0_PS4_,"axG",@progbits,_Z16sort_keys_kernelI22helper_blocked_stripedN15benchmark_utils11custom_typeIiiEELj64ELj1ELj10EEvPKT0_PS4_,comdat
	.protected	_Z16sort_keys_kernelI22helper_blocked_stripedN15benchmark_utils11custom_typeIiiEELj64ELj1ELj10EEvPKT0_PS4_ ; -- Begin function _Z16sort_keys_kernelI22helper_blocked_stripedN15benchmark_utils11custom_typeIiiEELj64ELj1ELj10EEvPKT0_PS4_
	.globl	_Z16sort_keys_kernelI22helper_blocked_stripedN15benchmark_utils11custom_typeIiiEELj64ELj1ELj10EEvPKT0_PS4_
	.p2align	8
	.type	_Z16sort_keys_kernelI22helper_blocked_stripedN15benchmark_utils11custom_typeIiiEELj64ELj1ELj10EEvPKT0_PS4_,@function
_Z16sort_keys_kernelI22helper_blocked_stripedN15benchmark_utils11custom_typeIiiEELj64ELj1ELj10EEvPKT0_PS4_: ; @_Z16sort_keys_kernelI22helper_blocked_stripedN15benchmark_utils11custom_typeIiiEELj64ELj1ELj10EEvPKT0_PS4_
; %bb.0:
	s_clause 0x1
	s_load_b128 s[16:19], s[0:1], 0x0
	s_load_b32 s9, s[0:1], 0x1c
	s_mov_b32 s21, 0
	s_lshl_b32 s20, s15, 6
	v_mbcnt_lo_u32_b32 v5, -1, 0
	s_lshl_b64 s[14:15], s[20:21], 3
	v_bfe_u32 v3, v0, 10, 10
	s_mov_b32 s20, s21
	s_mov_b32 s13, 10
	v_and_b32_e32 v6, 16, v5
	v_add_nc_u32_e32 v7, -1, v5
	v_dual_mov_b32 v11, s20 :: v_dual_and_b32 v4, 15, v5
	v_dual_mov_b32 v12, s21 :: v_dual_and_b32 v13, 1, v5
	s_delay_alu instid0(VALU_DEP_4) | instskip(NEXT) | instid1(VALU_DEP_4)
	v_cmp_eq_u32_e64 s4, 0, v6
	v_cmp_gt_i32_e64 s7, 0, v7
	s_delay_alu instid0(VALU_DEP_4)
	v_cmp_lt_u32_e64 s2, 3, v4
	v_cmp_lt_u32_e64 s3, 7, v4
	v_cmp_eq_u32_e64 s8, 0, v13
	s_waitcnt lgkmcnt(0)
	s_add_u32 s0, s16, s14
	s_addc_u32 s1, s17, s15
	s_mov_b32 s16, s21
	s_mov_b32 s17, s21
	v_dual_mov_b32 v9, s16 :: v_dual_and_b32 v8, 0x3ff, v0
	v_mov_b32_e32 v10, s17
	v_bfe_u32 v0, v0, 20, 10
	s_lshr_b32 s10, s9, 16
	s_delay_alu instid0(VALU_DEP_3)
	v_lshlrev_b32_e32 v1, 3, v8
	v_lshlrev_b32_e32 v15, 5, v8
	v_and_b32_e32 v6, 32, v8
	v_mad_u32_u24 v0, v0, s10, v3
	v_lshrrev_b32_e32 v14, 3, v8
	global_load_b64 v[1:2], v1, s[0:1]
	s_and_b32 s9, s9, 0xffff
	v_cmp_eq_u32_e64 s0, 0, v4
	v_cmp_lt_u32_e64 s1, 1, v4
	v_mad_u64_u32 v[3:4], null, v0, s9, v[8:9]
	v_cndmask_b32_e64 v7, v7, v5, s7
	v_lshlrev_b32_e32 v23, 2, v8
	v_or_b32_e32 v13, 31, v6
	v_and_b32_e32 v17, 4, v14
	v_or_b32_e32 v0, v5, v6
	v_mad_i32_i24 v19, 0xffffffe4, v8, v15
	v_cmp_eq_u32_e32 vcc_lo, 0, v5
	v_cmp_gt_u32_e64 s5, 2, v8
	v_cmp_lt_u32_e64 s6, 31, v8
	v_cmp_eq_u32_e64 s7, 0, v8
	v_or_b32_e32 v16, 8, v15
	v_lshlrev_b32_e32 v18, 2, v7
	v_cmp_eq_u32_e64 s9, v13, v8
	v_add_nc_u32_e32 v20, -4, v17
	v_lshlrev_b32_e32 v21, 3, v0
	v_lshrrev_b32_e32 v22, 5, v3
	v_add_nc_u32_e32 v23, v19, v23
	s_waitcnt vmcnt(0)
	v_xor_b32_e32 v13, 0x80000000, v1
	v_xor_b32_e32 v14, 0x80000000, v2
	s_branch .LBB336_2
.LBB336_1:                              ;   in Loop: Header=BB336_2 Depth=1
	s_or_b32 exec_lo, exec_lo, s10
	s_waitcnt lgkmcnt(0)
	v_add_nc_u32_e32 v3, v26, v3
	s_add_i32 s13, s13, -1
	s_delay_alu instid0(SALU_CYCLE_1) | instskip(SKIP_3) | instid1(VALU_DEP_1)
	s_cmp_eq_u32 s13, 0
	ds_bpermute_b32 v3, v18, v3
	s_waitcnt lgkmcnt(0)
	v_cndmask_b32_e32 v3, v3, v26, vcc_lo
	v_cndmask_b32_e64 v3, v3, 0, s7
	s_delay_alu instid0(VALU_DEP_1) | instskip(NEXT) | instid1(VALU_DEP_1)
	v_add_nc_u32_e32 v4, v3, v4
	v_add_nc_u32_e32 v5, v4, v5
	s_delay_alu instid0(VALU_DEP_1) | instskip(NEXT) | instid1(VALU_DEP_1)
	v_add_nc_u32_e32 v6, v5, v6
	v_add_nc_u32_e32 v26, v6, v7
	;; [unrolled: 3-line block ×3, first 2 shown]
	s_delay_alu instid0(VALU_DEP_1)
	v_add_nc_u32_e32 v1, v0, v2
	ds_store_2addr_b64 v15, v[3:4], v[5:6] offset0:1 offset1:2
	ds_store_2addr_b64 v16, v[26:27], v[0:1] offset0:2 offset1:3
	s_waitcnt lgkmcnt(0)
	s_barrier
	buffer_gl0_inv
	ds_load_b32 v0, v25
	v_lshlrev_b32_e32 v1, 3, v24
	s_waitcnt lgkmcnt(0)
	s_barrier
	buffer_gl0_inv
	v_lshl_add_u32 v0, v0, 3, v1
	ds_store_b64 v0, v[13:14]
	s_waitcnt lgkmcnt(0)
	s_barrier
	buffer_gl0_inv
	ds_load_b64 v[13:14], v23
	s_cbranch_scc1 .LBB336_66
.LBB336_2:                              ; =>This Inner Loop Header: Depth=1
	s_waitcnt lgkmcnt(0)
	s_delay_alu instid0(VALU_DEP_1)
	v_and_b32_e32 v0, 1, v14
	v_lshlrev_b32_e32 v1, 30, v14
	v_lshlrev_b32_e32 v2, 29, v14
	;; [unrolled: 1-line block ×4, first 2 shown]
	v_add_co_u32 v0, s10, v0, -1
	s_delay_alu instid0(VALU_DEP_1)
	v_cndmask_b32_e64 v3, 0, 1, s10
	v_not_b32_e32 v7, v1
	v_cmp_gt_i32_e64 s11, 0, v1
	v_not_b32_e32 v1, v2
	v_lshlrev_b32_e32 v6, 26, v14
	v_cmp_ne_u32_e64 s10, 0, v3
	v_ashrrev_i32_e32 v7, 31, v7
	v_lshlrev_b32_e32 v3, 25, v14
	v_ashrrev_i32_e32 v1, 31, v1
	v_cmp_gt_i32_e64 s12, 0, v5
	v_xor_b32_e32 v0, s10, v0
	v_cmp_gt_i32_e64 s10, 0, v2
	v_not_b32_e32 v2, v4
	v_xor_b32_e32 v7, s11, v7
	v_cmp_gt_i32_e64 s11, 0, v4
	v_and_b32_e32 v0, exec_lo, v0
	v_xor_b32_e32 v1, s10, v1
	v_ashrrev_i32_e32 v2, 31, v2
	v_not_b32_e32 v4, v5
	v_not_b32_e32 v5, v6
	v_and_b32_e32 v0, v0, v7
	v_cmp_gt_i32_e64 s10, 0, v6
	v_xor_b32_e32 v2, s11, v2
	v_not_b32_e32 v6, v3
	ds_store_2addr_b64 v15, v[11:12], v[9:10] offset0:1 offset1:2
	ds_store_2addr_b64 v16, v[11:12], v[9:10] offset0:2 offset1:3
	v_and_b32_e32 v0, v0, v1
	v_ashrrev_i32_e32 v1, 31, v4
	v_ashrrev_i32_e32 v4, 31, v5
	v_lshlrev_b32_e32 v5, 24, v14
	s_waitcnt lgkmcnt(0)
	v_and_b32_e32 v0, v0, v2
	v_xor_b32_e32 v1, s12, v1
	v_xor_b32_e32 v2, s10, v4
	v_cmp_gt_i32_e64 s10, 0, v3
	v_not_b32_e32 v3, v5
	v_ashrrev_i32_e32 v4, 31, v6
	v_and_b32_e32 v0, v0, v1
	v_cmp_gt_i32_e64 s11, 0, v5
	s_barrier
	v_ashrrev_i32_e32 v1, 31, v3
	v_xor_b32_e32 v3, s10, v4
	v_and_b32_e32 v0, v0, v2
	buffer_gl0_inv
	v_xor_b32_e32 v1, s11, v1
	; wave barrier
	v_and_b32_e32 v0, v0, v3
	s_delay_alu instid0(VALU_DEP_1) | instskip(SKIP_1) | instid1(VALU_DEP_2)
	v_and_b32_e32 v0, v0, v1
	v_and_b32_e32 v1, 0xff, v14
	v_mbcnt_lo_u32_b32 v24, v0, 0
	s_delay_alu instid0(VALU_DEP_2) | instskip(SKIP_1) | instid1(VALU_DEP_3)
	v_lshl_add_u32 v1, v1, 1, v22
	v_cmp_ne_u32_e64 s11, 0, v0
	v_cmp_eq_u32_e64 s10, 0, v24
	s_delay_alu instid0(VALU_DEP_3) | instskip(NEXT) | instid1(VALU_DEP_2)
	v_lshl_add_u32 v25, v1, 2, 8
	s_and_b32 s11, s11, s10
	s_delay_alu instid0(SALU_CYCLE_1)
	s_and_saveexec_b32 s10, s11
	s_cbranch_execz .LBB336_4
; %bb.3:                                ;   in Loop: Header=BB336_2 Depth=1
	v_bcnt_u32_b32 v0, v0, 0
	ds_store_b32 v25, v0
.LBB336_4:                              ;   in Loop: Header=BB336_2 Depth=1
	s_or_b32 exec_lo, exec_lo, s10
	; wave barrier
	s_waitcnt lgkmcnt(0)
	s_barrier
	buffer_gl0_inv
	ds_load_2addr_b64 v[4:7], v15 offset0:1 offset1:2
	ds_load_2addr_b64 v[0:3], v16 offset0:2 offset1:3
	s_waitcnt lgkmcnt(1)
	v_add_nc_u32_e32 v26, v5, v4
	s_delay_alu instid0(VALU_DEP_1) | instskip(SKIP_1) | instid1(VALU_DEP_1)
	v_add3_u32 v26, v26, v6, v7
	s_waitcnt lgkmcnt(0)
	v_add3_u32 v26, v26, v0, v1
	s_delay_alu instid0(VALU_DEP_1) | instskip(NEXT) | instid1(VALU_DEP_1)
	v_add3_u32 v3, v26, v2, v3
	v_mov_b32_dpp v26, v3 row_shr:1 row_mask:0xf bank_mask:0xf
	s_delay_alu instid0(VALU_DEP_1) | instskip(NEXT) | instid1(VALU_DEP_1)
	v_cndmask_b32_e64 v26, v26, 0, s0
	v_add_nc_u32_e32 v3, v26, v3
	s_delay_alu instid0(VALU_DEP_1) | instskip(NEXT) | instid1(VALU_DEP_1)
	v_mov_b32_dpp v26, v3 row_shr:2 row_mask:0xf bank_mask:0xf
	v_cndmask_b32_e64 v26, 0, v26, s1
	s_delay_alu instid0(VALU_DEP_1) | instskip(NEXT) | instid1(VALU_DEP_1)
	v_add_nc_u32_e32 v3, v3, v26
	v_mov_b32_dpp v26, v3 row_shr:4 row_mask:0xf bank_mask:0xf
	s_delay_alu instid0(VALU_DEP_1) | instskip(NEXT) | instid1(VALU_DEP_1)
	v_cndmask_b32_e64 v26, 0, v26, s2
	v_add_nc_u32_e32 v3, v3, v26
	s_delay_alu instid0(VALU_DEP_1) | instskip(NEXT) | instid1(VALU_DEP_1)
	v_mov_b32_dpp v26, v3 row_shr:8 row_mask:0xf bank_mask:0xf
	v_cndmask_b32_e64 v26, 0, v26, s3
	s_delay_alu instid0(VALU_DEP_1) | instskip(SKIP_3) | instid1(VALU_DEP_1)
	v_add_nc_u32_e32 v3, v3, v26
	ds_swizzle_b32 v26, v3 offset:swizzle(BROADCAST,32,15)
	s_waitcnt lgkmcnt(0)
	v_cndmask_b32_e64 v26, v26, 0, s4
	v_add_nc_u32_e32 v3, v3, v26
	s_and_saveexec_b32 s10, s9
	s_cbranch_execz .LBB336_6
; %bb.5:                                ;   in Loop: Header=BB336_2 Depth=1
	ds_store_b32 v17, v3
.LBB336_6:                              ;   in Loop: Header=BB336_2 Depth=1
	s_or_b32 exec_lo, exec_lo, s10
	s_waitcnt lgkmcnt(0)
	s_barrier
	buffer_gl0_inv
	s_and_saveexec_b32 s10, s5
	s_cbranch_execz .LBB336_8
; %bb.7:                                ;   in Loop: Header=BB336_2 Depth=1
	ds_load_b32 v26, v19
	s_waitcnt lgkmcnt(0)
	v_mov_b32_dpp v27, v26 row_shr:1 row_mask:0xf bank_mask:0xf
	s_delay_alu instid0(VALU_DEP_1) | instskip(NEXT) | instid1(VALU_DEP_1)
	v_cndmask_b32_e64 v27, v27, 0, s8
	v_add_nc_u32_e32 v26, v27, v26
	ds_store_b32 v19, v26
.LBB336_8:                              ;   in Loop: Header=BB336_2 Depth=1
	s_or_b32 exec_lo, exec_lo, s10
	v_mov_b32_e32 v26, 0
	s_waitcnt lgkmcnt(0)
	s_barrier
	buffer_gl0_inv
	s_and_saveexec_b32 s10, s6
	s_cbranch_execz .LBB336_10
; %bb.9:                                ;   in Loop: Header=BB336_2 Depth=1
	ds_load_b32 v26, v20
.LBB336_10:                             ;   in Loop: Header=BB336_2 Depth=1
	s_or_b32 exec_lo, exec_lo, s10
	s_waitcnt lgkmcnt(0)
	v_add_nc_u32_e32 v3, v26, v3
	ds_bpermute_b32 v3, v18, v3
	s_waitcnt lgkmcnt(0)
	v_cndmask_b32_e32 v3, v3, v26, vcc_lo
	s_delay_alu instid0(VALU_DEP_1) | instskip(NEXT) | instid1(VALU_DEP_1)
	v_cndmask_b32_e64 v3, v3, 0, s7
	v_add_nc_u32_e32 v4, v3, v4
	s_delay_alu instid0(VALU_DEP_1) | instskip(NEXT) | instid1(VALU_DEP_1)
	v_add_nc_u32_e32 v5, v4, v5
	v_add_nc_u32_e32 v6, v5, v6
	s_delay_alu instid0(VALU_DEP_1) | instskip(NEXT) | instid1(VALU_DEP_1)
	v_add_nc_u32_e32 v26, v6, v7
	;; [unrolled: 3-line block ×3, first 2 shown]
	v_add_nc_u32_e32 v1, v0, v2
	ds_store_2addr_b64 v15, v[3:4], v[5:6] offset0:1 offset1:2
	ds_store_2addr_b64 v16, v[26:27], v[0:1] offset0:2 offset1:3
	s_waitcnt lgkmcnt(0)
	s_barrier
	buffer_gl0_inv
	ds_load_b32 v0, v25
	v_lshlrev_b32_e32 v1, 3, v24
	s_waitcnt lgkmcnt(0)
	s_barrier
	buffer_gl0_inv
	v_lshl_add_u32 v0, v0, 3, v1
	ds_store_b64 v0, v[13:14]
	s_waitcnt lgkmcnt(0)
	s_barrier
	buffer_gl0_inv
	ds_load_b64 v[13:14], v21
	s_waitcnt lgkmcnt(0)
	s_barrier
	buffer_gl0_inv
	ds_store_2addr_b64 v15, v[11:12], v[9:10] offset0:1 offset1:2
	ds_store_2addr_b64 v16, v[11:12], v[9:10] offset0:2 offset1:3
	s_waitcnt lgkmcnt(0)
	s_barrier
	buffer_gl0_inv
	; wave barrier
	v_bfe_u32 v0, v14, 8, 1
	v_lshrrev_b32_e32 v1, 8, v14
	s_delay_alu instid0(VALU_DEP_2) | instskip(NEXT) | instid1(VALU_DEP_1)
	v_add_co_u32 v0, s10, v0, -1
	v_cndmask_b32_e64 v2, 0, 1, s10
	s_delay_alu instid0(VALU_DEP_3)
	v_lshlrev_b32_e32 v3, 30, v1
	v_lshlrev_b32_e32 v4, 29, v1
	;; [unrolled: 1-line block ×4, first 2 shown]
	v_cmp_ne_u32_e64 s10, 0, v2
	v_not_b32_e32 v2, v3
	v_cmp_gt_i32_e64 s11, 0, v3
	v_not_b32_e32 v3, v4
	v_lshlrev_b32_e32 v7, 26, v1
	v_xor_b32_e32 v0, s10, v0
	v_ashrrev_i32_e32 v2, 31, v2
	v_cmp_gt_i32_e64 s10, 0, v4
	v_not_b32_e32 v4, v5
	v_ashrrev_i32_e32 v3, 31, v3
	v_and_b32_e32 v0, exec_lo, v0
	v_xor_b32_e32 v2, s11, v2
	v_cmp_gt_i32_e64 s11, 0, v5
	v_not_b32_e32 v5, v6
	v_ashrrev_i32_e32 v4, 31, v4
	v_xor_b32_e32 v3, s10, v3
	v_and_b32_e32 v0, v0, v2
	v_lshlrev_b32_e32 v24, 25, v1
	v_cmp_gt_i32_e64 s10, 0, v6
	v_not_b32_e32 v2, v7
	v_ashrrev_i32_e32 v5, 31, v5
	v_xor_b32_e32 v4, s11, v4
	v_and_b32_e32 v0, v0, v3
	v_lshlrev_b32_e32 v1, 24, v1
	v_cmp_gt_i32_e64 s11, 0, v7
	v_not_b32_e32 v3, v24
	v_ashrrev_i32_e32 v2, 31, v2
	v_xor_b32_e32 v5, s10, v5
	v_and_b32_e32 v0, v0, v4
	v_cmp_gt_i32_e64 s10, 0, v24
	v_not_b32_e32 v4, v1
	v_ashrrev_i32_e32 v3, 31, v3
	v_xor_b32_e32 v2, s11, v2
	v_and_b32_e32 v0, v0, v5
	v_cmp_gt_i32_e64 s11, 0, v1
	v_ashrrev_i32_e32 v1, 31, v4
	v_xor_b32_e32 v3, s10, v3
	s_delay_alu instid0(VALU_DEP_4) | instskip(SKIP_1) | instid1(VALU_DEP_4)
	v_and_b32_e32 v0, v0, v2
	v_lshrrev_b32_e32 v2, 7, v14
	v_xor_b32_e32 v1, s11, v1
	s_delay_alu instid0(VALU_DEP_3) | instskip(NEXT) | instid1(VALU_DEP_1)
	v_and_b32_e32 v0, v0, v3
	v_and_b32_e32 v0, v0, v1
	s_delay_alu instid0(VALU_DEP_4) | instskip(NEXT) | instid1(VALU_DEP_2)
	v_and_b32_e32 v1, 0x1fe, v2
	v_mbcnt_lo_u32_b32 v24, v0, 0
	s_delay_alu instid0(VALU_DEP_2) | instskip(SKIP_1) | instid1(VALU_DEP_3)
	v_add_nc_u32_e32 v1, v1, v22
	v_cmp_ne_u32_e64 s11, 0, v0
	v_cmp_eq_u32_e64 s10, 0, v24
	s_delay_alu instid0(VALU_DEP_3) | instskip(NEXT) | instid1(VALU_DEP_2)
	v_lshl_add_u32 v25, v1, 2, 8
	s_and_b32 s11, s11, s10
	s_delay_alu instid0(SALU_CYCLE_1)
	s_and_saveexec_b32 s10, s11
	s_cbranch_execz .LBB336_12
; %bb.11:                               ;   in Loop: Header=BB336_2 Depth=1
	v_bcnt_u32_b32 v0, v0, 0
	ds_store_b32 v25, v0
.LBB336_12:                             ;   in Loop: Header=BB336_2 Depth=1
	s_or_b32 exec_lo, exec_lo, s10
	; wave barrier
	s_waitcnt lgkmcnt(0)
	s_barrier
	buffer_gl0_inv
	ds_load_2addr_b64 v[4:7], v15 offset0:1 offset1:2
	ds_load_2addr_b64 v[0:3], v16 offset0:2 offset1:3
	s_waitcnt lgkmcnt(1)
	v_add_nc_u32_e32 v26, v5, v4
	s_delay_alu instid0(VALU_DEP_1) | instskip(SKIP_1) | instid1(VALU_DEP_1)
	v_add3_u32 v26, v26, v6, v7
	s_waitcnt lgkmcnt(0)
	v_add3_u32 v26, v26, v0, v1
	s_delay_alu instid0(VALU_DEP_1) | instskip(NEXT) | instid1(VALU_DEP_1)
	v_add3_u32 v3, v26, v2, v3
	v_mov_b32_dpp v26, v3 row_shr:1 row_mask:0xf bank_mask:0xf
	s_delay_alu instid0(VALU_DEP_1) | instskip(NEXT) | instid1(VALU_DEP_1)
	v_cndmask_b32_e64 v26, v26, 0, s0
	v_add_nc_u32_e32 v3, v26, v3
	s_delay_alu instid0(VALU_DEP_1) | instskip(NEXT) | instid1(VALU_DEP_1)
	v_mov_b32_dpp v26, v3 row_shr:2 row_mask:0xf bank_mask:0xf
	v_cndmask_b32_e64 v26, 0, v26, s1
	s_delay_alu instid0(VALU_DEP_1) | instskip(NEXT) | instid1(VALU_DEP_1)
	v_add_nc_u32_e32 v3, v3, v26
	v_mov_b32_dpp v26, v3 row_shr:4 row_mask:0xf bank_mask:0xf
	s_delay_alu instid0(VALU_DEP_1) | instskip(NEXT) | instid1(VALU_DEP_1)
	v_cndmask_b32_e64 v26, 0, v26, s2
	v_add_nc_u32_e32 v3, v3, v26
	s_delay_alu instid0(VALU_DEP_1) | instskip(NEXT) | instid1(VALU_DEP_1)
	v_mov_b32_dpp v26, v3 row_shr:8 row_mask:0xf bank_mask:0xf
	v_cndmask_b32_e64 v26, 0, v26, s3
	s_delay_alu instid0(VALU_DEP_1) | instskip(SKIP_3) | instid1(VALU_DEP_1)
	v_add_nc_u32_e32 v3, v3, v26
	ds_swizzle_b32 v26, v3 offset:swizzle(BROADCAST,32,15)
	s_waitcnt lgkmcnt(0)
	v_cndmask_b32_e64 v26, v26, 0, s4
	v_add_nc_u32_e32 v3, v3, v26
	s_and_saveexec_b32 s10, s9
	s_cbranch_execz .LBB336_14
; %bb.13:                               ;   in Loop: Header=BB336_2 Depth=1
	ds_store_b32 v17, v3
.LBB336_14:                             ;   in Loop: Header=BB336_2 Depth=1
	s_or_b32 exec_lo, exec_lo, s10
	s_waitcnt lgkmcnt(0)
	s_barrier
	buffer_gl0_inv
	s_and_saveexec_b32 s10, s5
	s_cbranch_execz .LBB336_16
; %bb.15:                               ;   in Loop: Header=BB336_2 Depth=1
	ds_load_b32 v26, v19
	s_waitcnt lgkmcnt(0)
	v_mov_b32_dpp v27, v26 row_shr:1 row_mask:0xf bank_mask:0xf
	s_delay_alu instid0(VALU_DEP_1) | instskip(NEXT) | instid1(VALU_DEP_1)
	v_cndmask_b32_e64 v27, v27, 0, s8
	v_add_nc_u32_e32 v26, v27, v26
	ds_store_b32 v19, v26
.LBB336_16:                             ;   in Loop: Header=BB336_2 Depth=1
	s_or_b32 exec_lo, exec_lo, s10
	v_mov_b32_e32 v26, 0
	s_waitcnt lgkmcnt(0)
	s_barrier
	buffer_gl0_inv
	s_and_saveexec_b32 s10, s6
	s_cbranch_execz .LBB336_18
; %bb.17:                               ;   in Loop: Header=BB336_2 Depth=1
	ds_load_b32 v26, v20
.LBB336_18:                             ;   in Loop: Header=BB336_2 Depth=1
	s_or_b32 exec_lo, exec_lo, s10
	s_waitcnt lgkmcnt(0)
	v_add_nc_u32_e32 v3, v26, v3
	ds_bpermute_b32 v3, v18, v3
	s_waitcnt lgkmcnt(0)
	v_cndmask_b32_e32 v3, v3, v26, vcc_lo
	s_delay_alu instid0(VALU_DEP_1) | instskip(NEXT) | instid1(VALU_DEP_1)
	v_cndmask_b32_e64 v3, v3, 0, s7
	v_add_nc_u32_e32 v4, v3, v4
	s_delay_alu instid0(VALU_DEP_1) | instskip(NEXT) | instid1(VALU_DEP_1)
	v_add_nc_u32_e32 v5, v4, v5
	v_add_nc_u32_e32 v6, v5, v6
	s_delay_alu instid0(VALU_DEP_1) | instskip(NEXT) | instid1(VALU_DEP_1)
	v_add_nc_u32_e32 v26, v6, v7
	;; [unrolled: 3-line block ×3, first 2 shown]
	v_add_nc_u32_e32 v1, v0, v2
	ds_store_2addr_b64 v15, v[3:4], v[5:6] offset0:1 offset1:2
	ds_store_2addr_b64 v16, v[26:27], v[0:1] offset0:2 offset1:3
	s_waitcnt lgkmcnt(0)
	s_barrier
	buffer_gl0_inv
	ds_load_b32 v0, v25
	v_lshlrev_b32_e32 v1, 3, v24
	s_waitcnt lgkmcnt(0)
	s_barrier
	buffer_gl0_inv
	v_lshl_add_u32 v0, v0, 3, v1
	ds_store_b64 v0, v[13:14]
	s_waitcnt lgkmcnt(0)
	s_barrier
	buffer_gl0_inv
	ds_load_b64 v[13:14], v21
	s_waitcnt lgkmcnt(0)
	s_barrier
	buffer_gl0_inv
	v_bfe_u32 v0, v14, 16, 1
	v_lshrrev_b32_e32 v1, 16, v14
	s_delay_alu instid0(VALU_DEP_2) | instskip(NEXT) | instid1(VALU_DEP_1)
	v_add_co_u32 v0, s10, v0, -1
	v_cndmask_b32_e64 v2, 0, 1, s10
	s_delay_alu instid0(VALU_DEP_3)
	v_lshlrev_b32_e32 v3, 30, v1
	v_lshlrev_b32_e32 v4, 29, v1
	;; [unrolled: 1-line block ×4, first 2 shown]
	v_cmp_ne_u32_e64 s10, 0, v2
	v_not_b32_e32 v2, v3
	v_cmp_gt_i32_e64 s11, 0, v3
	v_not_b32_e32 v3, v4
	v_lshlrev_b32_e32 v7, 26, v1
	v_xor_b32_e32 v0, s10, v0
	v_ashrrev_i32_e32 v2, 31, v2
	v_cmp_gt_i32_e64 s10, 0, v4
	v_not_b32_e32 v4, v5
	v_ashrrev_i32_e32 v3, 31, v3
	v_and_b32_e32 v0, exec_lo, v0
	v_xor_b32_e32 v2, s11, v2
	v_cmp_gt_i32_e64 s11, 0, v5
	v_not_b32_e32 v5, v6
	v_ashrrev_i32_e32 v4, 31, v4
	v_xor_b32_e32 v3, s10, v3
	v_and_b32_e32 v0, v0, v2
	v_lshlrev_b32_e32 v24, 25, v1
	v_cmp_gt_i32_e64 s10, 0, v6
	v_not_b32_e32 v2, v7
	v_ashrrev_i32_e32 v5, 31, v5
	v_xor_b32_e32 v4, s11, v4
	v_and_b32_e32 v0, v0, v3
	v_lshlrev_b32_e32 v1, 24, v1
	v_cmp_gt_i32_e64 s11, 0, v7
	v_not_b32_e32 v3, v24
	v_ashrrev_i32_e32 v2, 31, v2
	v_xor_b32_e32 v5, s10, v5
	v_and_b32_e32 v0, v0, v4
	v_cmp_gt_i32_e64 s10, 0, v24
	v_not_b32_e32 v4, v1
	v_ashrrev_i32_e32 v3, 31, v3
	v_xor_b32_e32 v2, s11, v2
	v_and_b32_e32 v0, v0, v5
	v_cmp_gt_i32_e64 s11, 0, v1
	v_ashrrev_i32_e32 v1, 31, v4
	v_xor_b32_e32 v3, s10, v3
	v_lshrrev_b32_e32 v6, 15, v14
	v_and_b32_e32 v0, v0, v2
	s_delay_alu instid0(VALU_DEP_4) | instskip(SKIP_1) | instid1(VALU_DEP_3)
	v_xor_b32_e32 v5, s11, v1
	v_dual_mov_b32 v1, s20 :: v_dual_mov_b32 v2, s21
	v_dual_mov_b32 v3, s16 :: v_dual_and_b32 v0, v0, v3
	v_mov_b32_e32 v4, s17
	ds_store_2addr_b64 v15, v[1:2], v[3:4] offset0:1 offset1:2
	ds_store_2addr_b64 v16, v[1:2], v[3:4] offset0:2 offset1:3
	v_and_b32_e32 v0, v0, v5
	v_and_b32_e32 v5, 0x1fe, v6
	s_waitcnt lgkmcnt(0)
	s_barrier
	buffer_gl0_inv
	v_mbcnt_lo_u32_b32 v24, v0, 0
	v_add_nc_u32_e32 v1, v5, v22
	v_cmp_ne_u32_e64 s11, 0, v0
	; wave barrier
	s_delay_alu instid0(VALU_DEP_3) | instskip(NEXT) | instid1(VALU_DEP_3)
	v_cmp_eq_u32_e64 s10, 0, v24
	v_lshl_add_u32 v25, v1, 2, 8
	s_delay_alu instid0(VALU_DEP_2) | instskip(NEXT) | instid1(SALU_CYCLE_1)
	s_and_b32 s11, s11, s10
	s_and_saveexec_b32 s10, s11
	s_cbranch_execz .LBB336_20
; %bb.19:                               ;   in Loop: Header=BB336_2 Depth=1
	v_bcnt_u32_b32 v0, v0, 0
	ds_store_b32 v25, v0
.LBB336_20:                             ;   in Loop: Header=BB336_2 Depth=1
	s_or_b32 exec_lo, exec_lo, s10
	; wave barrier
	s_waitcnt lgkmcnt(0)
	s_barrier
	buffer_gl0_inv
	ds_load_2addr_b64 v[4:7], v15 offset0:1 offset1:2
	ds_load_2addr_b64 v[0:3], v16 offset0:2 offset1:3
	s_waitcnt lgkmcnt(1)
	v_add_nc_u32_e32 v26, v5, v4
	s_delay_alu instid0(VALU_DEP_1) | instskip(SKIP_1) | instid1(VALU_DEP_1)
	v_add3_u32 v26, v26, v6, v7
	s_waitcnt lgkmcnt(0)
	v_add3_u32 v26, v26, v0, v1
	s_delay_alu instid0(VALU_DEP_1) | instskip(NEXT) | instid1(VALU_DEP_1)
	v_add3_u32 v3, v26, v2, v3
	v_mov_b32_dpp v26, v3 row_shr:1 row_mask:0xf bank_mask:0xf
	s_delay_alu instid0(VALU_DEP_1) | instskip(NEXT) | instid1(VALU_DEP_1)
	v_cndmask_b32_e64 v26, v26, 0, s0
	v_add_nc_u32_e32 v3, v26, v3
	s_delay_alu instid0(VALU_DEP_1) | instskip(NEXT) | instid1(VALU_DEP_1)
	v_mov_b32_dpp v26, v3 row_shr:2 row_mask:0xf bank_mask:0xf
	v_cndmask_b32_e64 v26, 0, v26, s1
	s_delay_alu instid0(VALU_DEP_1) | instskip(NEXT) | instid1(VALU_DEP_1)
	v_add_nc_u32_e32 v3, v3, v26
	v_mov_b32_dpp v26, v3 row_shr:4 row_mask:0xf bank_mask:0xf
	s_delay_alu instid0(VALU_DEP_1) | instskip(NEXT) | instid1(VALU_DEP_1)
	v_cndmask_b32_e64 v26, 0, v26, s2
	v_add_nc_u32_e32 v3, v3, v26
	s_delay_alu instid0(VALU_DEP_1) | instskip(NEXT) | instid1(VALU_DEP_1)
	v_mov_b32_dpp v26, v3 row_shr:8 row_mask:0xf bank_mask:0xf
	v_cndmask_b32_e64 v26, 0, v26, s3
	s_delay_alu instid0(VALU_DEP_1) | instskip(SKIP_3) | instid1(VALU_DEP_1)
	v_add_nc_u32_e32 v3, v3, v26
	ds_swizzle_b32 v26, v3 offset:swizzle(BROADCAST,32,15)
	s_waitcnt lgkmcnt(0)
	v_cndmask_b32_e64 v26, v26, 0, s4
	v_add_nc_u32_e32 v3, v3, v26
	s_and_saveexec_b32 s10, s9
	s_cbranch_execz .LBB336_22
; %bb.21:                               ;   in Loop: Header=BB336_2 Depth=1
	ds_store_b32 v17, v3
.LBB336_22:                             ;   in Loop: Header=BB336_2 Depth=1
	s_or_b32 exec_lo, exec_lo, s10
	s_waitcnt lgkmcnt(0)
	s_barrier
	buffer_gl0_inv
	s_and_saveexec_b32 s10, s5
	s_cbranch_execz .LBB336_24
; %bb.23:                               ;   in Loop: Header=BB336_2 Depth=1
	ds_load_b32 v26, v19
	s_waitcnt lgkmcnt(0)
	v_mov_b32_dpp v27, v26 row_shr:1 row_mask:0xf bank_mask:0xf
	s_delay_alu instid0(VALU_DEP_1) | instskip(NEXT) | instid1(VALU_DEP_1)
	v_cndmask_b32_e64 v27, v27, 0, s8
	v_add_nc_u32_e32 v26, v27, v26
	ds_store_b32 v19, v26
.LBB336_24:                             ;   in Loop: Header=BB336_2 Depth=1
	s_or_b32 exec_lo, exec_lo, s10
	v_mov_b32_e32 v26, 0
	s_waitcnt lgkmcnt(0)
	s_barrier
	buffer_gl0_inv
	s_and_saveexec_b32 s10, s6
	s_cbranch_execz .LBB336_26
; %bb.25:                               ;   in Loop: Header=BB336_2 Depth=1
	ds_load_b32 v26, v20
.LBB336_26:                             ;   in Loop: Header=BB336_2 Depth=1
	s_or_b32 exec_lo, exec_lo, s10
	s_waitcnt lgkmcnt(0)
	v_add_nc_u32_e32 v3, v26, v3
	ds_bpermute_b32 v3, v18, v3
	s_waitcnt lgkmcnt(0)
	v_cndmask_b32_e32 v3, v3, v26, vcc_lo
	s_delay_alu instid0(VALU_DEP_1) | instskip(NEXT) | instid1(VALU_DEP_1)
	v_cndmask_b32_e64 v3, v3, 0, s7
	v_add_nc_u32_e32 v4, v3, v4
	s_delay_alu instid0(VALU_DEP_1) | instskip(NEXT) | instid1(VALU_DEP_1)
	v_add_nc_u32_e32 v5, v4, v5
	v_add_nc_u32_e32 v6, v5, v6
	s_delay_alu instid0(VALU_DEP_1) | instskip(NEXT) | instid1(VALU_DEP_1)
	v_add_nc_u32_e32 v26, v6, v7
	;; [unrolled: 3-line block ×3, first 2 shown]
	v_add_nc_u32_e32 v1, v0, v2
	ds_store_2addr_b64 v15, v[3:4], v[5:6] offset0:1 offset1:2
	ds_store_2addr_b64 v16, v[26:27], v[0:1] offset0:2 offset1:3
	s_waitcnt lgkmcnt(0)
	s_barrier
	buffer_gl0_inv
	ds_load_b32 v0, v25
	v_lshlrev_b32_e32 v1, 3, v24
	s_waitcnt lgkmcnt(0)
	s_barrier
	buffer_gl0_inv
	v_lshl_add_u32 v0, v0, 3, v1
	ds_store_b64 v0, v[13:14]
	s_waitcnt lgkmcnt(0)
	s_barrier
	buffer_gl0_inv
	ds_load_b64 v[13:14], v21
	s_waitcnt lgkmcnt(0)
	s_barrier
	buffer_gl0_inv
	v_bfe_u32 v0, v14, 24, 1
	v_lshrrev_b32_e32 v5, 24, v14
	s_delay_alu instid0(VALU_DEP_2) | instskip(NEXT) | instid1(VALU_DEP_1)
	v_add_co_u32 v0, s10, v0, -1
	v_cndmask_b32_e64 v1, 0, 1, s10
	s_delay_alu instid0(VALU_DEP_3)
	v_lshlrev_b32_e32 v2, 30, v5
	v_lshlrev_b32_e32 v3, 29, v5
	;; [unrolled: 1-line block ×4, first 2 shown]
	v_cmp_ne_u32_e64 s10, 0, v1
	v_not_b32_e32 v1, v2
	v_cmp_gt_i32_e64 s11, 0, v2
	v_not_b32_e32 v2, v3
	v_lshlrev_b32_e32 v7, 26, v5
	v_xor_b32_e32 v0, s10, v0
	v_ashrrev_i32_e32 v1, 31, v1
	v_cmp_gt_i32_e64 s10, 0, v3
	v_not_b32_e32 v3, v4
	v_ashrrev_i32_e32 v2, 31, v2
	v_and_b32_e32 v0, exec_lo, v0
	v_xor_b32_e32 v1, s11, v1
	v_cmp_gt_i32_e64 s11, 0, v4
	v_not_b32_e32 v4, v6
	v_ashrrev_i32_e32 v3, 31, v3
	v_xor_b32_e32 v2, s10, v2
	v_and_b32_e32 v0, v0, v1
	v_lshlrev_b32_e32 v24, 25, v5
	v_cmp_gt_i32_e64 s10, 0, v6
	v_not_b32_e32 v1, v7
	v_ashrrev_i32_e32 v4, 31, v4
	v_xor_b32_e32 v3, s11, v3
	v_and_b32_e32 v0, v0, v2
	v_cmp_gt_i32_e64 s11, 0, v7
	v_not_b32_e32 v2, v24
	v_ashrrev_i32_e32 v1, 31, v1
	v_xor_b32_e32 v4, s10, v4
	v_and_b32_e32 v0, v0, v3
	v_not_b32_e32 v3, v14
	v_cmp_gt_i32_e64 s10, 0, v24
	v_ashrrev_i32_e32 v2, 31, v2
	v_xor_b32_e32 v1, s11, v1
	v_and_b32_e32 v0, v0, v4
	v_cmp_gt_i32_e64 s11, 0, v14
	v_ashrrev_i32_e32 v3, 31, v3
	v_xor_b32_e32 v2, s10, v2
	s_delay_alu instid0(VALU_DEP_4) | instskip(NEXT) | instid1(VALU_DEP_3)
	v_and_b32_e32 v0, v0, v1
	v_xor_b32_e32 v3, s11, v3
	s_delay_alu instid0(VALU_DEP_2) | instskip(SKIP_1) | instid1(VALU_DEP_2)
	v_dual_mov_b32 v1, s20 :: v_dual_and_b32 v0, v0, v2
	v_mov_b32_e32 v2, s21
	v_dual_mov_b32 v3, s16 :: v_dual_and_b32 v0, v0, v3
	v_mov_b32_e32 v4, s17
	ds_store_2addr_b64 v15, v[1:2], v[3:4] offset0:1 offset1:2
	ds_store_2addr_b64 v16, v[1:2], v[3:4] offset0:2 offset1:3
	v_mbcnt_lo_u32_b32 v24, v0, 0
	v_lshl_add_u32 v1, v5, 1, v22
	v_cmp_ne_u32_e64 s11, 0, v0
	s_waitcnt lgkmcnt(0)
	s_barrier
	v_cmp_eq_u32_e64 s10, 0, v24
	v_lshl_add_u32 v25, v1, 2, 8
	buffer_gl0_inv
	; wave barrier
	s_and_b32 s11, s11, s10
	s_delay_alu instid0(SALU_CYCLE_1)
	s_and_saveexec_b32 s10, s11
	s_cbranch_execz .LBB336_28
; %bb.27:                               ;   in Loop: Header=BB336_2 Depth=1
	v_bcnt_u32_b32 v0, v0, 0
	ds_store_b32 v25, v0
.LBB336_28:                             ;   in Loop: Header=BB336_2 Depth=1
	s_or_b32 exec_lo, exec_lo, s10
	; wave barrier
	s_waitcnt lgkmcnt(0)
	s_barrier
	buffer_gl0_inv
	ds_load_2addr_b64 v[4:7], v15 offset0:1 offset1:2
	ds_load_2addr_b64 v[0:3], v16 offset0:2 offset1:3
	s_waitcnt lgkmcnt(1)
	v_add_nc_u32_e32 v26, v5, v4
	s_delay_alu instid0(VALU_DEP_1) | instskip(SKIP_1) | instid1(VALU_DEP_1)
	v_add3_u32 v26, v26, v6, v7
	s_waitcnt lgkmcnt(0)
	v_add3_u32 v26, v26, v0, v1
	s_delay_alu instid0(VALU_DEP_1) | instskip(NEXT) | instid1(VALU_DEP_1)
	v_add3_u32 v3, v26, v2, v3
	v_mov_b32_dpp v26, v3 row_shr:1 row_mask:0xf bank_mask:0xf
	s_delay_alu instid0(VALU_DEP_1) | instskip(NEXT) | instid1(VALU_DEP_1)
	v_cndmask_b32_e64 v26, v26, 0, s0
	v_add_nc_u32_e32 v3, v26, v3
	s_delay_alu instid0(VALU_DEP_1) | instskip(NEXT) | instid1(VALU_DEP_1)
	v_mov_b32_dpp v26, v3 row_shr:2 row_mask:0xf bank_mask:0xf
	v_cndmask_b32_e64 v26, 0, v26, s1
	s_delay_alu instid0(VALU_DEP_1) | instskip(NEXT) | instid1(VALU_DEP_1)
	v_add_nc_u32_e32 v3, v3, v26
	v_mov_b32_dpp v26, v3 row_shr:4 row_mask:0xf bank_mask:0xf
	s_delay_alu instid0(VALU_DEP_1) | instskip(NEXT) | instid1(VALU_DEP_1)
	v_cndmask_b32_e64 v26, 0, v26, s2
	v_add_nc_u32_e32 v3, v3, v26
	s_delay_alu instid0(VALU_DEP_1) | instskip(NEXT) | instid1(VALU_DEP_1)
	v_mov_b32_dpp v26, v3 row_shr:8 row_mask:0xf bank_mask:0xf
	v_cndmask_b32_e64 v26, 0, v26, s3
	s_delay_alu instid0(VALU_DEP_1) | instskip(SKIP_3) | instid1(VALU_DEP_1)
	v_add_nc_u32_e32 v3, v3, v26
	ds_swizzle_b32 v26, v3 offset:swizzle(BROADCAST,32,15)
	s_waitcnt lgkmcnt(0)
	v_cndmask_b32_e64 v26, v26, 0, s4
	v_add_nc_u32_e32 v3, v3, v26
	s_and_saveexec_b32 s10, s9
	s_cbranch_execz .LBB336_30
; %bb.29:                               ;   in Loop: Header=BB336_2 Depth=1
	ds_store_b32 v17, v3
.LBB336_30:                             ;   in Loop: Header=BB336_2 Depth=1
	s_or_b32 exec_lo, exec_lo, s10
	s_waitcnt lgkmcnt(0)
	s_barrier
	buffer_gl0_inv
	s_and_saveexec_b32 s10, s5
	s_cbranch_execz .LBB336_32
; %bb.31:                               ;   in Loop: Header=BB336_2 Depth=1
	ds_load_b32 v26, v19
	s_waitcnt lgkmcnt(0)
	v_mov_b32_dpp v27, v26 row_shr:1 row_mask:0xf bank_mask:0xf
	s_delay_alu instid0(VALU_DEP_1) | instskip(NEXT) | instid1(VALU_DEP_1)
	v_cndmask_b32_e64 v27, v27, 0, s8
	v_add_nc_u32_e32 v26, v27, v26
	ds_store_b32 v19, v26
.LBB336_32:                             ;   in Loop: Header=BB336_2 Depth=1
	s_or_b32 exec_lo, exec_lo, s10
	v_mov_b32_e32 v26, 0
	s_waitcnt lgkmcnt(0)
	s_barrier
	buffer_gl0_inv
	s_and_saveexec_b32 s10, s6
	s_cbranch_execz .LBB336_34
; %bb.33:                               ;   in Loop: Header=BB336_2 Depth=1
	ds_load_b32 v26, v20
.LBB336_34:                             ;   in Loop: Header=BB336_2 Depth=1
	s_or_b32 exec_lo, exec_lo, s10
	s_waitcnt lgkmcnt(0)
	v_add_nc_u32_e32 v3, v26, v3
	ds_bpermute_b32 v3, v18, v3
	s_waitcnt lgkmcnt(0)
	v_cndmask_b32_e32 v3, v3, v26, vcc_lo
	s_delay_alu instid0(VALU_DEP_1) | instskip(NEXT) | instid1(VALU_DEP_1)
	v_cndmask_b32_e64 v3, v3, 0, s7
	v_add_nc_u32_e32 v4, v3, v4
	s_delay_alu instid0(VALU_DEP_1) | instskip(NEXT) | instid1(VALU_DEP_1)
	v_add_nc_u32_e32 v5, v4, v5
	v_add_nc_u32_e32 v6, v5, v6
	s_delay_alu instid0(VALU_DEP_1) | instskip(NEXT) | instid1(VALU_DEP_1)
	v_add_nc_u32_e32 v26, v6, v7
	;; [unrolled: 3-line block ×3, first 2 shown]
	v_add_nc_u32_e32 v1, v0, v2
	ds_store_2addr_b64 v15, v[3:4], v[5:6] offset0:1 offset1:2
	ds_store_2addr_b64 v16, v[26:27], v[0:1] offset0:2 offset1:3
	s_waitcnt lgkmcnt(0)
	s_barrier
	buffer_gl0_inv
	ds_load_b32 v0, v25
	v_lshlrev_b32_e32 v1, 3, v24
	s_waitcnt lgkmcnt(0)
	s_barrier
	buffer_gl0_inv
	v_lshl_add_u32 v0, v0, 3, v1
	ds_store_b64 v0, v[13:14]
	s_waitcnt lgkmcnt(0)
	s_barrier
	buffer_gl0_inv
	ds_load_b64 v[13:14], v21
	s_waitcnt lgkmcnt(0)
	s_barrier
	buffer_gl0_inv
	v_and_b32_e32 v0, 1, v13
	v_lshlrev_b32_e32 v1, 30, v13
	v_lshlrev_b32_e32 v2, 29, v13
	;; [unrolled: 1-line block ×4, first 2 shown]
	v_add_co_u32 v0, s10, v0, -1
	s_delay_alu instid0(VALU_DEP_1)
	v_cndmask_b32_e64 v4, 0, 1, s10
	v_not_b32_e32 v24, v1
	v_cmp_gt_i32_e64 s11, 0, v1
	v_not_b32_e32 v1, v2
	v_lshlrev_b32_e32 v6, 26, v13
	v_cmp_ne_u32_e64 s10, 0, v4
	v_ashrrev_i32_e32 v24, 31, v24
	v_lshlrev_b32_e32 v7, 25, v13
	v_ashrrev_i32_e32 v1, 31, v1
	v_lshlrev_b32_e32 v4, 24, v13
	v_xor_b32_e32 v0, s10, v0
	v_cmp_gt_i32_e64 s10, 0, v2
	v_not_b32_e32 v2, v3
	v_xor_b32_e32 v24, s11, v24
	v_cmp_gt_i32_e64 s11, 0, v3
	v_and_b32_e32 v0, exec_lo, v0
	v_not_b32_e32 v3, v5
	v_ashrrev_i32_e32 v2, 31, v2
	v_xor_b32_e32 v1, s10, v1
	v_cmp_gt_i32_e64 s10, 0, v5
	v_and_b32_e32 v0, v0, v24
	v_not_b32_e32 v5, v6
	v_ashrrev_i32_e32 v3, 31, v3
	v_xor_b32_e32 v2, s11, v2
	v_cmp_gt_i32_e64 s11, 0, v6
	v_and_b32_e32 v0, v0, v1
	;; [unrolled: 5-line block ×3, first 2 shown]
	v_not_b32_e32 v2, v4
	v_ashrrev_i32_e32 v1, 31, v1
	v_xor_b32_e32 v5, s11, v5
	v_cmp_gt_i32_e64 s11, 0, v4
	v_dual_mov_b32 v3, s16 :: v_dual_and_b32 v0, v0, v3
	v_ashrrev_i32_e32 v2, 31, v2
	v_xor_b32_e32 v1, s10, v1
	v_mov_b32_e32 v4, s17
	s_delay_alu instid0(VALU_DEP_4) | instskip(NEXT) | instid1(VALU_DEP_4)
	v_and_b32_e32 v0, v0, v5
	v_xor_b32_e32 v5, s11, v2
	s_delay_alu instid0(VALU_DEP_2)
	v_dual_mov_b32 v1, s20 :: v_dual_and_b32 v0, v0, v1
	v_mov_b32_e32 v2, s21
	ds_store_2addr_b64 v15, v[1:2], v[3:4] offset0:1 offset1:2
	ds_store_2addr_b64 v16, v[1:2], v[3:4] offset0:2 offset1:3
	v_and_b32_e32 v0, v0, v5
	v_and_b32_e32 v5, 0xff, v13
	s_waitcnt lgkmcnt(0)
	s_barrier
	buffer_gl0_inv
	v_mbcnt_lo_u32_b32 v24, v0, 0
	v_lshl_add_u32 v1, v5, 1, v22
	v_cmp_ne_u32_e64 s11, 0, v0
	; wave barrier
	s_delay_alu instid0(VALU_DEP_3) | instskip(NEXT) | instid1(VALU_DEP_3)
	v_cmp_eq_u32_e64 s10, 0, v24
	v_lshl_add_u32 v25, v1, 2, 8
	s_delay_alu instid0(VALU_DEP_2) | instskip(NEXT) | instid1(SALU_CYCLE_1)
	s_and_b32 s11, s11, s10
	s_and_saveexec_b32 s10, s11
	s_cbranch_execz .LBB336_36
; %bb.35:                               ;   in Loop: Header=BB336_2 Depth=1
	v_bcnt_u32_b32 v0, v0, 0
	ds_store_b32 v25, v0
.LBB336_36:                             ;   in Loop: Header=BB336_2 Depth=1
	s_or_b32 exec_lo, exec_lo, s10
	; wave barrier
	s_waitcnt lgkmcnt(0)
	s_barrier
	buffer_gl0_inv
	ds_load_2addr_b64 v[4:7], v15 offset0:1 offset1:2
	ds_load_2addr_b64 v[0:3], v16 offset0:2 offset1:3
	s_waitcnt lgkmcnt(1)
	v_add_nc_u32_e32 v26, v5, v4
	s_delay_alu instid0(VALU_DEP_1) | instskip(SKIP_1) | instid1(VALU_DEP_1)
	v_add3_u32 v26, v26, v6, v7
	s_waitcnt lgkmcnt(0)
	v_add3_u32 v26, v26, v0, v1
	s_delay_alu instid0(VALU_DEP_1) | instskip(NEXT) | instid1(VALU_DEP_1)
	v_add3_u32 v3, v26, v2, v3
	v_mov_b32_dpp v26, v3 row_shr:1 row_mask:0xf bank_mask:0xf
	s_delay_alu instid0(VALU_DEP_1) | instskip(NEXT) | instid1(VALU_DEP_1)
	v_cndmask_b32_e64 v26, v26, 0, s0
	v_add_nc_u32_e32 v3, v26, v3
	s_delay_alu instid0(VALU_DEP_1) | instskip(NEXT) | instid1(VALU_DEP_1)
	v_mov_b32_dpp v26, v3 row_shr:2 row_mask:0xf bank_mask:0xf
	v_cndmask_b32_e64 v26, 0, v26, s1
	s_delay_alu instid0(VALU_DEP_1) | instskip(NEXT) | instid1(VALU_DEP_1)
	v_add_nc_u32_e32 v3, v3, v26
	v_mov_b32_dpp v26, v3 row_shr:4 row_mask:0xf bank_mask:0xf
	s_delay_alu instid0(VALU_DEP_1) | instskip(NEXT) | instid1(VALU_DEP_1)
	v_cndmask_b32_e64 v26, 0, v26, s2
	v_add_nc_u32_e32 v3, v3, v26
	s_delay_alu instid0(VALU_DEP_1) | instskip(NEXT) | instid1(VALU_DEP_1)
	v_mov_b32_dpp v26, v3 row_shr:8 row_mask:0xf bank_mask:0xf
	v_cndmask_b32_e64 v26, 0, v26, s3
	s_delay_alu instid0(VALU_DEP_1) | instskip(SKIP_3) | instid1(VALU_DEP_1)
	v_add_nc_u32_e32 v3, v3, v26
	ds_swizzle_b32 v26, v3 offset:swizzle(BROADCAST,32,15)
	s_waitcnt lgkmcnt(0)
	v_cndmask_b32_e64 v26, v26, 0, s4
	v_add_nc_u32_e32 v3, v3, v26
	s_and_saveexec_b32 s10, s9
	s_cbranch_execz .LBB336_38
; %bb.37:                               ;   in Loop: Header=BB336_2 Depth=1
	ds_store_b32 v17, v3
.LBB336_38:                             ;   in Loop: Header=BB336_2 Depth=1
	s_or_b32 exec_lo, exec_lo, s10
	s_waitcnt lgkmcnt(0)
	s_barrier
	buffer_gl0_inv
	s_and_saveexec_b32 s10, s5
	s_cbranch_execz .LBB336_40
; %bb.39:                               ;   in Loop: Header=BB336_2 Depth=1
	ds_load_b32 v26, v19
	s_waitcnt lgkmcnt(0)
	v_mov_b32_dpp v27, v26 row_shr:1 row_mask:0xf bank_mask:0xf
	s_delay_alu instid0(VALU_DEP_1) | instskip(NEXT) | instid1(VALU_DEP_1)
	v_cndmask_b32_e64 v27, v27, 0, s8
	v_add_nc_u32_e32 v26, v27, v26
	ds_store_b32 v19, v26
.LBB336_40:                             ;   in Loop: Header=BB336_2 Depth=1
	s_or_b32 exec_lo, exec_lo, s10
	v_mov_b32_e32 v26, 0
	s_waitcnt lgkmcnt(0)
	s_barrier
	buffer_gl0_inv
	s_and_saveexec_b32 s10, s6
	s_cbranch_execz .LBB336_42
; %bb.41:                               ;   in Loop: Header=BB336_2 Depth=1
	ds_load_b32 v26, v20
.LBB336_42:                             ;   in Loop: Header=BB336_2 Depth=1
	s_or_b32 exec_lo, exec_lo, s10
	s_waitcnt lgkmcnt(0)
	v_add_nc_u32_e32 v3, v26, v3
	ds_bpermute_b32 v3, v18, v3
	s_waitcnt lgkmcnt(0)
	v_cndmask_b32_e32 v3, v3, v26, vcc_lo
	s_delay_alu instid0(VALU_DEP_1) | instskip(NEXT) | instid1(VALU_DEP_1)
	v_cndmask_b32_e64 v3, v3, 0, s7
	v_add_nc_u32_e32 v4, v3, v4
	s_delay_alu instid0(VALU_DEP_1) | instskip(NEXT) | instid1(VALU_DEP_1)
	v_add_nc_u32_e32 v5, v4, v5
	v_add_nc_u32_e32 v6, v5, v6
	s_delay_alu instid0(VALU_DEP_1) | instskip(NEXT) | instid1(VALU_DEP_1)
	v_add_nc_u32_e32 v26, v6, v7
	;; [unrolled: 3-line block ×3, first 2 shown]
	v_add_nc_u32_e32 v1, v0, v2
	ds_store_2addr_b64 v15, v[3:4], v[5:6] offset0:1 offset1:2
	ds_store_2addr_b64 v16, v[26:27], v[0:1] offset0:2 offset1:3
	s_waitcnt lgkmcnt(0)
	s_barrier
	buffer_gl0_inv
	ds_load_b32 v0, v25
	v_lshlrev_b32_e32 v1, 3, v24
	s_waitcnt lgkmcnt(0)
	s_barrier
	buffer_gl0_inv
	v_lshl_add_u32 v0, v0, 3, v1
	ds_store_b64 v0, v[13:14]
	s_waitcnt lgkmcnt(0)
	s_barrier
	buffer_gl0_inv
	ds_load_b64 v[13:14], v21
	s_waitcnt lgkmcnt(0)
	s_barrier
	buffer_gl0_inv
	v_bfe_u32 v0, v13, 8, 1
	v_lshrrev_b32_e32 v1, 8, v13
	s_delay_alu instid0(VALU_DEP_2) | instskip(NEXT) | instid1(VALU_DEP_1)
	v_add_co_u32 v0, s10, v0, -1
	v_cndmask_b32_e64 v2, 0, 1, s10
	s_delay_alu instid0(VALU_DEP_3)
	v_lshlrev_b32_e32 v3, 30, v1
	v_lshlrev_b32_e32 v4, 29, v1
	;; [unrolled: 1-line block ×4, first 2 shown]
	v_cmp_ne_u32_e64 s10, 0, v2
	v_not_b32_e32 v2, v3
	v_cmp_gt_i32_e64 s11, 0, v3
	v_not_b32_e32 v3, v4
	v_lshlrev_b32_e32 v7, 26, v1
	v_xor_b32_e32 v0, s10, v0
	v_ashrrev_i32_e32 v2, 31, v2
	v_cmp_gt_i32_e64 s10, 0, v4
	v_not_b32_e32 v4, v5
	v_ashrrev_i32_e32 v3, 31, v3
	v_and_b32_e32 v0, exec_lo, v0
	v_xor_b32_e32 v2, s11, v2
	v_cmp_gt_i32_e64 s11, 0, v5
	v_not_b32_e32 v5, v6
	v_ashrrev_i32_e32 v4, 31, v4
	v_xor_b32_e32 v3, s10, v3
	v_and_b32_e32 v0, v0, v2
	v_lshlrev_b32_e32 v24, 25, v1
	v_cmp_gt_i32_e64 s10, 0, v6
	v_not_b32_e32 v2, v7
	v_ashrrev_i32_e32 v5, 31, v5
	v_xor_b32_e32 v4, s11, v4
	v_and_b32_e32 v0, v0, v3
	v_lshlrev_b32_e32 v1, 24, v1
	v_cmp_gt_i32_e64 s11, 0, v7
	v_not_b32_e32 v3, v24
	v_ashrrev_i32_e32 v2, 31, v2
	v_xor_b32_e32 v5, s10, v5
	v_and_b32_e32 v0, v0, v4
	v_cmp_gt_i32_e64 s10, 0, v24
	v_not_b32_e32 v4, v1
	v_ashrrev_i32_e32 v3, 31, v3
	v_xor_b32_e32 v2, s11, v2
	v_and_b32_e32 v0, v0, v5
	v_cmp_gt_i32_e64 s11, 0, v1
	v_ashrrev_i32_e32 v1, 31, v4
	v_xor_b32_e32 v3, s10, v3
	v_lshrrev_b32_e32 v6, 7, v13
	v_and_b32_e32 v0, v0, v2
	s_delay_alu instid0(VALU_DEP_4) | instskip(SKIP_1) | instid1(VALU_DEP_3)
	v_xor_b32_e32 v5, s11, v1
	v_dual_mov_b32 v1, s20 :: v_dual_mov_b32 v2, s21
	v_dual_mov_b32 v3, s16 :: v_dual_and_b32 v0, v0, v3
	v_mov_b32_e32 v4, s17
	ds_store_2addr_b64 v15, v[1:2], v[3:4] offset0:1 offset1:2
	ds_store_2addr_b64 v16, v[1:2], v[3:4] offset0:2 offset1:3
	v_and_b32_e32 v0, v0, v5
	v_and_b32_e32 v5, 0x1fe, v6
	s_waitcnt lgkmcnt(0)
	s_barrier
	buffer_gl0_inv
	v_mbcnt_lo_u32_b32 v24, v0, 0
	v_add_nc_u32_e32 v1, v5, v22
	v_cmp_ne_u32_e64 s11, 0, v0
	; wave barrier
	s_delay_alu instid0(VALU_DEP_3) | instskip(NEXT) | instid1(VALU_DEP_3)
	v_cmp_eq_u32_e64 s10, 0, v24
	v_lshl_add_u32 v25, v1, 2, 8
	s_delay_alu instid0(VALU_DEP_2) | instskip(NEXT) | instid1(SALU_CYCLE_1)
	s_and_b32 s11, s11, s10
	s_and_saveexec_b32 s10, s11
	s_cbranch_execz .LBB336_44
; %bb.43:                               ;   in Loop: Header=BB336_2 Depth=1
	v_bcnt_u32_b32 v0, v0, 0
	ds_store_b32 v25, v0
.LBB336_44:                             ;   in Loop: Header=BB336_2 Depth=1
	s_or_b32 exec_lo, exec_lo, s10
	; wave barrier
	s_waitcnt lgkmcnt(0)
	s_barrier
	buffer_gl0_inv
	ds_load_2addr_b64 v[4:7], v15 offset0:1 offset1:2
	ds_load_2addr_b64 v[0:3], v16 offset0:2 offset1:3
	s_waitcnt lgkmcnt(1)
	v_add_nc_u32_e32 v26, v5, v4
	s_delay_alu instid0(VALU_DEP_1) | instskip(SKIP_1) | instid1(VALU_DEP_1)
	v_add3_u32 v26, v26, v6, v7
	s_waitcnt lgkmcnt(0)
	v_add3_u32 v26, v26, v0, v1
	s_delay_alu instid0(VALU_DEP_1) | instskip(NEXT) | instid1(VALU_DEP_1)
	v_add3_u32 v3, v26, v2, v3
	v_mov_b32_dpp v26, v3 row_shr:1 row_mask:0xf bank_mask:0xf
	s_delay_alu instid0(VALU_DEP_1) | instskip(NEXT) | instid1(VALU_DEP_1)
	v_cndmask_b32_e64 v26, v26, 0, s0
	v_add_nc_u32_e32 v3, v26, v3
	s_delay_alu instid0(VALU_DEP_1) | instskip(NEXT) | instid1(VALU_DEP_1)
	v_mov_b32_dpp v26, v3 row_shr:2 row_mask:0xf bank_mask:0xf
	v_cndmask_b32_e64 v26, 0, v26, s1
	s_delay_alu instid0(VALU_DEP_1) | instskip(NEXT) | instid1(VALU_DEP_1)
	v_add_nc_u32_e32 v3, v3, v26
	v_mov_b32_dpp v26, v3 row_shr:4 row_mask:0xf bank_mask:0xf
	s_delay_alu instid0(VALU_DEP_1) | instskip(NEXT) | instid1(VALU_DEP_1)
	v_cndmask_b32_e64 v26, 0, v26, s2
	v_add_nc_u32_e32 v3, v3, v26
	s_delay_alu instid0(VALU_DEP_1) | instskip(NEXT) | instid1(VALU_DEP_1)
	v_mov_b32_dpp v26, v3 row_shr:8 row_mask:0xf bank_mask:0xf
	v_cndmask_b32_e64 v26, 0, v26, s3
	s_delay_alu instid0(VALU_DEP_1) | instskip(SKIP_3) | instid1(VALU_DEP_1)
	v_add_nc_u32_e32 v3, v3, v26
	ds_swizzle_b32 v26, v3 offset:swizzle(BROADCAST,32,15)
	s_waitcnt lgkmcnt(0)
	v_cndmask_b32_e64 v26, v26, 0, s4
	v_add_nc_u32_e32 v3, v3, v26
	s_and_saveexec_b32 s10, s9
	s_cbranch_execz .LBB336_46
; %bb.45:                               ;   in Loop: Header=BB336_2 Depth=1
	ds_store_b32 v17, v3
.LBB336_46:                             ;   in Loop: Header=BB336_2 Depth=1
	s_or_b32 exec_lo, exec_lo, s10
	s_waitcnt lgkmcnt(0)
	s_barrier
	buffer_gl0_inv
	s_and_saveexec_b32 s10, s5
	s_cbranch_execz .LBB336_48
; %bb.47:                               ;   in Loop: Header=BB336_2 Depth=1
	ds_load_b32 v26, v19
	s_waitcnt lgkmcnt(0)
	v_mov_b32_dpp v27, v26 row_shr:1 row_mask:0xf bank_mask:0xf
	s_delay_alu instid0(VALU_DEP_1) | instskip(NEXT) | instid1(VALU_DEP_1)
	v_cndmask_b32_e64 v27, v27, 0, s8
	v_add_nc_u32_e32 v26, v27, v26
	ds_store_b32 v19, v26
.LBB336_48:                             ;   in Loop: Header=BB336_2 Depth=1
	s_or_b32 exec_lo, exec_lo, s10
	v_mov_b32_e32 v26, 0
	s_waitcnt lgkmcnt(0)
	s_barrier
	buffer_gl0_inv
	s_and_saveexec_b32 s10, s6
	s_cbranch_execz .LBB336_50
; %bb.49:                               ;   in Loop: Header=BB336_2 Depth=1
	ds_load_b32 v26, v20
.LBB336_50:                             ;   in Loop: Header=BB336_2 Depth=1
	s_or_b32 exec_lo, exec_lo, s10
	s_waitcnt lgkmcnt(0)
	v_add_nc_u32_e32 v3, v26, v3
	ds_bpermute_b32 v3, v18, v3
	s_waitcnt lgkmcnt(0)
	v_cndmask_b32_e32 v3, v3, v26, vcc_lo
	s_delay_alu instid0(VALU_DEP_1) | instskip(NEXT) | instid1(VALU_DEP_1)
	v_cndmask_b32_e64 v3, v3, 0, s7
	v_add_nc_u32_e32 v4, v3, v4
	s_delay_alu instid0(VALU_DEP_1) | instskip(NEXT) | instid1(VALU_DEP_1)
	v_add_nc_u32_e32 v5, v4, v5
	v_add_nc_u32_e32 v6, v5, v6
	s_delay_alu instid0(VALU_DEP_1) | instskip(NEXT) | instid1(VALU_DEP_1)
	v_add_nc_u32_e32 v26, v6, v7
	;; [unrolled: 3-line block ×3, first 2 shown]
	v_add_nc_u32_e32 v1, v0, v2
	ds_store_2addr_b64 v15, v[3:4], v[5:6] offset0:1 offset1:2
	ds_store_2addr_b64 v16, v[26:27], v[0:1] offset0:2 offset1:3
	s_waitcnt lgkmcnt(0)
	s_barrier
	buffer_gl0_inv
	ds_load_b32 v0, v25
	v_lshlrev_b32_e32 v1, 3, v24
	s_waitcnt lgkmcnt(0)
	s_barrier
	buffer_gl0_inv
	v_lshl_add_u32 v0, v0, 3, v1
	ds_store_b64 v0, v[13:14]
	s_waitcnt lgkmcnt(0)
	s_barrier
	buffer_gl0_inv
	ds_load_b64 v[13:14], v21
	s_waitcnt lgkmcnt(0)
	s_barrier
	buffer_gl0_inv
	v_bfe_u32 v0, v13, 16, 1
	v_lshrrev_b32_e32 v1, 16, v13
	s_delay_alu instid0(VALU_DEP_2) | instskip(NEXT) | instid1(VALU_DEP_1)
	v_add_co_u32 v0, s10, v0, -1
	v_cndmask_b32_e64 v2, 0, 1, s10
	s_delay_alu instid0(VALU_DEP_3)
	v_lshlrev_b32_e32 v3, 30, v1
	v_lshlrev_b32_e32 v4, 29, v1
	;; [unrolled: 1-line block ×4, first 2 shown]
	v_cmp_ne_u32_e64 s10, 0, v2
	v_not_b32_e32 v2, v3
	v_cmp_gt_i32_e64 s11, 0, v3
	v_not_b32_e32 v3, v4
	v_lshlrev_b32_e32 v7, 26, v1
	v_xor_b32_e32 v0, s10, v0
	v_ashrrev_i32_e32 v2, 31, v2
	v_cmp_gt_i32_e64 s10, 0, v4
	v_not_b32_e32 v4, v5
	v_ashrrev_i32_e32 v3, 31, v3
	v_and_b32_e32 v0, exec_lo, v0
	v_xor_b32_e32 v2, s11, v2
	v_cmp_gt_i32_e64 s11, 0, v5
	v_not_b32_e32 v5, v6
	v_ashrrev_i32_e32 v4, 31, v4
	v_xor_b32_e32 v3, s10, v3
	v_and_b32_e32 v0, v0, v2
	v_lshlrev_b32_e32 v24, 25, v1
	v_cmp_gt_i32_e64 s10, 0, v6
	v_not_b32_e32 v2, v7
	v_ashrrev_i32_e32 v5, 31, v5
	v_xor_b32_e32 v4, s11, v4
	v_and_b32_e32 v0, v0, v3
	v_lshlrev_b32_e32 v1, 24, v1
	v_cmp_gt_i32_e64 s11, 0, v7
	v_not_b32_e32 v3, v24
	v_ashrrev_i32_e32 v2, 31, v2
	v_xor_b32_e32 v5, s10, v5
	v_and_b32_e32 v0, v0, v4
	v_cmp_gt_i32_e64 s10, 0, v24
	v_not_b32_e32 v4, v1
	v_ashrrev_i32_e32 v3, 31, v3
	v_xor_b32_e32 v2, s11, v2
	v_and_b32_e32 v0, v0, v5
	v_cmp_gt_i32_e64 s11, 0, v1
	v_ashrrev_i32_e32 v1, 31, v4
	v_xor_b32_e32 v3, s10, v3
	v_lshrrev_b32_e32 v6, 15, v13
	v_and_b32_e32 v0, v0, v2
	s_delay_alu instid0(VALU_DEP_4) | instskip(SKIP_1) | instid1(VALU_DEP_3)
	v_xor_b32_e32 v5, s11, v1
	v_dual_mov_b32 v1, s20 :: v_dual_mov_b32 v2, s21
	v_dual_mov_b32 v3, s16 :: v_dual_and_b32 v0, v0, v3
	v_mov_b32_e32 v4, s17
	ds_store_2addr_b64 v15, v[1:2], v[3:4] offset0:1 offset1:2
	ds_store_2addr_b64 v16, v[1:2], v[3:4] offset0:2 offset1:3
	v_and_b32_e32 v0, v0, v5
	v_and_b32_e32 v5, 0x1fe, v6
	s_waitcnt lgkmcnt(0)
	s_barrier
	buffer_gl0_inv
	v_mbcnt_lo_u32_b32 v24, v0, 0
	v_add_nc_u32_e32 v1, v5, v22
	v_cmp_ne_u32_e64 s11, 0, v0
	; wave barrier
	s_delay_alu instid0(VALU_DEP_3) | instskip(NEXT) | instid1(VALU_DEP_3)
	v_cmp_eq_u32_e64 s10, 0, v24
	v_lshl_add_u32 v25, v1, 2, 8
	s_delay_alu instid0(VALU_DEP_2) | instskip(NEXT) | instid1(SALU_CYCLE_1)
	s_and_b32 s11, s11, s10
	s_and_saveexec_b32 s10, s11
	s_cbranch_execz .LBB336_52
; %bb.51:                               ;   in Loop: Header=BB336_2 Depth=1
	v_bcnt_u32_b32 v0, v0, 0
	ds_store_b32 v25, v0
.LBB336_52:                             ;   in Loop: Header=BB336_2 Depth=1
	s_or_b32 exec_lo, exec_lo, s10
	; wave barrier
	s_waitcnt lgkmcnt(0)
	s_barrier
	buffer_gl0_inv
	ds_load_2addr_b64 v[4:7], v15 offset0:1 offset1:2
	ds_load_2addr_b64 v[0:3], v16 offset0:2 offset1:3
	s_waitcnt lgkmcnt(1)
	v_add_nc_u32_e32 v26, v5, v4
	s_delay_alu instid0(VALU_DEP_1) | instskip(SKIP_1) | instid1(VALU_DEP_1)
	v_add3_u32 v26, v26, v6, v7
	s_waitcnt lgkmcnt(0)
	v_add3_u32 v26, v26, v0, v1
	s_delay_alu instid0(VALU_DEP_1) | instskip(NEXT) | instid1(VALU_DEP_1)
	v_add3_u32 v3, v26, v2, v3
	v_mov_b32_dpp v26, v3 row_shr:1 row_mask:0xf bank_mask:0xf
	s_delay_alu instid0(VALU_DEP_1) | instskip(NEXT) | instid1(VALU_DEP_1)
	v_cndmask_b32_e64 v26, v26, 0, s0
	v_add_nc_u32_e32 v3, v26, v3
	s_delay_alu instid0(VALU_DEP_1) | instskip(NEXT) | instid1(VALU_DEP_1)
	v_mov_b32_dpp v26, v3 row_shr:2 row_mask:0xf bank_mask:0xf
	v_cndmask_b32_e64 v26, 0, v26, s1
	s_delay_alu instid0(VALU_DEP_1) | instskip(NEXT) | instid1(VALU_DEP_1)
	v_add_nc_u32_e32 v3, v3, v26
	v_mov_b32_dpp v26, v3 row_shr:4 row_mask:0xf bank_mask:0xf
	s_delay_alu instid0(VALU_DEP_1) | instskip(NEXT) | instid1(VALU_DEP_1)
	v_cndmask_b32_e64 v26, 0, v26, s2
	v_add_nc_u32_e32 v3, v3, v26
	s_delay_alu instid0(VALU_DEP_1) | instskip(NEXT) | instid1(VALU_DEP_1)
	v_mov_b32_dpp v26, v3 row_shr:8 row_mask:0xf bank_mask:0xf
	v_cndmask_b32_e64 v26, 0, v26, s3
	s_delay_alu instid0(VALU_DEP_1) | instskip(SKIP_3) | instid1(VALU_DEP_1)
	v_add_nc_u32_e32 v3, v3, v26
	ds_swizzle_b32 v26, v3 offset:swizzle(BROADCAST,32,15)
	s_waitcnt lgkmcnt(0)
	v_cndmask_b32_e64 v26, v26, 0, s4
	v_add_nc_u32_e32 v3, v3, v26
	s_and_saveexec_b32 s10, s9
	s_cbranch_execz .LBB336_54
; %bb.53:                               ;   in Loop: Header=BB336_2 Depth=1
	ds_store_b32 v17, v3
.LBB336_54:                             ;   in Loop: Header=BB336_2 Depth=1
	s_or_b32 exec_lo, exec_lo, s10
	s_waitcnt lgkmcnt(0)
	s_barrier
	buffer_gl0_inv
	s_and_saveexec_b32 s10, s5
	s_cbranch_execz .LBB336_56
; %bb.55:                               ;   in Loop: Header=BB336_2 Depth=1
	ds_load_b32 v26, v19
	s_waitcnt lgkmcnt(0)
	v_mov_b32_dpp v27, v26 row_shr:1 row_mask:0xf bank_mask:0xf
	s_delay_alu instid0(VALU_DEP_1) | instskip(NEXT) | instid1(VALU_DEP_1)
	v_cndmask_b32_e64 v27, v27, 0, s8
	v_add_nc_u32_e32 v26, v27, v26
	ds_store_b32 v19, v26
.LBB336_56:                             ;   in Loop: Header=BB336_2 Depth=1
	s_or_b32 exec_lo, exec_lo, s10
	v_mov_b32_e32 v26, 0
	s_waitcnt lgkmcnt(0)
	s_barrier
	buffer_gl0_inv
	s_and_saveexec_b32 s10, s6
	s_cbranch_execz .LBB336_58
; %bb.57:                               ;   in Loop: Header=BB336_2 Depth=1
	ds_load_b32 v26, v20
.LBB336_58:                             ;   in Loop: Header=BB336_2 Depth=1
	s_or_b32 exec_lo, exec_lo, s10
	s_waitcnt lgkmcnt(0)
	v_add_nc_u32_e32 v3, v26, v3
	ds_bpermute_b32 v3, v18, v3
	s_waitcnt lgkmcnt(0)
	v_cndmask_b32_e32 v3, v3, v26, vcc_lo
	s_delay_alu instid0(VALU_DEP_1) | instskip(NEXT) | instid1(VALU_DEP_1)
	v_cndmask_b32_e64 v3, v3, 0, s7
	v_add_nc_u32_e32 v4, v3, v4
	s_delay_alu instid0(VALU_DEP_1) | instskip(NEXT) | instid1(VALU_DEP_1)
	v_add_nc_u32_e32 v5, v4, v5
	v_add_nc_u32_e32 v6, v5, v6
	s_delay_alu instid0(VALU_DEP_1) | instskip(NEXT) | instid1(VALU_DEP_1)
	v_add_nc_u32_e32 v26, v6, v7
	;; [unrolled: 3-line block ×3, first 2 shown]
	v_add_nc_u32_e32 v1, v0, v2
	ds_store_2addr_b64 v15, v[3:4], v[5:6] offset0:1 offset1:2
	ds_store_2addr_b64 v16, v[26:27], v[0:1] offset0:2 offset1:3
	s_waitcnt lgkmcnt(0)
	s_barrier
	buffer_gl0_inv
	ds_load_b32 v0, v25
	v_lshlrev_b32_e32 v1, 3, v24
	s_waitcnt lgkmcnt(0)
	s_barrier
	buffer_gl0_inv
	v_lshl_add_u32 v0, v0, 3, v1
	ds_store_b64 v0, v[13:14]
	s_waitcnt lgkmcnt(0)
	s_barrier
	buffer_gl0_inv
	ds_load_b64 v[13:14], v21
	s_waitcnt lgkmcnt(0)
	s_barrier
	buffer_gl0_inv
	v_bfe_u32 v0, v13, 24, 1
	v_lshrrev_b32_e32 v5, 24, v13
	s_delay_alu instid0(VALU_DEP_2) | instskip(NEXT) | instid1(VALU_DEP_1)
	v_add_co_u32 v0, s10, v0, -1
	v_cndmask_b32_e64 v1, 0, 1, s10
	s_delay_alu instid0(VALU_DEP_3)
	v_lshlrev_b32_e32 v2, 30, v5
	v_lshlrev_b32_e32 v3, 29, v5
	;; [unrolled: 1-line block ×4, first 2 shown]
	v_cmp_ne_u32_e64 s10, 0, v1
	v_not_b32_e32 v1, v2
	v_cmp_gt_i32_e64 s11, 0, v2
	v_not_b32_e32 v2, v3
	v_lshlrev_b32_e32 v7, 26, v5
	v_xor_b32_e32 v0, s10, v0
	v_ashrrev_i32_e32 v1, 31, v1
	v_cmp_gt_i32_e64 s10, 0, v3
	v_not_b32_e32 v3, v4
	v_ashrrev_i32_e32 v2, 31, v2
	v_and_b32_e32 v0, exec_lo, v0
	v_xor_b32_e32 v1, s11, v1
	v_cmp_gt_i32_e64 s11, 0, v4
	v_not_b32_e32 v4, v6
	v_ashrrev_i32_e32 v3, 31, v3
	v_xor_b32_e32 v2, s10, v2
	v_and_b32_e32 v0, v0, v1
	v_lshlrev_b32_e32 v24, 25, v5
	v_cmp_gt_i32_e64 s10, 0, v6
	v_not_b32_e32 v1, v7
	v_ashrrev_i32_e32 v4, 31, v4
	v_xor_b32_e32 v3, s11, v3
	v_and_b32_e32 v0, v0, v2
	v_cmp_gt_i32_e64 s11, 0, v7
	v_not_b32_e32 v2, v24
	v_ashrrev_i32_e32 v1, 31, v1
	v_xor_b32_e32 v4, s10, v4
	v_and_b32_e32 v0, v0, v3
	v_not_b32_e32 v3, v13
	v_cmp_gt_i32_e64 s10, 0, v24
	v_ashrrev_i32_e32 v2, 31, v2
	v_xor_b32_e32 v1, s11, v1
	v_and_b32_e32 v0, v0, v4
	v_cmp_gt_i32_e64 s11, 0, v13
	v_ashrrev_i32_e32 v3, 31, v3
	v_xor_b32_e32 v2, s10, v2
	s_delay_alu instid0(VALU_DEP_4) | instskip(NEXT) | instid1(VALU_DEP_3)
	v_and_b32_e32 v0, v0, v1
	v_xor_b32_e32 v3, s11, v3
	s_delay_alu instid0(VALU_DEP_2) | instskip(SKIP_1) | instid1(VALU_DEP_2)
	v_dual_mov_b32 v1, s20 :: v_dual_and_b32 v0, v0, v2
	v_mov_b32_e32 v2, s21
	v_dual_mov_b32 v3, s16 :: v_dual_and_b32 v0, v0, v3
	v_mov_b32_e32 v4, s17
	ds_store_2addr_b64 v15, v[1:2], v[3:4] offset0:1 offset1:2
	ds_store_2addr_b64 v16, v[1:2], v[3:4] offset0:2 offset1:3
	v_mbcnt_lo_u32_b32 v24, v0, 0
	v_lshl_add_u32 v1, v5, 1, v22
	v_cmp_ne_u32_e64 s11, 0, v0
	s_waitcnt lgkmcnt(0)
	s_barrier
	v_cmp_eq_u32_e64 s10, 0, v24
	v_lshl_add_u32 v25, v1, 2, 8
	buffer_gl0_inv
	; wave barrier
	s_and_b32 s11, s11, s10
	s_delay_alu instid0(SALU_CYCLE_1)
	s_and_saveexec_b32 s10, s11
	s_cbranch_execz .LBB336_60
; %bb.59:                               ;   in Loop: Header=BB336_2 Depth=1
	v_bcnt_u32_b32 v0, v0, 0
	ds_store_b32 v25, v0
.LBB336_60:                             ;   in Loop: Header=BB336_2 Depth=1
	s_or_b32 exec_lo, exec_lo, s10
	; wave barrier
	s_waitcnt lgkmcnt(0)
	s_barrier
	buffer_gl0_inv
	ds_load_2addr_b64 v[4:7], v15 offset0:1 offset1:2
	ds_load_2addr_b64 v[0:3], v16 offset0:2 offset1:3
	s_waitcnt lgkmcnt(1)
	v_add_nc_u32_e32 v26, v5, v4
	s_delay_alu instid0(VALU_DEP_1) | instskip(SKIP_1) | instid1(VALU_DEP_1)
	v_add3_u32 v26, v26, v6, v7
	s_waitcnt lgkmcnt(0)
	v_add3_u32 v26, v26, v0, v1
	s_delay_alu instid0(VALU_DEP_1) | instskip(NEXT) | instid1(VALU_DEP_1)
	v_add3_u32 v3, v26, v2, v3
	v_mov_b32_dpp v26, v3 row_shr:1 row_mask:0xf bank_mask:0xf
	s_delay_alu instid0(VALU_DEP_1) | instskip(NEXT) | instid1(VALU_DEP_1)
	v_cndmask_b32_e64 v26, v26, 0, s0
	v_add_nc_u32_e32 v3, v26, v3
	s_delay_alu instid0(VALU_DEP_1) | instskip(NEXT) | instid1(VALU_DEP_1)
	v_mov_b32_dpp v26, v3 row_shr:2 row_mask:0xf bank_mask:0xf
	v_cndmask_b32_e64 v26, 0, v26, s1
	s_delay_alu instid0(VALU_DEP_1) | instskip(NEXT) | instid1(VALU_DEP_1)
	v_add_nc_u32_e32 v3, v3, v26
	v_mov_b32_dpp v26, v3 row_shr:4 row_mask:0xf bank_mask:0xf
	s_delay_alu instid0(VALU_DEP_1) | instskip(NEXT) | instid1(VALU_DEP_1)
	v_cndmask_b32_e64 v26, 0, v26, s2
	v_add_nc_u32_e32 v3, v3, v26
	s_delay_alu instid0(VALU_DEP_1) | instskip(NEXT) | instid1(VALU_DEP_1)
	v_mov_b32_dpp v26, v3 row_shr:8 row_mask:0xf bank_mask:0xf
	v_cndmask_b32_e64 v26, 0, v26, s3
	s_delay_alu instid0(VALU_DEP_1) | instskip(SKIP_3) | instid1(VALU_DEP_1)
	v_add_nc_u32_e32 v3, v3, v26
	ds_swizzle_b32 v26, v3 offset:swizzle(BROADCAST,32,15)
	s_waitcnt lgkmcnt(0)
	v_cndmask_b32_e64 v26, v26, 0, s4
	v_add_nc_u32_e32 v3, v3, v26
	s_and_saveexec_b32 s10, s9
	s_cbranch_execz .LBB336_62
; %bb.61:                               ;   in Loop: Header=BB336_2 Depth=1
	ds_store_b32 v17, v3
.LBB336_62:                             ;   in Loop: Header=BB336_2 Depth=1
	s_or_b32 exec_lo, exec_lo, s10
	s_waitcnt lgkmcnt(0)
	s_barrier
	buffer_gl0_inv
	s_and_saveexec_b32 s10, s5
	s_cbranch_execz .LBB336_64
; %bb.63:                               ;   in Loop: Header=BB336_2 Depth=1
	ds_load_b32 v26, v19
	s_waitcnt lgkmcnt(0)
	v_mov_b32_dpp v27, v26 row_shr:1 row_mask:0xf bank_mask:0xf
	s_delay_alu instid0(VALU_DEP_1) | instskip(NEXT) | instid1(VALU_DEP_1)
	v_cndmask_b32_e64 v27, v27, 0, s8
	v_add_nc_u32_e32 v26, v27, v26
	ds_store_b32 v19, v26
.LBB336_64:                             ;   in Loop: Header=BB336_2 Depth=1
	s_or_b32 exec_lo, exec_lo, s10
	v_mov_b32_e32 v26, 0
	s_waitcnt lgkmcnt(0)
	s_barrier
	buffer_gl0_inv
	s_and_saveexec_b32 s10, s6
	s_cbranch_execz .LBB336_1
; %bb.65:                               ;   in Loop: Header=BB336_2 Depth=1
	ds_load_b32 v26, v20
	s_branch .LBB336_1
.LBB336_66:
	s_waitcnt lgkmcnt(0)
	v_xor_b32_e32 v1, 0x80000000, v14
	v_xor_b32_e32 v0, 0x80000000, v13
	v_lshlrev_b32_e32 v2, 3, v8
	s_add_u32 s0, s18, s14
	s_addc_u32 s1, s19, s15
	global_store_b64 v2, v[0:1], s[0:1]
	s_nop 0
	s_sendmsg sendmsg(MSG_DEALLOC_VGPRS)
	s_endpgm
	.section	.rodata,"a",@progbits
	.p2align	6, 0x0
	.amdhsa_kernel _Z16sort_keys_kernelI22helper_blocked_stripedN15benchmark_utils11custom_typeIiiEELj64ELj1ELj10EEvPKT0_PS4_
		.amdhsa_group_segment_fixed_size 2064
		.amdhsa_private_segment_fixed_size 0
		.amdhsa_kernarg_size 272
		.amdhsa_user_sgpr_count 15
		.amdhsa_user_sgpr_dispatch_ptr 0
		.amdhsa_user_sgpr_queue_ptr 0
		.amdhsa_user_sgpr_kernarg_segment_ptr 1
		.amdhsa_user_sgpr_dispatch_id 0
		.amdhsa_user_sgpr_private_segment_size 0
		.amdhsa_wavefront_size32 1
		.amdhsa_uses_dynamic_stack 0
		.amdhsa_enable_private_segment 0
		.amdhsa_system_sgpr_workgroup_id_x 1
		.amdhsa_system_sgpr_workgroup_id_y 0
		.amdhsa_system_sgpr_workgroup_id_z 0
		.amdhsa_system_sgpr_workgroup_info 0
		.amdhsa_system_vgpr_workitem_id 2
		.amdhsa_next_free_vgpr 28
		.amdhsa_next_free_sgpr 22
		.amdhsa_reserve_vcc 1
		.amdhsa_float_round_mode_32 0
		.amdhsa_float_round_mode_16_64 0
		.amdhsa_float_denorm_mode_32 3
		.amdhsa_float_denorm_mode_16_64 3
		.amdhsa_dx10_clamp 1
		.amdhsa_ieee_mode 1
		.amdhsa_fp16_overflow 0
		.amdhsa_workgroup_processor_mode 1
		.amdhsa_memory_ordered 1
		.amdhsa_forward_progress 0
		.amdhsa_shared_vgpr_count 0
		.amdhsa_exception_fp_ieee_invalid_op 0
		.amdhsa_exception_fp_denorm_src 0
		.amdhsa_exception_fp_ieee_div_zero 0
		.amdhsa_exception_fp_ieee_overflow 0
		.amdhsa_exception_fp_ieee_underflow 0
		.amdhsa_exception_fp_ieee_inexact 0
		.amdhsa_exception_int_div_zero 0
	.end_amdhsa_kernel
	.section	.text._Z16sort_keys_kernelI22helper_blocked_stripedN15benchmark_utils11custom_typeIiiEELj64ELj1ELj10EEvPKT0_PS4_,"axG",@progbits,_Z16sort_keys_kernelI22helper_blocked_stripedN15benchmark_utils11custom_typeIiiEELj64ELj1ELj10EEvPKT0_PS4_,comdat
.Lfunc_end336:
	.size	_Z16sort_keys_kernelI22helper_blocked_stripedN15benchmark_utils11custom_typeIiiEELj64ELj1ELj10EEvPKT0_PS4_, .Lfunc_end336-_Z16sort_keys_kernelI22helper_blocked_stripedN15benchmark_utils11custom_typeIiiEELj64ELj1ELj10EEvPKT0_PS4_
                                        ; -- End function
	.section	.AMDGPU.csdata,"",@progbits
; Kernel info:
; codeLenInByte = 7696
; NumSgprs: 24
; NumVgprs: 28
; ScratchSize: 0
; MemoryBound: 0
; FloatMode: 240
; IeeeMode: 1
; LDSByteSize: 2064 bytes/workgroup (compile time only)
; SGPRBlocks: 2
; VGPRBlocks: 3
; NumSGPRsForWavesPerEU: 24
; NumVGPRsForWavesPerEU: 28
; Occupancy: 16
; WaveLimiterHint : 0
; COMPUTE_PGM_RSRC2:SCRATCH_EN: 0
; COMPUTE_PGM_RSRC2:USER_SGPR: 15
; COMPUTE_PGM_RSRC2:TRAP_HANDLER: 0
; COMPUTE_PGM_RSRC2:TGID_X_EN: 1
; COMPUTE_PGM_RSRC2:TGID_Y_EN: 0
; COMPUTE_PGM_RSRC2:TGID_Z_EN: 0
; COMPUTE_PGM_RSRC2:TIDIG_COMP_CNT: 2
	.section	.text._Z17sort_pairs_kernelI22helper_blocked_stripedN15benchmark_utils11custom_typeIiiEELj64ELj1ELj10EEvPKT0_PS4_,"axG",@progbits,_Z17sort_pairs_kernelI22helper_blocked_stripedN15benchmark_utils11custom_typeIiiEELj64ELj1ELj10EEvPKT0_PS4_,comdat
	.protected	_Z17sort_pairs_kernelI22helper_blocked_stripedN15benchmark_utils11custom_typeIiiEELj64ELj1ELj10EEvPKT0_PS4_ ; -- Begin function _Z17sort_pairs_kernelI22helper_blocked_stripedN15benchmark_utils11custom_typeIiiEELj64ELj1ELj10EEvPKT0_PS4_
	.globl	_Z17sort_pairs_kernelI22helper_blocked_stripedN15benchmark_utils11custom_typeIiiEELj64ELj1ELj10EEvPKT0_PS4_
	.p2align	8
	.type	_Z17sort_pairs_kernelI22helper_blocked_stripedN15benchmark_utils11custom_typeIiiEELj64ELj1ELj10EEvPKT0_PS4_,@function
_Z17sort_pairs_kernelI22helper_blocked_stripedN15benchmark_utils11custom_typeIiiEELj64ELj1ELj10EEvPKT0_PS4_: ; @_Z17sort_pairs_kernelI22helper_blocked_stripedN15benchmark_utils11custom_typeIiiEELj64ELj1ELj10EEvPKT0_PS4_
; %bb.0:
	s_clause 0x1
	s_load_b128 s[16:19], s[0:1], 0x0
	s_load_b32 s9, s[0:1], 0x1c
	s_mov_b32 s21, 0
	s_lshl_b32 s20, s15, 6
	v_mbcnt_lo_u32_b32 v5, -1, 0
	s_lshl_b64 s[14:15], s[20:21], 3
	v_bfe_u32 v3, v0, 10, 10
	s_mov_b32 s20, s21
	s_mov_b32 s13, 10
	v_and_b32_e32 v6, 16, v5
	v_add_nc_u32_e32 v7, -1, v5
	v_dual_mov_b32 v11, s20 :: v_dual_and_b32 v4, 15, v5
	v_dual_mov_b32 v12, s21 :: v_dual_and_b32 v13, 1, v5
	s_delay_alu instid0(VALU_DEP_4) | instskip(NEXT) | instid1(VALU_DEP_4)
	v_cmp_eq_u32_e64 s4, 0, v6
	v_cmp_gt_i32_e64 s7, 0, v7
	s_delay_alu instid0(VALU_DEP_4)
	v_cmp_lt_u32_e64 s2, 3, v4
	v_cmp_lt_u32_e64 s3, 7, v4
	v_cmp_eq_u32_e64 s8, 0, v13
	s_waitcnt lgkmcnt(0)
	s_add_u32 s0, s16, s14
	s_addc_u32 s1, s17, s15
	s_mov_b32 s16, s21
	s_mov_b32 s17, s21
	v_dual_mov_b32 v9, s16 :: v_dual_and_b32 v8, 0x3ff, v0
	v_mov_b32_e32 v10, s17
	v_bfe_u32 v0, v0, 20, 10
	s_lshr_b32 s10, s9, 16
	s_delay_alu instid0(VALU_DEP_3)
	v_lshlrev_b32_e32 v1, 3, v8
	v_lshlrev_b32_e32 v19, 5, v8
	v_and_b32_e32 v6, 32, v8
	v_mad_u32_u24 v0, v0, s10, v3
	v_lshrrev_b32_e32 v14, 3, v8
	global_load_b64 v[1:2], v1, s[0:1]
	s_and_b32 s9, s9, 0xffff
	v_cmp_eq_u32_e64 s0, 0, v4
	v_cmp_lt_u32_e64 s1, 1, v4
	v_mad_u64_u32 v[3:4], null, v0, s9, v[8:9]
	v_cndmask_b32_e64 v7, v7, v5, s7
	v_lshlrev_b32_e32 v17, 2, v8
	v_or_b32_e32 v13, 31, v6
	v_and_b32_e32 v21, 4, v14
	v_or_b32_e32 v0, v5, v6
	v_mad_i32_i24 v23, 0xffffffe4, v8, v19
	v_cmp_eq_u32_e32 vcc_lo, 0, v5
	v_cmp_gt_u32_e64 s5, 2, v8
	v_cmp_lt_u32_e64 s6, 31, v8
	v_cmp_eq_u32_e64 s7, 0, v8
	v_or_b32_e32 v20, 8, v19
	v_lshlrev_b32_e32 v22, 2, v7
	v_cmp_eq_u32_e64 s9, v13, v8
	v_add_nc_u32_e32 v24, -4, v21
	v_lshlrev_b32_e32 v25, 3, v0
	v_lshrrev_b32_e32 v26, 5, v3
	v_add_nc_u32_e32 v27, v23, v17
	s_waitcnt vmcnt(0)
	v_add_nc_u32_e32 v13, 1, v1
	v_add_nc_u32_e32 v14, 1, v2
	v_xor_b32_e32 v15, 0x80000000, v1
	v_xor_b32_e32 v16, 0x80000000, v2
	s_branch .LBB337_2
.LBB337_1:                              ;   in Loop: Header=BB337_2 Depth=1
	s_or_b32 exec_lo, exec_lo, s10
	s_waitcnt lgkmcnt(0)
	v_add_nc_u32_e32 v3, v28, v3
	s_add_i32 s13, s13, -1
	s_delay_alu instid0(SALU_CYCLE_1) | instskip(SKIP_3) | instid1(VALU_DEP_1)
	s_cmp_lg_u32 s13, 0
	ds_bpermute_b32 v3, v22, v3
	s_waitcnt lgkmcnt(0)
	v_cndmask_b32_e32 v3, v3, v28, vcc_lo
	v_cndmask_b32_e64 v3, v3, 0, s7
	s_delay_alu instid0(VALU_DEP_1) | instskip(NEXT) | instid1(VALU_DEP_1)
	v_add_nc_u32_e32 v4, v3, v4
	v_add_nc_u32_e32 v5, v4, v5
	s_delay_alu instid0(VALU_DEP_1) | instskip(NEXT) | instid1(VALU_DEP_1)
	v_add_nc_u32_e32 v6, v5, v6
	v_add_nc_u32_e32 v28, v6, v7
	;; [unrolled: 3-line block ×3, first 2 shown]
	s_delay_alu instid0(VALU_DEP_1)
	v_add_nc_u32_e32 v1, v0, v2
	ds_store_2addr_b64 v19, v[3:4], v[5:6] offset0:1 offset1:2
	ds_store_2addr_b64 v20, v[28:29], v[0:1] offset0:2 offset1:3
	s_waitcnt lgkmcnt(0)
	s_barrier
	buffer_gl0_inv
	ds_load_b32 v0, v16
	v_lshlrev_b32_e32 v1, 3, v15
	s_waitcnt lgkmcnt(0)
	s_barrier
	buffer_gl0_inv
	v_lshl_add_u32 v0, v0, 3, v1
	ds_store_b64 v0, v[13:14]
	s_waitcnt lgkmcnt(0)
	s_barrier
	buffer_gl0_inv
	ds_load_b64 v[15:16], v27
	s_waitcnt lgkmcnt(0)
	s_barrier
	buffer_gl0_inv
	ds_store_b64 v0, v[17:18]
	s_waitcnt lgkmcnt(0)
	s_barrier
	buffer_gl0_inv
	ds_load_b64 v[13:14], v27
	s_cbranch_scc0 .LBB337_66
.LBB337_2:                              ; =>This Inner Loop Header: Depth=1
	s_delay_alu instid0(VALU_DEP_1)
	v_and_b32_e32 v0, 1, v16
	v_lshlrev_b32_e32 v1, 30, v16
	v_lshlrev_b32_e32 v2, 29, v16
	;; [unrolled: 1-line block ×4, first 2 shown]
	v_add_co_u32 v0, s10, v0, -1
	s_delay_alu instid0(VALU_DEP_1)
	v_cndmask_b32_e64 v3, 0, 1, s10
	v_not_b32_e32 v7, v1
	v_cmp_gt_i32_e64 s11, 0, v1
	v_not_b32_e32 v1, v2
	v_lshlrev_b32_e32 v6, 26, v16
	v_cmp_ne_u32_e64 s10, 0, v3
	v_ashrrev_i32_e32 v7, 31, v7
	v_lshlrev_b32_e32 v3, 25, v16
	v_ashrrev_i32_e32 v1, 31, v1
	v_cmp_gt_i32_e64 s12, 0, v5
	v_xor_b32_e32 v0, s10, v0
	v_cmp_gt_i32_e64 s10, 0, v2
	v_not_b32_e32 v2, v4
	v_xor_b32_e32 v7, s11, v7
	v_cmp_gt_i32_e64 s11, 0, v4
	v_and_b32_e32 v0, exec_lo, v0
	v_xor_b32_e32 v1, s10, v1
	v_ashrrev_i32_e32 v2, 31, v2
	v_not_b32_e32 v4, v5
	v_not_b32_e32 v5, v6
	v_and_b32_e32 v0, v0, v7
	v_cmp_gt_i32_e64 s10, 0, v6
	v_xor_b32_e32 v2, s11, v2
	v_not_b32_e32 v6, v3
	ds_store_2addr_b64 v19, v[11:12], v[9:10] offset0:1 offset1:2
	ds_store_2addr_b64 v20, v[11:12], v[9:10] offset0:2 offset1:3
	v_and_b32_e32 v0, v0, v1
	v_ashrrev_i32_e32 v1, 31, v4
	v_ashrrev_i32_e32 v4, 31, v5
	v_lshlrev_b32_e32 v5, 24, v16
	s_waitcnt lgkmcnt(0)
	v_and_b32_e32 v0, v0, v2
	v_xor_b32_e32 v1, s12, v1
	v_xor_b32_e32 v2, s10, v4
	v_cmp_gt_i32_e64 s10, 0, v3
	v_not_b32_e32 v3, v5
	v_ashrrev_i32_e32 v4, 31, v6
	v_and_b32_e32 v0, v0, v1
	v_cmp_gt_i32_e64 s11, 0, v5
	s_barrier
	v_ashrrev_i32_e32 v1, 31, v3
	v_xor_b32_e32 v3, s10, v4
	v_and_b32_e32 v0, v0, v2
	buffer_gl0_inv
	v_xor_b32_e32 v1, s11, v1
	; wave barrier
	v_and_b32_e32 v0, v0, v3
	s_delay_alu instid0(VALU_DEP_1) | instskip(SKIP_1) | instid1(VALU_DEP_2)
	v_and_b32_e32 v0, v0, v1
	v_and_b32_e32 v1, 0xff, v16
	v_mbcnt_lo_u32_b32 v17, v0, 0
	s_delay_alu instid0(VALU_DEP_2) | instskip(SKIP_1) | instid1(VALU_DEP_3)
	v_lshl_add_u32 v1, v1, 1, v26
	v_cmp_ne_u32_e64 s11, 0, v0
	v_cmp_eq_u32_e64 s10, 0, v17
	s_delay_alu instid0(VALU_DEP_3) | instskip(NEXT) | instid1(VALU_DEP_2)
	v_lshl_add_u32 v18, v1, 2, 8
	s_and_b32 s11, s11, s10
	s_delay_alu instid0(SALU_CYCLE_1)
	s_and_saveexec_b32 s10, s11
	s_cbranch_execz .LBB337_4
; %bb.3:                                ;   in Loop: Header=BB337_2 Depth=1
	v_bcnt_u32_b32 v0, v0, 0
	ds_store_b32 v18, v0
.LBB337_4:                              ;   in Loop: Header=BB337_2 Depth=1
	s_or_b32 exec_lo, exec_lo, s10
	; wave barrier
	s_waitcnt lgkmcnt(0)
	s_barrier
	buffer_gl0_inv
	ds_load_2addr_b64 v[4:7], v19 offset0:1 offset1:2
	ds_load_2addr_b64 v[0:3], v20 offset0:2 offset1:3
	s_waitcnt lgkmcnt(1)
	v_add_nc_u32_e32 v28, v5, v4
	s_delay_alu instid0(VALU_DEP_1) | instskip(SKIP_1) | instid1(VALU_DEP_1)
	v_add3_u32 v28, v28, v6, v7
	s_waitcnt lgkmcnt(0)
	v_add3_u32 v28, v28, v0, v1
	s_delay_alu instid0(VALU_DEP_1) | instskip(NEXT) | instid1(VALU_DEP_1)
	v_add3_u32 v3, v28, v2, v3
	v_mov_b32_dpp v28, v3 row_shr:1 row_mask:0xf bank_mask:0xf
	s_delay_alu instid0(VALU_DEP_1) | instskip(NEXT) | instid1(VALU_DEP_1)
	v_cndmask_b32_e64 v28, v28, 0, s0
	v_add_nc_u32_e32 v3, v28, v3
	s_delay_alu instid0(VALU_DEP_1) | instskip(NEXT) | instid1(VALU_DEP_1)
	v_mov_b32_dpp v28, v3 row_shr:2 row_mask:0xf bank_mask:0xf
	v_cndmask_b32_e64 v28, 0, v28, s1
	s_delay_alu instid0(VALU_DEP_1) | instskip(NEXT) | instid1(VALU_DEP_1)
	v_add_nc_u32_e32 v3, v3, v28
	v_mov_b32_dpp v28, v3 row_shr:4 row_mask:0xf bank_mask:0xf
	s_delay_alu instid0(VALU_DEP_1) | instskip(NEXT) | instid1(VALU_DEP_1)
	v_cndmask_b32_e64 v28, 0, v28, s2
	v_add_nc_u32_e32 v3, v3, v28
	s_delay_alu instid0(VALU_DEP_1) | instskip(NEXT) | instid1(VALU_DEP_1)
	v_mov_b32_dpp v28, v3 row_shr:8 row_mask:0xf bank_mask:0xf
	v_cndmask_b32_e64 v28, 0, v28, s3
	s_delay_alu instid0(VALU_DEP_1) | instskip(SKIP_3) | instid1(VALU_DEP_1)
	v_add_nc_u32_e32 v3, v3, v28
	ds_swizzle_b32 v28, v3 offset:swizzle(BROADCAST,32,15)
	s_waitcnt lgkmcnt(0)
	v_cndmask_b32_e64 v28, v28, 0, s4
	v_add_nc_u32_e32 v3, v3, v28
	s_and_saveexec_b32 s10, s9
	s_cbranch_execz .LBB337_6
; %bb.5:                                ;   in Loop: Header=BB337_2 Depth=1
	ds_store_b32 v21, v3
.LBB337_6:                              ;   in Loop: Header=BB337_2 Depth=1
	s_or_b32 exec_lo, exec_lo, s10
	s_waitcnt lgkmcnt(0)
	s_barrier
	buffer_gl0_inv
	s_and_saveexec_b32 s10, s5
	s_cbranch_execz .LBB337_8
; %bb.7:                                ;   in Loop: Header=BB337_2 Depth=1
	ds_load_b32 v28, v23
	s_waitcnt lgkmcnt(0)
	v_mov_b32_dpp v29, v28 row_shr:1 row_mask:0xf bank_mask:0xf
	s_delay_alu instid0(VALU_DEP_1) | instskip(NEXT) | instid1(VALU_DEP_1)
	v_cndmask_b32_e64 v29, v29, 0, s8
	v_add_nc_u32_e32 v28, v29, v28
	ds_store_b32 v23, v28
.LBB337_8:                              ;   in Loop: Header=BB337_2 Depth=1
	s_or_b32 exec_lo, exec_lo, s10
	v_mov_b32_e32 v28, 0
	s_waitcnt lgkmcnt(0)
	s_barrier
	buffer_gl0_inv
	s_and_saveexec_b32 s10, s6
	s_cbranch_execz .LBB337_10
; %bb.9:                                ;   in Loop: Header=BB337_2 Depth=1
	ds_load_b32 v28, v24
.LBB337_10:                             ;   in Loop: Header=BB337_2 Depth=1
	s_or_b32 exec_lo, exec_lo, s10
	s_waitcnt lgkmcnt(0)
	v_add_nc_u32_e32 v3, v28, v3
	ds_bpermute_b32 v3, v22, v3
	s_waitcnt lgkmcnt(0)
	v_cndmask_b32_e32 v3, v3, v28, vcc_lo
	s_delay_alu instid0(VALU_DEP_1) | instskip(NEXT) | instid1(VALU_DEP_1)
	v_cndmask_b32_e64 v3, v3, 0, s7
	v_add_nc_u32_e32 v4, v3, v4
	s_delay_alu instid0(VALU_DEP_1) | instskip(NEXT) | instid1(VALU_DEP_1)
	v_add_nc_u32_e32 v5, v4, v5
	v_add_nc_u32_e32 v6, v5, v6
	s_delay_alu instid0(VALU_DEP_1) | instskip(NEXT) | instid1(VALU_DEP_1)
	v_add_nc_u32_e32 v28, v6, v7
	;; [unrolled: 3-line block ×3, first 2 shown]
	v_add_nc_u32_e32 v1, v0, v2
	ds_store_2addr_b64 v19, v[3:4], v[5:6] offset0:1 offset1:2
	ds_store_2addr_b64 v20, v[28:29], v[0:1] offset0:2 offset1:3
	s_waitcnt lgkmcnt(0)
	s_barrier
	buffer_gl0_inv
	ds_load_b32 v0, v18
	v_lshlrev_b32_e32 v1, 3, v17
	s_waitcnt lgkmcnt(0)
	s_barrier
	buffer_gl0_inv
	v_lshl_add_u32 v0, v0, 3, v1
	ds_store_b64 v0, v[15:16]
	s_waitcnt lgkmcnt(0)
	s_barrier
	buffer_gl0_inv
	ds_load_b64 v[17:18], v25
	s_waitcnt lgkmcnt(0)
	s_barrier
	buffer_gl0_inv
	ds_store_b64 v0, v[13:14]
	s_waitcnt lgkmcnt(0)
	s_barrier
	buffer_gl0_inv
	v_bfe_u32 v1, v18, 8, 1
	v_lshrrev_b32_e32 v2, 8, v18
	s_delay_alu instid0(VALU_DEP_2) | instskip(NEXT) | instid1(VALU_DEP_1)
	v_add_co_u32 v1, s10, v1, -1
	v_cndmask_b32_e64 v3, 0, 1, s10
	s_delay_alu instid0(VALU_DEP_3)
	v_lshlrev_b32_e32 v4, 30, v2
	v_lshlrev_b32_e32 v5, 29, v2
	;; [unrolled: 1-line block ×4, first 2 shown]
	v_cmp_ne_u32_e64 s10, 0, v3
	v_not_b32_e32 v3, v4
	v_cmp_gt_i32_e64 s11, 0, v4
	v_not_b32_e32 v4, v5
	v_lshlrev_b32_e32 v15, 26, v2
	v_xor_b32_e32 v1, s10, v1
	v_ashrrev_i32_e32 v3, 31, v3
	v_cmp_gt_i32_e64 s10, 0, v5
	v_not_b32_e32 v5, v6
	v_ashrrev_i32_e32 v4, 31, v4
	v_and_b32_e32 v1, exec_lo, v1
	v_xor_b32_e32 v3, s11, v3
	v_cmp_gt_i32_e64 s11, 0, v6
	v_not_b32_e32 v6, v7
	v_ashrrev_i32_e32 v5, 31, v5
	v_xor_b32_e32 v4, s10, v4
	v_and_b32_e32 v1, v1, v3
	v_lshlrev_b32_e32 v16, 25, v2
	v_cmp_gt_i32_e64 s10, 0, v7
	v_not_b32_e32 v3, v15
	v_ashrrev_i32_e32 v6, 31, v6
	v_xor_b32_e32 v5, s11, v5
	v_and_b32_e32 v1, v1, v4
	v_lshlrev_b32_e32 v2, 24, v2
	v_cmp_gt_i32_e64 s11, 0, v15
	v_not_b32_e32 v4, v16
	v_ashrrev_i32_e32 v3, 31, v3
	v_xor_b32_e32 v6, s10, v6
	v_and_b32_e32 v1, v1, v5
	v_cmp_gt_i32_e64 s10, 0, v16
	v_not_b32_e32 v5, v2
	v_ashrrev_i32_e32 v4, 31, v4
	v_xor_b32_e32 v3, s11, v3
	v_and_b32_e32 v1, v1, v6
	v_cmp_gt_i32_e64 s11, 0, v2
	v_ashrrev_i32_e32 v2, 31, v5
	v_xor_b32_e32 v4, s10, v4
	ds_load_b64 v[15:16], v25
	v_and_b32_e32 v1, v1, v3
	s_waitcnt lgkmcnt(0)
	v_xor_b32_e32 v0, s11, v2
	v_lshrrev_b32_e32 v2, 7, v18
	s_barrier
	v_and_b32_e32 v1, v1, v4
	buffer_gl0_inv
	ds_store_2addr_b64 v19, v[11:12], v[9:10] offset0:1 offset1:2
	ds_store_2addr_b64 v20, v[11:12], v[9:10] offset0:2 offset1:3
	s_waitcnt lgkmcnt(0)
	s_barrier
	v_and_b32_e32 v0, v1, v0
	v_and_b32_e32 v1, 0x1fe, v2
	buffer_gl0_inv
	; wave barrier
	v_mbcnt_lo_u32_b32 v13, v0, 0
	v_add_nc_u32_e32 v1, v1, v26
	v_cmp_ne_u32_e64 s11, 0, v0
	s_delay_alu instid0(VALU_DEP_3) | instskip(NEXT) | instid1(VALU_DEP_3)
	v_cmp_eq_u32_e64 s10, 0, v13
	v_lshl_add_u32 v14, v1, 2, 8
	s_delay_alu instid0(VALU_DEP_2) | instskip(NEXT) | instid1(SALU_CYCLE_1)
	s_and_b32 s11, s11, s10
	s_and_saveexec_b32 s10, s11
	s_cbranch_execz .LBB337_12
; %bb.11:                               ;   in Loop: Header=BB337_2 Depth=1
	v_bcnt_u32_b32 v0, v0, 0
	ds_store_b32 v14, v0
.LBB337_12:                             ;   in Loop: Header=BB337_2 Depth=1
	s_or_b32 exec_lo, exec_lo, s10
	; wave barrier
	s_waitcnt lgkmcnt(0)
	s_barrier
	buffer_gl0_inv
	ds_load_2addr_b64 v[4:7], v19 offset0:1 offset1:2
	ds_load_2addr_b64 v[0:3], v20 offset0:2 offset1:3
	s_waitcnt lgkmcnt(1)
	v_add_nc_u32_e32 v28, v5, v4
	s_delay_alu instid0(VALU_DEP_1) | instskip(SKIP_1) | instid1(VALU_DEP_1)
	v_add3_u32 v28, v28, v6, v7
	s_waitcnt lgkmcnt(0)
	v_add3_u32 v28, v28, v0, v1
	s_delay_alu instid0(VALU_DEP_1) | instskip(NEXT) | instid1(VALU_DEP_1)
	v_add3_u32 v3, v28, v2, v3
	v_mov_b32_dpp v28, v3 row_shr:1 row_mask:0xf bank_mask:0xf
	s_delay_alu instid0(VALU_DEP_1) | instskip(NEXT) | instid1(VALU_DEP_1)
	v_cndmask_b32_e64 v28, v28, 0, s0
	v_add_nc_u32_e32 v3, v28, v3
	s_delay_alu instid0(VALU_DEP_1) | instskip(NEXT) | instid1(VALU_DEP_1)
	v_mov_b32_dpp v28, v3 row_shr:2 row_mask:0xf bank_mask:0xf
	v_cndmask_b32_e64 v28, 0, v28, s1
	s_delay_alu instid0(VALU_DEP_1) | instskip(NEXT) | instid1(VALU_DEP_1)
	v_add_nc_u32_e32 v3, v3, v28
	v_mov_b32_dpp v28, v3 row_shr:4 row_mask:0xf bank_mask:0xf
	s_delay_alu instid0(VALU_DEP_1) | instskip(NEXT) | instid1(VALU_DEP_1)
	v_cndmask_b32_e64 v28, 0, v28, s2
	v_add_nc_u32_e32 v3, v3, v28
	s_delay_alu instid0(VALU_DEP_1) | instskip(NEXT) | instid1(VALU_DEP_1)
	v_mov_b32_dpp v28, v3 row_shr:8 row_mask:0xf bank_mask:0xf
	v_cndmask_b32_e64 v28, 0, v28, s3
	s_delay_alu instid0(VALU_DEP_1) | instskip(SKIP_3) | instid1(VALU_DEP_1)
	v_add_nc_u32_e32 v3, v3, v28
	ds_swizzle_b32 v28, v3 offset:swizzle(BROADCAST,32,15)
	s_waitcnt lgkmcnt(0)
	v_cndmask_b32_e64 v28, v28, 0, s4
	v_add_nc_u32_e32 v3, v3, v28
	s_and_saveexec_b32 s10, s9
	s_cbranch_execz .LBB337_14
; %bb.13:                               ;   in Loop: Header=BB337_2 Depth=1
	ds_store_b32 v21, v3
.LBB337_14:                             ;   in Loop: Header=BB337_2 Depth=1
	s_or_b32 exec_lo, exec_lo, s10
	s_waitcnt lgkmcnt(0)
	s_barrier
	buffer_gl0_inv
	s_and_saveexec_b32 s10, s5
	s_cbranch_execz .LBB337_16
; %bb.15:                               ;   in Loop: Header=BB337_2 Depth=1
	ds_load_b32 v28, v23
	s_waitcnt lgkmcnt(0)
	v_mov_b32_dpp v29, v28 row_shr:1 row_mask:0xf bank_mask:0xf
	s_delay_alu instid0(VALU_DEP_1) | instskip(NEXT) | instid1(VALU_DEP_1)
	v_cndmask_b32_e64 v29, v29, 0, s8
	v_add_nc_u32_e32 v28, v29, v28
	ds_store_b32 v23, v28
.LBB337_16:                             ;   in Loop: Header=BB337_2 Depth=1
	s_or_b32 exec_lo, exec_lo, s10
	v_mov_b32_e32 v28, 0
	s_waitcnt lgkmcnt(0)
	s_barrier
	buffer_gl0_inv
	s_and_saveexec_b32 s10, s6
	s_cbranch_execz .LBB337_18
; %bb.17:                               ;   in Loop: Header=BB337_2 Depth=1
	ds_load_b32 v28, v24
.LBB337_18:                             ;   in Loop: Header=BB337_2 Depth=1
	s_or_b32 exec_lo, exec_lo, s10
	s_waitcnt lgkmcnt(0)
	v_add_nc_u32_e32 v3, v28, v3
	ds_bpermute_b32 v3, v22, v3
	s_waitcnt lgkmcnt(0)
	v_cndmask_b32_e32 v3, v3, v28, vcc_lo
	s_delay_alu instid0(VALU_DEP_1) | instskip(NEXT) | instid1(VALU_DEP_1)
	v_cndmask_b32_e64 v3, v3, 0, s7
	v_add_nc_u32_e32 v4, v3, v4
	s_delay_alu instid0(VALU_DEP_1) | instskip(NEXT) | instid1(VALU_DEP_1)
	v_add_nc_u32_e32 v5, v4, v5
	v_add_nc_u32_e32 v6, v5, v6
	s_delay_alu instid0(VALU_DEP_1) | instskip(NEXT) | instid1(VALU_DEP_1)
	v_add_nc_u32_e32 v28, v6, v7
	;; [unrolled: 3-line block ×3, first 2 shown]
	v_add_nc_u32_e32 v1, v0, v2
	ds_store_2addr_b64 v19, v[3:4], v[5:6] offset0:1 offset1:2
	ds_store_2addr_b64 v20, v[28:29], v[0:1] offset0:2 offset1:3
	s_waitcnt lgkmcnt(0)
	s_barrier
	buffer_gl0_inv
	ds_load_b32 v0, v14
	v_lshlrev_b32_e32 v1, 3, v13
	s_waitcnt lgkmcnt(0)
	s_barrier
	buffer_gl0_inv
	v_lshl_add_u32 v0, v0, 3, v1
	v_dual_mov_b32 v1, s20 :: v_dual_mov_b32 v2, s21
	ds_store_b64 v0, v[17:18]
	s_waitcnt lgkmcnt(0)
	s_barrier
	buffer_gl0_inv
	ds_load_b64 v[13:14], v25
	s_waitcnt lgkmcnt(0)
	s_barrier
	buffer_gl0_inv
	ds_store_b64 v0, v[15:16]
	s_waitcnt lgkmcnt(0)
	s_barrier
	buffer_gl0_inv
	ds_load_b64 v[15:16], v25
	s_waitcnt lgkmcnt(0)
	s_barrier
	buffer_gl0_inv
	v_bfe_u32 v3, v14, 16, 1
	v_lshrrev_b32_e32 v4, 16, v14
	s_delay_alu instid0(VALU_DEP_2) | instskip(NEXT) | instid1(VALU_DEP_1)
	v_add_co_u32 v3, s10, v3, -1
	v_cndmask_b32_e64 v5, 0, 1, s10
	s_delay_alu instid0(VALU_DEP_3)
	v_lshlrev_b32_e32 v6, 30, v4
	v_lshlrev_b32_e32 v7, 29, v4
	;; [unrolled: 1-line block ×4, first 2 shown]
	v_cmp_ne_u32_e64 s10, 0, v5
	v_not_b32_e32 v5, v6
	v_cmp_gt_i32_e64 s11, 0, v6
	v_not_b32_e32 v6, v7
	v_lshlrev_b32_e32 v28, 26, v4
	v_xor_b32_e32 v3, s10, v3
	v_ashrrev_i32_e32 v5, 31, v5
	v_cmp_gt_i32_e64 s10, 0, v7
	v_not_b32_e32 v7, v17
	v_ashrrev_i32_e32 v6, 31, v6
	v_and_b32_e32 v3, exec_lo, v3
	v_xor_b32_e32 v5, s11, v5
	v_cmp_gt_i32_e64 s11, 0, v17
	v_not_b32_e32 v17, v18
	v_ashrrev_i32_e32 v7, 31, v7
	v_xor_b32_e32 v6, s10, v6
	v_and_b32_e32 v3, v3, v5
	v_lshlrev_b32_e32 v29, 25, v4
	v_cmp_gt_i32_e64 s10, 0, v18
	v_not_b32_e32 v5, v28
	v_ashrrev_i32_e32 v17, 31, v17
	v_xor_b32_e32 v7, s11, v7
	v_and_b32_e32 v3, v3, v6
	v_lshlrev_b32_e32 v4, 24, v4
	v_cmp_gt_i32_e64 s11, 0, v28
	v_not_b32_e32 v6, v29
	v_ashrrev_i32_e32 v5, 31, v5
	v_xor_b32_e32 v17, s10, v17
	v_and_b32_e32 v3, v3, v7
	v_cmp_gt_i32_e64 s10, 0, v29
	v_not_b32_e32 v7, v4
	v_ashrrev_i32_e32 v6, 31, v6
	v_xor_b32_e32 v5, s11, v5
	v_and_b32_e32 v3, v3, v17
	v_cmp_gt_i32_e64 s11, 0, v4
	v_ashrrev_i32_e32 v4, 31, v7
	v_xor_b32_e32 v6, s10, v6
	s_delay_alu instid0(VALU_DEP_4) | instskip(NEXT) | instid1(VALU_DEP_3)
	v_and_b32_e32 v3, v3, v5
	v_xor_b32_e32 v0, s11, v4
	s_delay_alu instid0(VALU_DEP_2)
	v_and_b32_e32 v5, v3, v6
	v_mov_b32_e32 v3, s16
	v_lshrrev_b32_e32 v6, 15, v14
	v_mov_b32_e32 v4, s17
	ds_store_2addr_b64 v19, v[1:2], v[3:4] offset0:1 offset1:2
	ds_store_2addr_b64 v20, v[1:2], v[3:4] offset0:2 offset1:3
	v_and_b32_e32 v0, v5, v0
	v_and_b32_e32 v5, 0x1fe, v6
	s_waitcnt lgkmcnt(0)
	s_barrier
	buffer_gl0_inv
	v_mbcnt_lo_u32_b32 v17, v0, 0
	v_add_nc_u32_e32 v1, v5, v26
	v_cmp_ne_u32_e64 s11, 0, v0
	; wave barrier
	s_delay_alu instid0(VALU_DEP_3) | instskip(NEXT) | instid1(VALU_DEP_3)
	v_cmp_eq_u32_e64 s10, 0, v17
	v_lshl_add_u32 v18, v1, 2, 8
	s_delay_alu instid0(VALU_DEP_2) | instskip(NEXT) | instid1(SALU_CYCLE_1)
	s_and_b32 s11, s11, s10
	s_and_saveexec_b32 s10, s11
	s_cbranch_execz .LBB337_20
; %bb.19:                               ;   in Loop: Header=BB337_2 Depth=1
	v_bcnt_u32_b32 v0, v0, 0
	ds_store_b32 v18, v0
.LBB337_20:                             ;   in Loop: Header=BB337_2 Depth=1
	s_or_b32 exec_lo, exec_lo, s10
	; wave barrier
	s_waitcnt lgkmcnt(0)
	s_barrier
	buffer_gl0_inv
	ds_load_2addr_b64 v[4:7], v19 offset0:1 offset1:2
	ds_load_2addr_b64 v[0:3], v20 offset0:2 offset1:3
	s_waitcnt lgkmcnt(1)
	v_add_nc_u32_e32 v28, v5, v4
	s_delay_alu instid0(VALU_DEP_1) | instskip(SKIP_1) | instid1(VALU_DEP_1)
	v_add3_u32 v28, v28, v6, v7
	s_waitcnt lgkmcnt(0)
	v_add3_u32 v28, v28, v0, v1
	s_delay_alu instid0(VALU_DEP_1) | instskip(NEXT) | instid1(VALU_DEP_1)
	v_add3_u32 v3, v28, v2, v3
	v_mov_b32_dpp v28, v3 row_shr:1 row_mask:0xf bank_mask:0xf
	s_delay_alu instid0(VALU_DEP_1) | instskip(NEXT) | instid1(VALU_DEP_1)
	v_cndmask_b32_e64 v28, v28, 0, s0
	v_add_nc_u32_e32 v3, v28, v3
	s_delay_alu instid0(VALU_DEP_1) | instskip(NEXT) | instid1(VALU_DEP_1)
	v_mov_b32_dpp v28, v3 row_shr:2 row_mask:0xf bank_mask:0xf
	v_cndmask_b32_e64 v28, 0, v28, s1
	s_delay_alu instid0(VALU_DEP_1) | instskip(NEXT) | instid1(VALU_DEP_1)
	v_add_nc_u32_e32 v3, v3, v28
	v_mov_b32_dpp v28, v3 row_shr:4 row_mask:0xf bank_mask:0xf
	s_delay_alu instid0(VALU_DEP_1) | instskip(NEXT) | instid1(VALU_DEP_1)
	v_cndmask_b32_e64 v28, 0, v28, s2
	v_add_nc_u32_e32 v3, v3, v28
	s_delay_alu instid0(VALU_DEP_1) | instskip(NEXT) | instid1(VALU_DEP_1)
	v_mov_b32_dpp v28, v3 row_shr:8 row_mask:0xf bank_mask:0xf
	v_cndmask_b32_e64 v28, 0, v28, s3
	s_delay_alu instid0(VALU_DEP_1) | instskip(SKIP_3) | instid1(VALU_DEP_1)
	v_add_nc_u32_e32 v3, v3, v28
	ds_swizzle_b32 v28, v3 offset:swizzle(BROADCAST,32,15)
	s_waitcnt lgkmcnt(0)
	v_cndmask_b32_e64 v28, v28, 0, s4
	v_add_nc_u32_e32 v3, v3, v28
	s_and_saveexec_b32 s10, s9
	s_cbranch_execz .LBB337_22
; %bb.21:                               ;   in Loop: Header=BB337_2 Depth=1
	ds_store_b32 v21, v3
.LBB337_22:                             ;   in Loop: Header=BB337_2 Depth=1
	s_or_b32 exec_lo, exec_lo, s10
	s_waitcnt lgkmcnt(0)
	s_barrier
	buffer_gl0_inv
	s_and_saveexec_b32 s10, s5
	s_cbranch_execz .LBB337_24
; %bb.23:                               ;   in Loop: Header=BB337_2 Depth=1
	ds_load_b32 v28, v23
	s_waitcnt lgkmcnt(0)
	v_mov_b32_dpp v29, v28 row_shr:1 row_mask:0xf bank_mask:0xf
	s_delay_alu instid0(VALU_DEP_1) | instskip(NEXT) | instid1(VALU_DEP_1)
	v_cndmask_b32_e64 v29, v29, 0, s8
	v_add_nc_u32_e32 v28, v29, v28
	ds_store_b32 v23, v28
.LBB337_24:                             ;   in Loop: Header=BB337_2 Depth=1
	s_or_b32 exec_lo, exec_lo, s10
	v_mov_b32_e32 v28, 0
	s_waitcnt lgkmcnt(0)
	s_barrier
	buffer_gl0_inv
	s_and_saveexec_b32 s10, s6
	s_cbranch_execz .LBB337_26
; %bb.25:                               ;   in Loop: Header=BB337_2 Depth=1
	ds_load_b32 v28, v24
.LBB337_26:                             ;   in Loop: Header=BB337_2 Depth=1
	s_or_b32 exec_lo, exec_lo, s10
	s_waitcnt lgkmcnt(0)
	v_add_nc_u32_e32 v3, v28, v3
	ds_bpermute_b32 v3, v22, v3
	s_waitcnt lgkmcnt(0)
	v_cndmask_b32_e32 v3, v3, v28, vcc_lo
	s_delay_alu instid0(VALU_DEP_1) | instskip(NEXT) | instid1(VALU_DEP_1)
	v_cndmask_b32_e64 v3, v3, 0, s7
	v_add_nc_u32_e32 v4, v3, v4
	s_delay_alu instid0(VALU_DEP_1) | instskip(NEXT) | instid1(VALU_DEP_1)
	v_add_nc_u32_e32 v5, v4, v5
	v_add_nc_u32_e32 v6, v5, v6
	s_delay_alu instid0(VALU_DEP_1) | instskip(NEXT) | instid1(VALU_DEP_1)
	v_add_nc_u32_e32 v28, v6, v7
	;; [unrolled: 3-line block ×3, first 2 shown]
	v_add_nc_u32_e32 v1, v0, v2
	ds_store_2addr_b64 v19, v[3:4], v[5:6] offset0:1 offset1:2
	ds_store_2addr_b64 v20, v[28:29], v[0:1] offset0:2 offset1:3
	s_waitcnt lgkmcnt(0)
	s_barrier
	buffer_gl0_inv
	ds_load_b32 v0, v18
	v_lshlrev_b32_e32 v1, 3, v17
	s_waitcnt lgkmcnt(0)
	s_barrier
	buffer_gl0_inv
	v_lshl_add_u32 v0, v0, 3, v1
	ds_store_b64 v0, v[13:14]
	s_waitcnt lgkmcnt(0)
	s_barrier
	buffer_gl0_inv
	ds_load_b64 v[13:14], v25
	s_waitcnt lgkmcnt(0)
	s_barrier
	buffer_gl0_inv
	ds_store_b64 v0, v[15:16]
	s_waitcnt lgkmcnt(0)
	s_barrier
	buffer_gl0_inv
	ds_load_b64 v[15:16], v25
	s_waitcnt lgkmcnt(0)
	s_barrier
	buffer_gl0_inv
	v_bfe_u32 v1, v14, 24, 1
	v_lshrrev_b32_e32 v5, 24, v14
	s_delay_alu instid0(VALU_DEP_2) | instskip(NEXT) | instid1(VALU_DEP_1)
	v_add_co_u32 v1, s10, v1, -1
	v_cndmask_b32_e64 v2, 0, 1, s10
	s_delay_alu instid0(VALU_DEP_3)
	v_lshlrev_b32_e32 v3, 30, v5
	v_lshlrev_b32_e32 v4, 29, v5
	;; [unrolled: 1-line block ×4, first 2 shown]
	v_cmp_ne_u32_e64 s10, 0, v2
	v_not_b32_e32 v2, v3
	v_cmp_gt_i32_e64 s11, 0, v3
	v_not_b32_e32 v3, v4
	v_lshlrev_b32_e32 v17, 26, v5
	v_xor_b32_e32 v1, s10, v1
	v_ashrrev_i32_e32 v2, 31, v2
	v_cmp_gt_i32_e64 s10, 0, v4
	v_not_b32_e32 v4, v6
	v_ashrrev_i32_e32 v3, 31, v3
	v_and_b32_e32 v1, exec_lo, v1
	v_xor_b32_e32 v2, s11, v2
	v_cmp_gt_i32_e64 s11, 0, v6
	v_not_b32_e32 v6, v7
	v_ashrrev_i32_e32 v4, 31, v4
	v_xor_b32_e32 v3, s10, v3
	v_and_b32_e32 v1, v1, v2
	v_lshlrev_b32_e32 v18, 25, v5
	v_cmp_gt_i32_e64 s10, 0, v7
	v_not_b32_e32 v2, v17
	v_ashrrev_i32_e32 v6, 31, v6
	v_xor_b32_e32 v4, s11, v4
	v_and_b32_e32 v1, v1, v3
	v_cmp_gt_i32_e64 s11, 0, v17
	v_not_b32_e32 v3, v18
	v_ashrrev_i32_e32 v2, 31, v2
	v_xor_b32_e32 v6, s10, v6
	v_and_b32_e32 v1, v1, v4
	v_not_b32_e32 v4, v14
	v_cmp_gt_i32_e64 s10, 0, v18
	v_ashrrev_i32_e32 v3, 31, v3
	v_xor_b32_e32 v2, s11, v2
	v_and_b32_e32 v1, v1, v6
	v_cmp_gt_i32_e64 s11, 0, v14
	v_ashrrev_i32_e32 v4, 31, v4
	v_xor_b32_e32 v3, s10, v3
	s_delay_alu instid0(VALU_DEP_4) | instskip(NEXT) | instid1(VALU_DEP_3)
	v_and_b32_e32 v1, v1, v2
	v_xor_b32_e32 v0, s11, v4
	s_delay_alu instid0(VALU_DEP_2) | instskip(SKIP_1) | instid1(VALU_DEP_2)
	v_and_b32_e32 v3, v1, v3
	v_dual_mov_b32 v1, s20 :: v_dual_mov_b32 v2, s21
	v_dual_mov_b32 v3, s16 :: v_dual_and_b32 v0, v3, v0
	v_mov_b32_e32 v4, s17
	ds_store_2addr_b64 v19, v[1:2], v[3:4] offset0:1 offset1:2
	ds_store_2addr_b64 v20, v[1:2], v[3:4] offset0:2 offset1:3
	v_mbcnt_lo_u32_b32 v17, v0, 0
	v_lshl_add_u32 v1, v5, 1, v26
	v_cmp_ne_u32_e64 s11, 0, v0
	s_waitcnt lgkmcnt(0)
	s_barrier
	v_cmp_eq_u32_e64 s10, 0, v17
	v_lshl_add_u32 v18, v1, 2, 8
	buffer_gl0_inv
	; wave barrier
	s_and_b32 s11, s11, s10
	s_delay_alu instid0(SALU_CYCLE_1)
	s_and_saveexec_b32 s10, s11
	s_cbranch_execz .LBB337_28
; %bb.27:                               ;   in Loop: Header=BB337_2 Depth=1
	v_bcnt_u32_b32 v0, v0, 0
	ds_store_b32 v18, v0
.LBB337_28:                             ;   in Loop: Header=BB337_2 Depth=1
	s_or_b32 exec_lo, exec_lo, s10
	; wave barrier
	s_waitcnt lgkmcnt(0)
	s_barrier
	buffer_gl0_inv
	ds_load_2addr_b64 v[4:7], v19 offset0:1 offset1:2
	ds_load_2addr_b64 v[0:3], v20 offset0:2 offset1:3
	s_waitcnt lgkmcnt(1)
	v_add_nc_u32_e32 v28, v5, v4
	s_delay_alu instid0(VALU_DEP_1) | instskip(SKIP_1) | instid1(VALU_DEP_1)
	v_add3_u32 v28, v28, v6, v7
	s_waitcnt lgkmcnt(0)
	v_add3_u32 v28, v28, v0, v1
	s_delay_alu instid0(VALU_DEP_1) | instskip(NEXT) | instid1(VALU_DEP_1)
	v_add3_u32 v3, v28, v2, v3
	v_mov_b32_dpp v28, v3 row_shr:1 row_mask:0xf bank_mask:0xf
	s_delay_alu instid0(VALU_DEP_1) | instskip(NEXT) | instid1(VALU_DEP_1)
	v_cndmask_b32_e64 v28, v28, 0, s0
	v_add_nc_u32_e32 v3, v28, v3
	s_delay_alu instid0(VALU_DEP_1) | instskip(NEXT) | instid1(VALU_DEP_1)
	v_mov_b32_dpp v28, v3 row_shr:2 row_mask:0xf bank_mask:0xf
	v_cndmask_b32_e64 v28, 0, v28, s1
	s_delay_alu instid0(VALU_DEP_1) | instskip(NEXT) | instid1(VALU_DEP_1)
	v_add_nc_u32_e32 v3, v3, v28
	v_mov_b32_dpp v28, v3 row_shr:4 row_mask:0xf bank_mask:0xf
	s_delay_alu instid0(VALU_DEP_1) | instskip(NEXT) | instid1(VALU_DEP_1)
	v_cndmask_b32_e64 v28, 0, v28, s2
	v_add_nc_u32_e32 v3, v3, v28
	s_delay_alu instid0(VALU_DEP_1) | instskip(NEXT) | instid1(VALU_DEP_1)
	v_mov_b32_dpp v28, v3 row_shr:8 row_mask:0xf bank_mask:0xf
	v_cndmask_b32_e64 v28, 0, v28, s3
	s_delay_alu instid0(VALU_DEP_1) | instskip(SKIP_3) | instid1(VALU_DEP_1)
	v_add_nc_u32_e32 v3, v3, v28
	ds_swizzle_b32 v28, v3 offset:swizzle(BROADCAST,32,15)
	s_waitcnt lgkmcnt(0)
	v_cndmask_b32_e64 v28, v28, 0, s4
	v_add_nc_u32_e32 v3, v3, v28
	s_and_saveexec_b32 s10, s9
	s_cbranch_execz .LBB337_30
; %bb.29:                               ;   in Loop: Header=BB337_2 Depth=1
	ds_store_b32 v21, v3
.LBB337_30:                             ;   in Loop: Header=BB337_2 Depth=1
	s_or_b32 exec_lo, exec_lo, s10
	s_waitcnt lgkmcnt(0)
	s_barrier
	buffer_gl0_inv
	s_and_saveexec_b32 s10, s5
	s_cbranch_execz .LBB337_32
; %bb.31:                               ;   in Loop: Header=BB337_2 Depth=1
	ds_load_b32 v28, v23
	s_waitcnt lgkmcnt(0)
	v_mov_b32_dpp v29, v28 row_shr:1 row_mask:0xf bank_mask:0xf
	s_delay_alu instid0(VALU_DEP_1) | instskip(NEXT) | instid1(VALU_DEP_1)
	v_cndmask_b32_e64 v29, v29, 0, s8
	v_add_nc_u32_e32 v28, v29, v28
	ds_store_b32 v23, v28
.LBB337_32:                             ;   in Loop: Header=BB337_2 Depth=1
	s_or_b32 exec_lo, exec_lo, s10
	v_mov_b32_e32 v28, 0
	s_waitcnt lgkmcnt(0)
	s_barrier
	buffer_gl0_inv
	s_and_saveexec_b32 s10, s6
	s_cbranch_execz .LBB337_34
; %bb.33:                               ;   in Loop: Header=BB337_2 Depth=1
	ds_load_b32 v28, v24
.LBB337_34:                             ;   in Loop: Header=BB337_2 Depth=1
	s_or_b32 exec_lo, exec_lo, s10
	s_waitcnt lgkmcnt(0)
	v_add_nc_u32_e32 v3, v28, v3
	ds_bpermute_b32 v3, v22, v3
	s_waitcnt lgkmcnt(0)
	v_cndmask_b32_e32 v3, v3, v28, vcc_lo
	s_delay_alu instid0(VALU_DEP_1) | instskip(NEXT) | instid1(VALU_DEP_1)
	v_cndmask_b32_e64 v3, v3, 0, s7
	v_add_nc_u32_e32 v4, v3, v4
	s_delay_alu instid0(VALU_DEP_1) | instskip(NEXT) | instid1(VALU_DEP_1)
	v_add_nc_u32_e32 v5, v4, v5
	v_add_nc_u32_e32 v6, v5, v6
	s_delay_alu instid0(VALU_DEP_1) | instskip(NEXT) | instid1(VALU_DEP_1)
	v_add_nc_u32_e32 v28, v6, v7
	;; [unrolled: 3-line block ×3, first 2 shown]
	v_add_nc_u32_e32 v1, v0, v2
	ds_store_2addr_b64 v19, v[3:4], v[5:6] offset0:1 offset1:2
	ds_store_2addr_b64 v20, v[28:29], v[0:1] offset0:2 offset1:3
	s_waitcnt lgkmcnt(0)
	s_barrier
	buffer_gl0_inv
	ds_load_b32 v0, v18
	v_lshlrev_b32_e32 v1, 3, v17
	s_waitcnt lgkmcnt(0)
	s_barrier
	buffer_gl0_inv
	v_lshl_add_u32 v0, v0, 3, v1
	v_dual_mov_b32 v1, s20 :: v_dual_mov_b32 v2, s21
	ds_store_b64 v0, v[13:14]
	s_waitcnt lgkmcnt(0)
	s_barrier
	buffer_gl0_inv
	ds_load_b64 v[13:14], v25
	s_waitcnt lgkmcnt(0)
	s_barrier
	buffer_gl0_inv
	ds_store_b64 v0, v[15:16]
	s_waitcnt lgkmcnt(0)
	s_barrier
	buffer_gl0_inv
	ds_load_b64 v[15:16], v25
	s_waitcnt lgkmcnt(0)
	s_barrier
	buffer_gl0_inv
	v_and_b32_e32 v3, 1, v13
	v_lshlrev_b32_e32 v4, 30, v13
	v_lshlrev_b32_e32 v5, 29, v13
	;; [unrolled: 1-line block ×4, first 2 shown]
	v_add_co_u32 v3, s10, v3, -1
	s_delay_alu instid0(VALU_DEP_1)
	v_cndmask_b32_e64 v7, 0, 1, s10
	v_not_b32_e32 v29, v4
	v_cmp_gt_i32_e64 s11, 0, v4
	v_not_b32_e32 v4, v5
	v_lshlrev_b32_e32 v18, 26, v13
	v_cmp_ne_u32_e64 s10, 0, v7
	v_ashrrev_i32_e32 v29, 31, v29
	v_lshlrev_b32_e32 v28, 25, v13
	v_ashrrev_i32_e32 v4, 31, v4
	v_lshlrev_b32_e32 v7, 24, v13
	v_xor_b32_e32 v3, s10, v3
	v_cmp_gt_i32_e64 s10, 0, v5
	v_not_b32_e32 v5, v6
	v_xor_b32_e32 v29, s11, v29
	v_cmp_gt_i32_e64 s11, 0, v6
	v_and_b32_e32 v3, exec_lo, v3
	v_not_b32_e32 v6, v17
	v_ashrrev_i32_e32 v5, 31, v5
	v_xor_b32_e32 v4, s10, v4
	v_cmp_gt_i32_e64 s10, 0, v17
	v_and_b32_e32 v3, v3, v29
	v_not_b32_e32 v17, v18
	v_ashrrev_i32_e32 v6, 31, v6
	v_xor_b32_e32 v5, s11, v5
	v_cmp_gt_i32_e64 s11, 0, v18
	v_and_b32_e32 v3, v3, v4
	;; [unrolled: 5-line block ×4, first 2 shown]
	v_ashrrev_i32_e32 v5, 31, v5
	v_xor_b32_e32 v4, s10, v4
	s_delay_alu instid0(VALU_DEP_3) | instskip(NEXT) | instid1(VALU_DEP_3)
	v_and_b32_e32 v3, v3, v17
	v_xor_b32_e32 v0, s11, v5
	s_delay_alu instid0(VALU_DEP_2)
	v_and_b32_e32 v5, v3, v4
	v_dual_mov_b32 v3, s16 :: v_dual_mov_b32 v4, s17
	ds_store_2addr_b64 v19, v[1:2], v[3:4] offset0:1 offset1:2
	ds_store_2addr_b64 v20, v[1:2], v[3:4] offset0:2 offset1:3
	v_and_b32_e32 v0, v5, v0
	v_and_b32_e32 v5, 0xff, v13
	s_waitcnt lgkmcnt(0)
	s_barrier
	buffer_gl0_inv
	v_mbcnt_lo_u32_b32 v17, v0, 0
	v_lshl_add_u32 v1, v5, 1, v26
	v_cmp_ne_u32_e64 s11, 0, v0
	; wave barrier
	s_delay_alu instid0(VALU_DEP_3) | instskip(NEXT) | instid1(VALU_DEP_3)
	v_cmp_eq_u32_e64 s10, 0, v17
	v_lshl_add_u32 v18, v1, 2, 8
	s_delay_alu instid0(VALU_DEP_2) | instskip(NEXT) | instid1(SALU_CYCLE_1)
	s_and_b32 s11, s11, s10
	s_and_saveexec_b32 s10, s11
	s_cbranch_execz .LBB337_36
; %bb.35:                               ;   in Loop: Header=BB337_2 Depth=1
	v_bcnt_u32_b32 v0, v0, 0
	ds_store_b32 v18, v0
.LBB337_36:                             ;   in Loop: Header=BB337_2 Depth=1
	s_or_b32 exec_lo, exec_lo, s10
	; wave barrier
	s_waitcnt lgkmcnt(0)
	s_barrier
	buffer_gl0_inv
	ds_load_2addr_b64 v[4:7], v19 offset0:1 offset1:2
	ds_load_2addr_b64 v[0:3], v20 offset0:2 offset1:3
	s_waitcnt lgkmcnt(1)
	v_add_nc_u32_e32 v28, v5, v4
	s_delay_alu instid0(VALU_DEP_1) | instskip(SKIP_1) | instid1(VALU_DEP_1)
	v_add3_u32 v28, v28, v6, v7
	s_waitcnt lgkmcnt(0)
	v_add3_u32 v28, v28, v0, v1
	s_delay_alu instid0(VALU_DEP_1) | instskip(NEXT) | instid1(VALU_DEP_1)
	v_add3_u32 v3, v28, v2, v3
	v_mov_b32_dpp v28, v3 row_shr:1 row_mask:0xf bank_mask:0xf
	s_delay_alu instid0(VALU_DEP_1) | instskip(NEXT) | instid1(VALU_DEP_1)
	v_cndmask_b32_e64 v28, v28, 0, s0
	v_add_nc_u32_e32 v3, v28, v3
	s_delay_alu instid0(VALU_DEP_1) | instskip(NEXT) | instid1(VALU_DEP_1)
	v_mov_b32_dpp v28, v3 row_shr:2 row_mask:0xf bank_mask:0xf
	v_cndmask_b32_e64 v28, 0, v28, s1
	s_delay_alu instid0(VALU_DEP_1) | instskip(NEXT) | instid1(VALU_DEP_1)
	v_add_nc_u32_e32 v3, v3, v28
	v_mov_b32_dpp v28, v3 row_shr:4 row_mask:0xf bank_mask:0xf
	s_delay_alu instid0(VALU_DEP_1) | instskip(NEXT) | instid1(VALU_DEP_1)
	v_cndmask_b32_e64 v28, 0, v28, s2
	v_add_nc_u32_e32 v3, v3, v28
	s_delay_alu instid0(VALU_DEP_1) | instskip(NEXT) | instid1(VALU_DEP_1)
	v_mov_b32_dpp v28, v3 row_shr:8 row_mask:0xf bank_mask:0xf
	v_cndmask_b32_e64 v28, 0, v28, s3
	s_delay_alu instid0(VALU_DEP_1) | instskip(SKIP_3) | instid1(VALU_DEP_1)
	v_add_nc_u32_e32 v3, v3, v28
	ds_swizzle_b32 v28, v3 offset:swizzle(BROADCAST,32,15)
	s_waitcnt lgkmcnt(0)
	v_cndmask_b32_e64 v28, v28, 0, s4
	v_add_nc_u32_e32 v3, v3, v28
	s_and_saveexec_b32 s10, s9
	s_cbranch_execz .LBB337_38
; %bb.37:                               ;   in Loop: Header=BB337_2 Depth=1
	ds_store_b32 v21, v3
.LBB337_38:                             ;   in Loop: Header=BB337_2 Depth=1
	s_or_b32 exec_lo, exec_lo, s10
	s_waitcnt lgkmcnt(0)
	s_barrier
	buffer_gl0_inv
	s_and_saveexec_b32 s10, s5
	s_cbranch_execz .LBB337_40
; %bb.39:                               ;   in Loop: Header=BB337_2 Depth=1
	ds_load_b32 v28, v23
	s_waitcnt lgkmcnt(0)
	v_mov_b32_dpp v29, v28 row_shr:1 row_mask:0xf bank_mask:0xf
	s_delay_alu instid0(VALU_DEP_1) | instskip(NEXT) | instid1(VALU_DEP_1)
	v_cndmask_b32_e64 v29, v29, 0, s8
	v_add_nc_u32_e32 v28, v29, v28
	ds_store_b32 v23, v28
.LBB337_40:                             ;   in Loop: Header=BB337_2 Depth=1
	s_or_b32 exec_lo, exec_lo, s10
	v_mov_b32_e32 v28, 0
	s_waitcnt lgkmcnt(0)
	s_barrier
	buffer_gl0_inv
	s_and_saveexec_b32 s10, s6
	s_cbranch_execz .LBB337_42
; %bb.41:                               ;   in Loop: Header=BB337_2 Depth=1
	ds_load_b32 v28, v24
.LBB337_42:                             ;   in Loop: Header=BB337_2 Depth=1
	s_or_b32 exec_lo, exec_lo, s10
	s_waitcnt lgkmcnt(0)
	v_add_nc_u32_e32 v3, v28, v3
	ds_bpermute_b32 v3, v22, v3
	s_waitcnt lgkmcnt(0)
	v_cndmask_b32_e32 v3, v3, v28, vcc_lo
	s_delay_alu instid0(VALU_DEP_1) | instskip(NEXT) | instid1(VALU_DEP_1)
	v_cndmask_b32_e64 v3, v3, 0, s7
	v_add_nc_u32_e32 v4, v3, v4
	s_delay_alu instid0(VALU_DEP_1) | instskip(NEXT) | instid1(VALU_DEP_1)
	v_add_nc_u32_e32 v5, v4, v5
	v_add_nc_u32_e32 v6, v5, v6
	s_delay_alu instid0(VALU_DEP_1) | instskip(NEXT) | instid1(VALU_DEP_1)
	v_add_nc_u32_e32 v28, v6, v7
	;; [unrolled: 3-line block ×3, first 2 shown]
	v_add_nc_u32_e32 v1, v0, v2
	ds_store_2addr_b64 v19, v[3:4], v[5:6] offset0:1 offset1:2
	ds_store_2addr_b64 v20, v[28:29], v[0:1] offset0:2 offset1:3
	s_waitcnt lgkmcnt(0)
	s_barrier
	buffer_gl0_inv
	ds_load_b32 v0, v18
	v_lshlrev_b32_e32 v1, 3, v17
	s_waitcnt lgkmcnt(0)
	s_barrier
	buffer_gl0_inv
	v_lshl_add_u32 v0, v0, 3, v1
	v_dual_mov_b32 v1, s20 :: v_dual_mov_b32 v2, s21
	ds_store_b64 v0, v[13:14]
	s_waitcnt lgkmcnt(0)
	s_barrier
	buffer_gl0_inv
	ds_load_b64 v[13:14], v25
	s_waitcnt lgkmcnt(0)
	s_barrier
	buffer_gl0_inv
	ds_store_b64 v0, v[15:16]
	s_waitcnt lgkmcnt(0)
	s_barrier
	buffer_gl0_inv
	ds_load_b64 v[15:16], v25
	s_waitcnt lgkmcnt(0)
	s_barrier
	buffer_gl0_inv
	v_bfe_u32 v3, v13, 8, 1
	v_lshrrev_b32_e32 v4, 8, v13
	s_delay_alu instid0(VALU_DEP_2) | instskip(NEXT) | instid1(VALU_DEP_1)
	v_add_co_u32 v3, s10, v3, -1
	v_cndmask_b32_e64 v5, 0, 1, s10
	s_delay_alu instid0(VALU_DEP_3)
	v_lshlrev_b32_e32 v6, 30, v4
	v_lshlrev_b32_e32 v7, 29, v4
	;; [unrolled: 1-line block ×4, first 2 shown]
	v_cmp_ne_u32_e64 s10, 0, v5
	v_not_b32_e32 v5, v6
	v_cmp_gt_i32_e64 s11, 0, v6
	v_not_b32_e32 v6, v7
	v_lshlrev_b32_e32 v28, 26, v4
	v_xor_b32_e32 v3, s10, v3
	v_ashrrev_i32_e32 v5, 31, v5
	v_cmp_gt_i32_e64 s10, 0, v7
	v_not_b32_e32 v7, v17
	v_ashrrev_i32_e32 v6, 31, v6
	v_and_b32_e32 v3, exec_lo, v3
	v_xor_b32_e32 v5, s11, v5
	v_cmp_gt_i32_e64 s11, 0, v17
	v_not_b32_e32 v17, v18
	v_ashrrev_i32_e32 v7, 31, v7
	v_xor_b32_e32 v6, s10, v6
	v_and_b32_e32 v3, v3, v5
	v_lshlrev_b32_e32 v29, 25, v4
	v_cmp_gt_i32_e64 s10, 0, v18
	v_not_b32_e32 v5, v28
	v_ashrrev_i32_e32 v17, 31, v17
	v_xor_b32_e32 v7, s11, v7
	v_and_b32_e32 v3, v3, v6
	v_lshlrev_b32_e32 v4, 24, v4
	v_cmp_gt_i32_e64 s11, 0, v28
	v_not_b32_e32 v6, v29
	v_ashrrev_i32_e32 v5, 31, v5
	v_xor_b32_e32 v17, s10, v17
	v_and_b32_e32 v3, v3, v7
	v_cmp_gt_i32_e64 s10, 0, v29
	v_not_b32_e32 v7, v4
	v_ashrrev_i32_e32 v6, 31, v6
	v_xor_b32_e32 v5, s11, v5
	v_and_b32_e32 v3, v3, v17
	v_cmp_gt_i32_e64 s11, 0, v4
	v_ashrrev_i32_e32 v4, 31, v7
	v_xor_b32_e32 v6, s10, v6
	s_delay_alu instid0(VALU_DEP_4) | instskip(NEXT) | instid1(VALU_DEP_3)
	v_and_b32_e32 v3, v3, v5
	v_xor_b32_e32 v0, s11, v4
	s_delay_alu instid0(VALU_DEP_2)
	v_and_b32_e32 v5, v3, v6
	v_mov_b32_e32 v3, s16
	v_lshrrev_b32_e32 v6, 7, v13
	v_mov_b32_e32 v4, s17
	ds_store_2addr_b64 v19, v[1:2], v[3:4] offset0:1 offset1:2
	ds_store_2addr_b64 v20, v[1:2], v[3:4] offset0:2 offset1:3
	v_and_b32_e32 v0, v5, v0
	v_and_b32_e32 v5, 0x1fe, v6
	s_waitcnt lgkmcnt(0)
	s_barrier
	buffer_gl0_inv
	v_mbcnt_lo_u32_b32 v17, v0, 0
	v_add_nc_u32_e32 v1, v5, v26
	v_cmp_ne_u32_e64 s11, 0, v0
	; wave barrier
	s_delay_alu instid0(VALU_DEP_3) | instskip(NEXT) | instid1(VALU_DEP_3)
	v_cmp_eq_u32_e64 s10, 0, v17
	v_lshl_add_u32 v18, v1, 2, 8
	s_delay_alu instid0(VALU_DEP_2) | instskip(NEXT) | instid1(SALU_CYCLE_1)
	s_and_b32 s11, s11, s10
	s_and_saveexec_b32 s10, s11
	s_cbranch_execz .LBB337_44
; %bb.43:                               ;   in Loop: Header=BB337_2 Depth=1
	v_bcnt_u32_b32 v0, v0, 0
	ds_store_b32 v18, v0
.LBB337_44:                             ;   in Loop: Header=BB337_2 Depth=1
	s_or_b32 exec_lo, exec_lo, s10
	; wave barrier
	s_waitcnt lgkmcnt(0)
	s_barrier
	buffer_gl0_inv
	ds_load_2addr_b64 v[4:7], v19 offset0:1 offset1:2
	ds_load_2addr_b64 v[0:3], v20 offset0:2 offset1:3
	s_waitcnt lgkmcnt(1)
	v_add_nc_u32_e32 v28, v5, v4
	s_delay_alu instid0(VALU_DEP_1) | instskip(SKIP_1) | instid1(VALU_DEP_1)
	v_add3_u32 v28, v28, v6, v7
	s_waitcnt lgkmcnt(0)
	v_add3_u32 v28, v28, v0, v1
	s_delay_alu instid0(VALU_DEP_1) | instskip(NEXT) | instid1(VALU_DEP_1)
	v_add3_u32 v3, v28, v2, v3
	v_mov_b32_dpp v28, v3 row_shr:1 row_mask:0xf bank_mask:0xf
	s_delay_alu instid0(VALU_DEP_1) | instskip(NEXT) | instid1(VALU_DEP_1)
	v_cndmask_b32_e64 v28, v28, 0, s0
	v_add_nc_u32_e32 v3, v28, v3
	s_delay_alu instid0(VALU_DEP_1) | instskip(NEXT) | instid1(VALU_DEP_1)
	v_mov_b32_dpp v28, v3 row_shr:2 row_mask:0xf bank_mask:0xf
	v_cndmask_b32_e64 v28, 0, v28, s1
	s_delay_alu instid0(VALU_DEP_1) | instskip(NEXT) | instid1(VALU_DEP_1)
	v_add_nc_u32_e32 v3, v3, v28
	v_mov_b32_dpp v28, v3 row_shr:4 row_mask:0xf bank_mask:0xf
	s_delay_alu instid0(VALU_DEP_1) | instskip(NEXT) | instid1(VALU_DEP_1)
	v_cndmask_b32_e64 v28, 0, v28, s2
	v_add_nc_u32_e32 v3, v3, v28
	s_delay_alu instid0(VALU_DEP_1) | instskip(NEXT) | instid1(VALU_DEP_1)
	v_mov_b32_dpp v28, v3 row_shr:8 row_mask:0xf bank_mask:0xf
	v_cndmask_b32_e64 v28, 0, v28, s3
	s_delay_alu instid0(VALU_DEP_1) | instskip(SKIP_3) | instid1(VALU_DEP_1)
	v_add_nc_u32_e32 v3, v3, v28
	ds_swizzle_b32 v28, v3 offset:swizzle(BROADCAST,32,15)
	s_waitcnt lgkmcnt(0)
	v_cndmask_b32_e64 v28, v28, 0, s4
	v_add_nc_u32_e32 v3, v3, v28
	s_and_saveexec_b32 s10, s9
	s_cbranch_execz .LBB337_46
; %bb.45:                               ;   in Loop: Header=BB337_2 Depth=1
	ds_store_b32 v21, v3
.LBB337_46:                             ;   in Loop: Header=BB337_2 Depth=1
	s_or_b32 exec_lo, exec_lo, s10
	s_waitcnt lgkmcnt(0)
	s_barrier
	buffer_gl0_inv
	s_and_saveexec_b32 s10, s5
	s_cbranch_execz .LBB337_48
; %bb.47:                               ;   in Loop: Header=BB337_2 Depth=1
	ds_load_b32 v28, v23
	s_waitcnt lgkmcnt(0)
	v_mov_b32_dpp v29, v28 row_shr:1 row_mask:0xf bank_mask:0xf
	s_delay_alu instid0(VALU_DEP_1) | instskip(NEXT) | instid1(VALU_DEP_1)
	v_cndmask_b32_e64 v29, v29, 0, s8
	v_add_nc_u32_e32 v28, v29, v28
	ds_store_b32 v23, v28
.LBB337_48:                             ;   in Loop: Header=BB337_2 Depth=1
	s_or_b32 exec_lo, exec_lo, s10
	v_mov_b32_e32 v28, 0
	s_waitcnt lgkmcnt(0)
	s_barrier
	buffer_gl0_inv
	s_and_saveexec_b32 s10, s6
	s_cbranch_execz .LBB337_50
; %bb.49:                               ;   in Loop: Header=BB337_2 Depth=1
	ds_load_b32 v28, v24
.LBB337_50:                             ;   in Loop: Header=BB337_2 Depth=1
	s_or_b32 exec_lo, exec_lo, s10
	s_waitcnt lgkmcnt(0)
	v_add_nc_u32_e32 v3, v28, v3
	ds_bpermute_b32 v3, v22, v3
	s_waitcnt lgkmcnt(0)
	v_cndmask_b32_e32 v3, v3, v28, vcc_lo
	s_delay_alu instid0(VALU_DEP_1) | instskip(NEXT) | instid1(VALU_DEP_1)
	v_cndmask_b32_e64 v3, v3, 0, s7
	v_add_nc_u32_e32 v4, v3, v4
	s_delay_alu instid0(VALU_DEP_1) | instskip(NEXT) | instid1(VALU_DEP_1)
	v_add_nc_u32_e32 v5, v4, v5
	v_add_nc_u32_e32 v6, v5, v6
	s_delay_alu instid0(VALU_DEP_1) | instskip(NEXT) | instid1(VALU_DEP_1)
	v_add_nc_u32_e32 v28, v6, v7
	;; [unrolled: 3-line block ×3, first 2 shown]
	v_add_nc_u32_e32 v1, v0, v2
	ds_store_2addr_b64 v19, v[3:4], v[5:6] offset0:1 offset1:2
	ds_store_2addr_b64 v20, v[28:29], v[0:1] offset0:2 offset1:3
	s_waitcnt lgkmcnt(0)
	s_barrier
	buffer_gl0_inv
	ds_load_b32 v0, v18
	v_lshlrev_b32_e32 v1, 3, v17
	s_waitcnt lgkmcnt(0)
	s_barrier
	buffer_gl0_inv
	v_lshl_add_u32 v0, v0, 3, v1
	v_dual_mov_b32 v1, s20 :: v_dual_mov_b32 v2, s21
	ds_store_b64 v0, v[13:14]
	s_waitcnt lgkmcnt(0)
	s_barrier
	buffer_gl0_inv
	ds_load_b64 v[13:14], v25
	s_waitcnt lgkmcnt(0)
	s_barrier
	buffer_gl0_inv
	ds_store_b64 v0, v[15:16]
	s_waitcnt lgkmcnt(0)
	s_barrier
	buffer_gl0_inv
	ds_load_b64 v[15:16], v25
	s_waitcnt lgkmcnt(0)
	s_barrier
	buffer_gl0_inv
	v_bfe_u32 v3, v13, 16, 1
	v_lshrrev_b32_e32 v4, 16, v13
	s_delay_alu instid0(VALU_DEP_2) | instskip(NEXT) | instid1(VALU_DEP_1)
	v_add_co_u32 v3, s10, v3, -1
	v_cndmask_b32_e64 v5, 0, 1, s10
	s_delay_alu instid0(VALU_DEP_3)
	v_lshlrev_b32_e32 v6, 30, v4
	v_lshlrev_b32_e32 v7, 29, v4
	;; [unrolled: 1-line block ×4, first 2 shown]
	v_cmp_ne_u32_e64 s10, 0, v5
	v_not_b32_e32 v5, v6
	v_cmp_gt_i32_e64 s11, 0, v6
	v_not_b32_e32 v6, v7
	v_lshlrev_b32_e32 v28, 26, v4
	v_xor_b32_e32 v3, s10, v3
	v_ashrrev_i32_e32 v5, 31, v5
	v_cmp_gt_i32_e64 s10, 0, v7
	v_not_b32_e32 v7, v17
	v_ashrrev_i32_e32 v6, 31, v6
	v_and_b32_e32 v3, exec_lo, v3
	v_xor_b32_e32 v5, s11, v5
	v_cmp_gt_i32_e64 s11, 0, v17
	v_not_b32_e32 v17, v18
	v_ashrrev_i32_e32 v7, 31, v7
	v_xor_b32_e32 v6, s10, v6
	v_and_b32_e32 v3, v3, v5
	v_lshlrev_b32_e32 v29, 25, v4
	v_cmp_gt_i32_e64 s10, 0, v18
	v_not_b32_e32 v5, v28
	v_ashrrev_i32_e32 v17, 31, v17
	v_xor_b32_e32 v7, s11, v7
	v_and_b32_e32 v3, v3, v6
	v_lshlrev_b32_e32 v4, 24, v4
	v_cmp_gt_i32_e64 s11, 0, v28
	v_not_b32_e32 v6, v29
	v_ashrrev_i32_e32 v5, 31, v5
	v_xor_b32_e32 v17, s10, v17
	v_and_b32_e32 v3, v3, v7
	v_cmp_gt_i32_e64 s10, 0, v29
	v_not_b32_e32 v7, v4
	v_ashrrev_i32_e32 v6, 31, v6
	v_xor_b32_e32 v5, s11, v5
	v_and_b32_e32 v3, v3, v17
	v_cmp_gt_i32_e64 s11, 0, v4
	v_ashrrev_i32_e32 v4, 31, v7
	v_xor_b32_e32 v6, s10, v6
	s_delay_alu instid0(VALU_DEP_4) | instskip(NEXT) | instid1(VALU_DEP_3)
	v_and_b32_e32 v3, v3, v5
	v_xor_b32_e32 v0, s11, v4
	s_delay_alu instid0(VALU_DEP_2)
	v_and_b32_e32 v5, v3, v6
	v_mov_b32_e32 v3, s16
	v_lshrrev_b32_e32 v6, 15, v13
	v_mov_b32_e32 v4, s17
	ds_store_2addr_b64 v19, v[1:2], v[3:4] offset0:1 offset1:2
	ds_store_2addr_b64 v20, v[1:2], v[3:4] offset0:2 offset1:3
	v_and_b32_e32 v0, v5, v0
	v_and_b32_e32 v5, 0x1fe, v6
	s_waitcnt lgkmcnt(0)
	s_barrier
	buffer_gl0_inv
	v_mbcnt_lo_u32_b32 v17, v0, 0
	v_add_nc_u32_e32 v1, v5, v26
	v_cmp_ne_u32_e64 s11, 0, v0
	; wave barrier
	s_delay_alu instid0(VALU_DEP_3) | instskip(NEXT) | instid1(VALU_DEP_3)
	v_cmp_eq_u32_e64 s10, 0, v17
	v_lshl_add_u32 v18, v1, 2, 8
	s_delay_alu instid0(VALU_DEP_2) | instskip(NEXT) | instid1(SALU_CYCLE_1)
	s_and_b32 s11, s11, s10
	s_and_saveexec_b32 s10, s11
	s_cbranch_execz .LBB337_52
; %bb.51:                               ;   in Loop: Header=BB337_2 Depth=1
	v_bcnt_u32_b32 v0, v0, 0
	ds_store_b32 v18, v0
.LBB337_52:                             ;   in Loop: Header=BB337_2 Depth=1
	s_or_b32 exec_lo, exec_lo, s10
	; wave barrier
	s_waitcnt lgkmcnt(0)
	s_barrier
	buffer_gl0_inv
	ds_load_2addr_b64 v[4:7], v19 offset0:1 offset1:2
	ds_load_2addr_b64 v[0:3], v20 offset0:2 offset1:3
	s_waitcnt lgkmcnt(1)
	v_add_nc_u32_e32 v28, v5, v4
	s_delay_alu instid0(VALU_DEP_1) | instskip(SKIP_1) | instid1(VALU_DEP_1)
	v_add3_u32 v28, v28, v6, v7
	s_waitcnt lgkmcnt(0)
	v_add3_u32 v28, v28, v0, v1
	s_delay_alu instid0(VALU_DEP_1) | instskip(NEXT) | instid1(VALU_DEP_1)
	v_add3_u32 v3, v28, v2, v3
	v_mov_b32_dpp v28, v3 row_shr:1 row_mask:0xf bank_mask:0xf
	s_delay_alu instid0(VALU_DEP_1) | instskip(NEXT) | instid1(VALU_DEP_1)
	v_cndmask_b32_e64 v28, v28, 0, s0
	v_add_nc_u32_e32 v3, v28, v3
	s_delay_alu instid0(VALU_DEP_1) | instskip(NEXT) | instid1(VALU_DEP_1)
	v_mov_b32_dpp v28, v3 row_shr:2 row_mask:0xf bank_mask:0xf
	v_cndmask_b32_e64 v28, 0, v28, s1
	s_delay_alu instid0(VALU_DEP_1) | instskip(NEXT) | instid1(VALU_DEP_1)
	v_add_nc_u32_e32 v3, v3, v28
	v_mov_b32_dpp v28, v3 row_shr:4 row_mask:0xf bank_mask:0xf
	s_delay_alu instid0(VALU_DEP_1) | instskip(NEXT) | instid1(VALU_DEP_1)
	v_cndmask_b32_e64 v28, 0, v28, s2
	v_add_nc_u32_e32 v3, v3, v28
	s_delay_alu instid0(VALU_DEP_1) | instskip(NEXT) | instid1(VALU_DEP_1)
	v_mov_b32_dpp v28, v3 row_shr:8 row_mask:0xf bank_mask:0xf
	v_cndmask_b32_e64 v28, 0, v28, s3
	s_delay_alu instid0(VALU_DEP_1) | instskip(SKIP_3) | instid1(VALU_DEP_1)
	v_add_nc_u32_e32 v3, v3, v28
	ds_swizzle_b32 v28, v3 offset:swizzle(BROADCAST,32,15)
	s_waitcnt lgkmcnt(0)
	v_cndmask_b32_e64 v28, v28, 0, s4
	v_add_nc_u32_e32 v3, v3, v28
	s_and_saveexec_b32 s10, s9
	s_cbranch_execz .LBB337_54
; %bb.53:                               ;   in Loop: Header=BB337_2 Depth=1
	ds_store_b32 v21, v3
.LBB337_54:                             ;   in Loop: Header=BB337_2 Depth=1
	s_or_b32 exec_lo, exec_lo, s10
	s_waitcnt lgkmcnt(0)
	s_barrier
	buffer_gl0_inv
	s_and_saveexec_b32 s10, s5
	s_cbranch_execz .LBB337_56
; %bb.55:                               ;   in Loop: Header=BB337_2 Depth=1
	ds_load_b32 v28, v23
	s_waitcnt lgkmcnt(0)
	v_mov_b32_dpp v29, v28 row_shr:1 row_mask:0xf bank_mask:0xf
	s_delay_alu instid0(VALU_DEP_1) | instskip(NEXT) | instid1(VALU_DEP_1)
	v_cndmask_b32_e64 v29, v29, 0, s8
	v_add_nc_u32_e32 v28, v29, v28
	ds_store_b32 v23, v28
.LBB337_56:                             ;   in Loop: Header=BB337_2 Depth=1
	s_or_b32 exec_lo, exec_lo, s10
	v_mov_b32_e32 v28, 0
	s_waitcnt lgkmcnt(0)
	s_barrier
	buffer_gl0_inv
	s_and_saveexec_b32 s10, s6
	s_cbranch_execz .LBB337_58
; %bb.57:                               ;   in Loop: Header=BB337_2 Depth=1
	ds_load_b32 v28, v24
.LBB337_58:                             ;   in Loop: Header=BB337_2 Depth=1
	s_or_b32 exec_lo, exec_lo, s10
	s_waitcnt lgkmcnt(0)
	v_add_nc_u32_e32 v3, v28, v3
	ds_bpermute_b32 v3, v22, v3
	s_waitcnt lgkmcnt(0)
	v_cndmask_b32_e32 v3, v3, v28, vcc_lo
	s_delay_alu instid0(VALU_DEP_1) | instskip(NEXT) | instid1(VALU_DEP_1)
	v_cndmask_b32_e64 v3, v3, 0, s7
	v_add_nc_u32_e32 v4, v3, v4
	s_delay_alu instid0(VALU_DEP_1) | instskip(NEXT) | instid1(VALU_DEP_1)
	v_add_nc_u32_e32 v5, v4, v5
	v_add_nc_u32_e32 v6, v5, v6
	s_delay_alu instid0(VALU_DEP_1) | instskip(NEXT) | instid1(VALU_DEP_1)
	v_add_nc_u32_e32 v28, v6, v7
	;; [unrolled: 3-line block ×3, first 2 shown]
	v_add_nc_u32_e32 v1, v0, v2
	ds_store_2addr_b64 v19, v[3:4], v[5:6] offset0:1 offset1:2
	ds_store_2addr_b64 v20, v[28:29], v[0:1] offset0:2 offset1:3
	s_waitcnt lgkmcnt(0)
	s_barrier
	buffer_gl0_inv
	ds_load_b32 v0, v18
	v_lshlrev_b32_e32 v1, 3, v17
	s_waitcnt lgkmcnt(0)
	s_barrier
	buffer_gl0_inv
	v_lshl_add_u32 v0, v0, 3, v1
	ds_store_b64 v0, v[13:14]
	s_waitcnt lgkmcnt(0)
	s_barrier
	buffer_gl0_inv
	ds_load_b64 v[13:14], v25
	s_waitcnt lgkmcnt(0)
	s_barrier
	buffer_gl0_inv
	ds_store_b64 v0, v[15:16]
	s_waitcnt lgkmcnt(0)
	s_barrier
	buffer_gl0_inv
	v_bfe_u32 v1, v13, 24, 1
	v_lshrrev_b32_e32 v5, 24, v13
	s_delay_alu instid0(VALU_DEP_2) | instskip(NEXT) | instid1(VALU_DEP_1)
	v_add_co_u32 v1, s10, v1, -1
	v_cndmask_b32_e64 v2, 0, 1, s10
	s_delay_alu instid0(VALU_DEP_3)
	v_lshlrev_b32_e32 v3, 30, v5
	v_lshlrev_b32_e32 v4, 29, v5
	;; [unrolled: 1-line block ×4, first 2 shown]
	v_cmp_ne_u32_e64 s10, 0, v2
	v_not_b32_e32 v2, v3
	v_cmp_gt_i32_e64 s11, 0, v3
	v_not_b32_e32 v3, v4
	v_lshlrev_b32_e32 v17, 26, v5
	v_xor_b32_e32 v1, s10, v1
	v_ashrrev_i32_e32 v2, 31, v2
	v_cmp_gt_i32_e64 s10, 0, v4
	v_not_b32_e32 v4, v6
	v_ashrrev_i32_e32 v3, 31, v3
	v_and_b32_e32 v1, exec_lo, v1
	v_xor_b32_e32 v2, s11, v2
	v_cmp_gt_i32_e64 s11, 0, v6
	v_not_b32_e32 v6, v7
	v_ashrrev_i32_e32 v4, 31, v4
	v_xor_b32_e32 v3, s10, v3
	v_and_b32_e32 v1, v1, v2
	v_lshlrev_b32_e32 v18, 25, v5
	v_cmp_gt_i32_e64 s10, 0, v7
	v_not_b32_e32 v2, v17
	v_ashrrev_i32_e32 v6, 31, v6
	v_xor_b32_e32 v4, s11, v4
	v_and_b32_e32 v1, v1, v3
	v_cmp_gt_i32_e64 s11, 0, v17
	v_not_b32_e32 v3, v18
	v_ashrrev_i32_e32 v2, 31, v2
	v_xor_b32_e32 v6, s10, v6
	v_and_b32_e32 v1, v1, v4
	v_not_b32_e32 v4, v13
	v_cmp_gt_i32_e64 s10, 0, v18
	v_ashrrev_i32_e32 v3, 31, v3
	v_xor_b32_e32 v2, s11, v2
	v_and_b32_e32 v1, v1, v6
	v_cmp_gt_i32_e64 s11, 0, v13
	v_ashrrev_i32_e32 v4, 31, v4
	v_xor_b32_e32 v3, s10, v3
	ds_load_b64 v[17:18], v25
	v_and_b32_e32 v1, v1, v2
	s_waitcnt lgkmcnt(0)
	v_xor_b32_e32 v0, s11, v4
	s_barrier
	buffer_gl0_inv
	v_and_b32_e32 v3, v1, v3
	v_dual_mov_b32 v1, s20 :: v_dual_mov_b32 v2, s21
	s_delay_alu instid0(VALU_DEP_2)
	v_dual_mov_b32 v3, s16 :: v_dual_and_b32 v0, v3, v0
	v_mov_b32_e32 v4, s17
	ds_store_2addr_b64 v19, v[1:2], v[3:4] offset0:1 offset1:2
	ds_store_2addr_b64 v20, v[1:2], v[3:4] offset0:2 offset1:3
	v_mbcnt_lo_u32_b32 v15, v0, 0
	v_lshl_add_u32 v1, v5, 1, v26
	v_cmp_ne_u32_e64 s11, 0, v0
	s_waitcnt lgkmcnt(0)
	s_barrier
	v_cmp_eq_u32_e64 s10, 0, v15
	v_lshl_add_u32 v16, v1, 2, 8
	buffer_gl0_inv
	; wave barrier
	s_and_b32 s11, s11, s10
	s_delay_alu instid0(SALU_CYCLE_1)
	s_and_saveexec_b32 s10, s11
	s_cbranch_execz .LBB337_60
; %bb.59:                               ;   in Loop: Header=BB337_2 Depth=1
	v_bcnt_u32_b32 v0, v0, 0
	ds_store_b32 v16, v0
.LBB337_60:                             ;   in Loop: Header=BB337_2 Depth=1
	s_or_b32 exec_lo, exec_lo, s10
	; wave barrier
	s_waitcnt lgkmcnt(0)
	s_barrier
	buffer_gl0_inv
	ds_load_2addr_b64 v[4:7], v19 offset0:1 offset1:2
	ds_load_2addr_b64 v[0:3], v20 offset0:2 offset1:3
	s_waitcnt lgkmcnt(1)
	v_add_nc_u32_e32 v28, v5, v4
	s_delay_alu instid0(VALU_DEP_1) | instskip(SKIP_1) | instid1(VALU_DEP_1)
	v_add3_u32 v28, v28, v6, v7
	s_waitcnt lgkmcnt(0)
	v_add3_u32 v28, v28, v0, v1
	s_delay_alu instid0(VALU_DEP_1) | instskip(NEXT) | instid1(VALU_DEP_1)
	v_add3_u32 v3, v28, v2, v3
	v_mov_b32_dpp v28, v3 row_shr:1 row_mask:0xf bank_mask:0xf
	s_delay_alu instid0(VALU_DEP_1) | instskip(NEXT) | instid1(VALU_DEP_1)
	v_cndmask_b32_e64 v28, v28, 0, s0
	v_add_nc_u32_e32 v3, v28, v3
	s_delay_alu instid0(VALU_DEP_1) | instskip(NEXT) | instid1(VALU_DEP_1)
	v_mov_b32_dpp v28, v3 row_shr:2 row_mask:0xf bank_mask:0xf
	v_cndmask_b32_e64 v28, 0, v28, s1
	s_delay_alu instid0(VALU_DEP_1) | instskip(NEXT) | instid1(VALU_DEP_1)
	v_add_nc_u32_e32 v3, v3, v28
	v_mov_b32_dpp v28, v3 row_shr:4 row_mask:0xf bank_mask:0xf
	s_delay_alu instid0(VALU_DEP_1) | instskip(NEXT) | instid1(VALU_DEP_1)
	v_cndmask_b32_e64 v28, 0, v28, s2
	v_add_nc_u32_e32 v3, v3, v28
	s_delay_alu instid0(VALU_DEP_1) | instskip(NEXT) | instid1(VALU_DEP_1)
	v_mov_b32_dpp v28, v3 row_shr:8 row_mask:0xf bank_mask:0xf
	v_cndmask_b32_e64 v28, 0, v28, s3
	s_delay_alu instid0(VALU_DEP_1) | instskip(SKIP_3) | instid1(VALU_DEP_1)
	v_add_nc_u32_e32 v3, v3, v28
	ds_swizzle_b32 v28, v3 offset:swizzle(BROADCAST,32,15)
	s_waitcnt lgkmcnt(0)
	v_cndmask_b32_e64 v28, v28, 0, s4
	v_add_nc_u32_e32 v3, v3, v28
	s_and_saveexec_b32 s10, s9
	s_cbranch_execz .LBB337_62
; %bb.61:                               ;   in Loop: Header=BB337_2 Depth=1
	ds_store_b32 v21, v3
.LBB337_62:                             ;   in Loop: Header=BB337_2 Depth=1
	s_or_b32 exec_lo, exec_lo, s10
	s_waitcnt lgkmcnt(0)
	s_barrier
	buffer_gl0_inv
	s_and_saveexec_b32 s10, s5
	s_cbranch_execz .LBB337_64
; %bb.63:                               ;   in Loop: Header=BB337_2 Depth=1
	ds_load_b32 v28, v23
	s_waitcnt lgkmcnt(0)
	v_mov_b32_dpp v29, v28 row_shr:1 row_mask:0xf bank_mask:0xf
	s_delay_alu instid0(VALU_DEP_1) | instskip(NEXT) | instid1(VALU_DEP_1)
	v_cndmask_b32_e64 v29, v29, 0, s8
	v_add_nc_u32_e32 v28, v29, v28
	ds_store_b32 v23, v28
.LBB337_64:                             ;   in Loop: Header=BB337_2 Depth=1
	s_or_b32 exec_lo, exec_lo, s10
	v_mov_b32_e32 v28, 0
	s_waitcnt lgkmcnt(0)
	s_barrier
	buffer_gl0_inv
	s_and_saveexec_b32 s10, s6
	s_cbranch_execz .LBB337_1
; %bb.65:                               ;   in Loop: Header=BB337_2 Depth=1
	ds_load_b32 v28, v24
	s_branch .LBB337_1
.LBB337_66:
	s_waitcnt lgkmcnt(0)
	v_add3_u32 v0, v13, v15, 0x80000000
	v_add3_u32 v1, v14, v16, 0x80000000
	v_lshlrev_b32_e32 v2, 3, v8
	s_add_u32 s0, s18, s14
	s_addc_u32 s1, s19, s15
	global_store_b64 v2, v[0:1], s[0:1]
	s_nop 0
	s_sendmsg sendmsg(MSG_DEALLOC_VGPRS)
	s_endpgm
	.section	.rodata,"a",@progbits
	.p2align	6, 0x0
	.amdhsa_kernel _Z17sort_pairs_kernelI22helper_blocked_stripedN15benchmark_utils11custom_typeIiiEELj64ELj1ELj10EEvPKT0_PS4_
		.amdhsa_group_segment_fixed_size 2064
		.amdhsa_private_segment_fixed_size 0
		.amdhsa_kernarg_size 272
		.amdhsa_user_sgpr_count 15
		.amdhsa_user_sgpr_dispatch_ptr 0
		.amdhsa_user_sgpr_queue_ptr 0
		.amdhsa_user_sgpr_kernarg_segment_ptr 1
		.amdhsa_user_sgpr_dispatch_id 0
		.amdhsa_user_sgpr_private_segment_size 0
		.amdhsa_wavefront_size32 1
		.amdhsa_uses_dynamic_stack 0
		.amdhsa_enable_private_segment 0
		.amdhsa_system_sgpr_workgroup_id_x 1
		.amdhsa_system_sgpr_workgroup_id_y 0
		.amdhsa_system_sgpr_workgroup_id_z 0
		.amdhsa_system_sgpr_workgroup_info 0
		.amdhsa_system_vgpr_workitem_id 2
		.amdhsa_next_free_vgpr 30
		.amdhsa_next_free_sgpr 22
		.amdhsa_reserve_vcc 1
		.amdhsa_float_round_mode_32 0
		.amdhsa_float_round_mode_16_64 0
		.amdhsa_float_denorm_mode_32 3
		.amdhsa_float_denorm_mode_16_64 3
		.amdhsa_dx10_clamp 1
		.amdhsa_ieee_mode 1
		.amdhsa_fp16_overflow 0
		.amdhsa_workgroup_processor_mode 1
		.amdhsa_memory_ordered 1
		.amdhsa_forward_progress 0
		.amdhsa_shared_vgpr_count 0
		.amdhsa_exception_fp_ieee_invalid_op 0
		.amdhsa_exception_fp_denorm_src 0
		.amdhsa_exception_fp_ieee_div_zero 0
		.amdhsa_exception_fp_ieee_overflow 0
		.amdhsa_exception_fp_ieee_underflow 0
		.amdhsa_exception_fp_ieee_inexact 0
		.amdhsa_exception_int_div_zero 0
	.end_amdhsa_kernel
	.section	.text._Z17sort_pairs_kernelI22helper_blocked_stripedN15benchmark_utils11custom_typeIiiEELj64ELj1ELj10EEvPKT0_PS4_,"axG",@progbits,_Z17sort_pairs_kernelI22helper_blocked_stripedN15benchmark_utils11custom_typeIiiEELj64ELj1ELj10EEvPKT0_PS4_,comdat
.Lfunc_end337:
	.size	_Z17sort_pairs_kernelI22helper_blocked_stripedN15benchmark_utils11custom_typeIiiEELj64ELj1ELj10EEvPKT0_PS4_, .Lfunc_end337-_Z17sort_pairs_kernelI22helper_blocked_stripedN15benchmark_utils11custom_typeIiiEELj64ELj1ELj10EEvPKT0_PS4_
                                        ; -- End function
	.section	.AMDGPU.csdata,"",@progbits
; Kernel info:
; codeLenInByte = 8084
; NumSgprs: 24
; NumVgprs: 30
; ScratchSize: 0
; MemoryBound: 0
; FloatMode: 240
; IeeeMode: 1
; LDSByteSize: 2064 bytes/workgroup (compile time only)
; SGPRBlocks: 2
; VGPRBlocks: 3
; NumSGPRsForWavesPerEU: 24
; NumVGPRsForWavesPerEU: 30
; Occupancy: 16
; WaveLimiterHint : 0
; COMPUTE_PGM_RSRC2:SCRATCH_EN: 0
; COMPUTE_PGM_RSRC2:USER_SGPR: 15
; COMPUTE_PGM_RSRC2:TRAP_HANDLER: 0
; COMPUTE_PGM_RSRC2:TGID_X_EN: 1
; COMPUTE_PGM_RSRC2:TGID_Y_EN: 0
; COMPUTE_PGM_RSRC2:TGID_Z_EN: 0
; COMPUTE_PGM_RSRC2:TIDIG_COMP_CNT: 2
	.section	.text._Z16sort_keys_kernelI22helper_blocked_stripedN15benchmark_utils11custom_typeIiiEELj64ELj3ELj10EEvPKT0_PS4_,"axG",@progbits,_Z16sort_keys_kernelI22helper_blocked_stripedN15benchmark_utils11custom_typeIiiEELj64ELj3ELj10EEvPKT0_PS4_,comdat
	.protected	_Z16sort_keys_kernelI22helper_blocked_stripedN15benchmark_utils11custom_typeIiiEELj64ELj3ELj10EEvPKT0_PS4_ ; -- Begin function _Z16sort_keys_kernelI22helper_blocked_stripedN15benchmark_utils11custom_typeIiiEELj64ELj3ELj10EEvPKT0_PS4_
	.globl	_Z16sort_keys_kernelI22helper_blocked_stripedN15benchmark_utils11custom_typeIiiEELj64ELj3ELj10EEvPKT0_PS4_
	.p2align	8
	.type	_Z16sort_keys_kernelI22helper_blocked_stripedN15benchmark_utils11custom_typeIiiEELj64ELj3ELj10EEvPKT0_PS4_,@function
_Z16sort_keys_kernelI22helper_blocked_stripedN15benchmark_utils11custom_typeIiiEELj64ELj3ELj10EEvPKT0_PS4_: ; @_Z16sort_keys_kernelI22helper_blocked_stripedN15benchmark_utils11custom_typeIiiEELj64ELj3ELj10EEvPKT0_PS4_
; %bb.0:
	s_clause 0x1
	s_load_b128 s[16:19], s[0:1], 0x0
	s_load_b32 s2, s[0:1], 0x1c
	s_mov_b32 s21, 0
	s_mul_i32 s20, s15, 0xc0
	v_bfe_u32 v9, v0, 10, 10
	s_lshl_b64 s[14:15], s[20:21], 3
	s_mov_b32 s20, s21
	v_and_b32_e32 v8, 0x3ff, v0
	v_bfe_u32 v0, v0, 20, 10
	v_mbcnt_lo_u32_b32 v12, -1, 0
	s_mov_b32 s12, s21
	s_mov_b32 s13, s21
	v_mul_u32_u24_e32 v1, 3, v8
	s_delay_alu instid0(VALU_DEP_2) | instskip(NEXT) | instid1(VALU_DEP_2)
	v_cmp_eq_u32_e64 s8, 0, v12
	v_lshlrev_b32_e32 v7, 3, v1
	s_waitcnt lgkmcnt(0)
	s_add_u32 s0, s16, s14
	s_addc_u32 s1, s17, s15
	s_clause 0x2
	global_load_b64 v[5:6], v7, s[0:1] offset:16
	global_load_b128 v[1:4], v7, s[0:1]
	global_load_b64 v[1:2], v7, s[0:1]
	v_lshrrev_b32_e32 v7, 5, v8
	s_lshr_b32 s0, s2, 16
	s_delay_alu instid0(SALU_CYCLE_1) | instskip(SKIP_1) | instid1(VALU_DEP_2)
	v_mad_u32_u24 v0, v0, s0, v9
	s_and_b32 s0, s2, 0xffff
	v_mul_u32_u24_e32 v11, 0x60, v7
	v_lshlrev_b32_e32 v25, 2, v7
	s_delay_alu instid0(VALU_DEP_3) | instskip(NEXT) | instid1(VALU_DEP_3)
	v_mad_u64_u32 v[9:10], null, v0, s0, v[8:9]
	v_lshlrev_b32_e32 v13, 3, v11
	v_or_b32_e32 v0, v12, v11
	v_add_nc_u32_e32 v11, -1, v12
	v_and_b32_e32 v10, 15, v12
	v_add_nc_u32_e32 v27, -4, v25
	v_mad_u32_u24 v20, v12, 24, v13
	v_lshrrev_b32_e32 v23, 5, v9
	v_and_b32_e32 v9, 16, v12
	v_cmp_gt_i32_e32 vcc_lo, 0, v11
	v_lshlrev_b32_e32 v21, 3, v0
	v_cmp_eq_u32_e64 s0, 0, v10
	v_cmp_lt_u32_e64 s1, 1, v10
	v_cmp_eq_u32_e64 s4, 0, v9
	v_cndmask_b32_e32 v9, v11, v12, vcc_lo
	v_cmp_lt_u32_e64 s2, 3, v10
	v_cmp_lt_u32_e64 s3, 7, v10
	s_delay_alu instid0(VALU_DEP_3) | instskip(SKIP_1) | instid1(VALU_DEP_1)
	v_lshlrev_b32_e32 v24, 2, v9
	v_and_b32_e32 v9, 1, v12
	v_cmp_eq_u32_e64 s10, 0, v9
	v_dual_mov_b32 v9, s20 :: v_dual_and_b32 v0, 32, v8
	v_lshlrev_b32_e32 v19, 5, v8
	v_cmp_gt_u32_e64 s6, 2, v8
	v_cmp_lt_u32_e64 s7, 31, v8
	v_cmp_eq_u32_e64 s9, 0, v8
	v_or_b32_e32 v13, 31, v0
	v_mul_u32_u24_e32 v0, 3, v0
	v_mad_i32_i24 v26, 0xffffffe4, v8, v19
	v_or_b32_e32 v22, 8, v19
	v_mov_b32_e32 v10, s21
	v_cmp_eq_u32_e64 s5, v13, v8
	v_or_b32_e32 v0, v12, v0
	v_dual_mov_b32 v11, s12 :: v_dual_mov_b32 v12, s13
	s_delay_alu instid0(VALU_DEP_2) | instskip(SKIP_1) | instid1(VALU_DEP_1)
	v_lshlrev_b32_e32 v28, 3, v0
	v_lshlrev_b32_e32 v0, 2, v8
	v_add_nc_u32_e32 v29, v26, v0
	s_branch .LBB338_2
.LBB338_1:                              ;   in Loop: Header=BB338_2 Depth=1
	s_barrier
	buffer_gl0_inv
	ds_store_b64 v6, v[13:14]
	ds_store_b64 v7, v[17:18]
	;; [unrolled: 1-line block ×3, first 2 shown]
	s_waitcnt lgkmcnt(0)
	s_barrier
	buffer_gl0_inv
	ds_load_2addr_stride64_b64 v[1:4], v29 offset1:1
	ds_load_b64 v[5:6], v29 offset:1024
	s_add_i32 s21, s21, 1
	s_delay_alu instid0(SALU_CYCLE_1)
	s_cmp_eq_u32 s21, 10
	s_waitcnt lgkmcnt(1)
	v_xor_b32_e32 v1, 0x80000000, v1
	v_xor_b32_e32 v2, 0x80000000, v2
	;; [unrolled: 1-line block ×4, first 2 shown]
	s_waitcnt lgkmcnt(0)
	v_xor_b32_e32 v5, 0x80000000, v5
	v_xor_b32_e32 v6, 0x80000000, v6
	s_cbranch_scc1 .LBB338_18
.LBB338_2:                              ; =>This Loop Header: Depth=1
                                        ;     Child Loop BB338_4 Depth 2
	s_waitcnt vmcnt(0)
	v_xor_b32_e32 v2, 0x80000000, v2
	v_xor_b32_e32 v1, 0x80000000, v1
	v_xor_b32_e32 v4, 0x80000000, v4
	v_xor_b32_e32 v3, 0x80000000, v3
	v_xor_b32_e32 v6, 0x80000000, v6
	v_xor_b32_e32 v5, 0x80000000, v5
	ds_store_2addr_b64 v20, v[1:2], v[3:4] offset1:1
	ds_store_b64 v20, v[5:6] offset:16
	; wave barrier
	ds_load_2addr_b64 v[0:3], v21 offset1:32
	ds_load_b64 v[4:5], v21 offset:512
	s_mov_b32 s16, 8
	s_mov_b32 s17, 32
	;; [unrolled: 1-line block ×3, first 2 shown]
	s_waitcnt lgkmcnt(0)
	s_barrier
	buffer_gl0_inv
	; wave barrier
	s_barrier
	s_branch .LBB338_4
.LBB338_3:                              ;   in Loop: Header=BB338_4 Depth=2
	s_barrier
	buffer_gl0_inv
	ds_store_b64 v6, v[13:14]
	ds_store_b64 v7, v[17:18]
	;; [unrolled: 1-line block ×3, first 2 shown]
	s_waitcnt lgkmcnt(0)
	s_barrier
	buffer_gl0_inv
	ds_load_2addr_b64 v[0:3], v28 offset1:32
	ds_load_b64 v[4:5], v28 offset:512
	s_add_i32 s17, s17, -8
	s_add_i32 s16, s16, 8
	s_add_i32 s20, s20, 8
	s_waitcnt lgkmcnt(0)
	s_barrier
	s_cbranch_execz .LBB338_1
.LBB338_4:                              ;   Parent Loop BB338_2 Depth=1
                                        ; =>  This Inner Loop Header: Depth=2
	s_min_i32 s12, s16, 32
	s_cmp_lt_u32 s20, 32
	v_dual_mov_b32 v14, v1 :: v_dual_mov_b32 v13, v0
	s_cselect_b32 vcc_lo, -1, 0
	s_cmp_gt_u32 s20, 24
	buffer_gl0_inv
	s_cselect_b32 s11, -1, 0
	s_sub_i32 s12, s12, 32
	v_lshrrev_b32_e32 v1, s20, v14
	s_add_i32 s13, s12, s17
	ds_store_2addr_b64 v19, v[9:10], v[11:12] offset0:1 offset1:2
	ds_store_2addr_b64 v22, v[9:10], v[11:12] offset0:2 offset1:3
	s_lshl_b32 s13, -1, s13
	s_waitcnt lgkmcnt(0)
	s_not_b32 s13, s13
	s_cmp_lg_u32 s12, s20
	s_barrier
	s_cselect_b32 s22, s13, -1
	s_max_i32 s23, s17, 0
	s_max_i32 s12, s20, 32
	v_and_b32_e32 v1, s22, v1
	s_sub_i32 s13, s12, s23
	s_sub_i32 s24, s12, 32
	;; [unrolled: 1-line block ×3, first 2 shown]
	v_lshrrev_b32_e32 v0, s24, v13
	s_min_i32 s12, s13, 32
	buffer_gl0_inv
	s_sub_i32 s12, s12, s24
	s_delay_alu instid0(SALU_CYCLE_1) | instskip(NEXT) | instid1(SALU_CYCLE_1)
	s_lshl_b32 s13, -1, s12
	; wave barrier
	s_not_b32 s13, s13
	s_cmp_lg_u32 s12, 32
	v_cndmask_b32_e32 v1, 0, v1, vcc_lo
	s_cselect_b32 s25, s13, -1
	s_delay_alu instid0(SALU_CYCLE_1) | instskip(NEXT) | instid1(VALU_DEP_1)
	v_and_b32_e32 v0, s25, v0
	v_lshlrev_b32_e32 v0, s23, v0
	s_delay_alu instid0(VALU_DEP_1) | instskip(NEXT) | instid1(VALU_DEP_1)
	v_cndmask_b32_e64 v0, 0, v0, s11
	v_or_b32_e32 v1, v1, v0
	s_delay_alu instid0(VALU_DEP_1)
	v_and_b32_e32 v0, 1, v1
	v_lshlrev_b32_e32 v6, 30, v1
	v_lshlrev_b32_e32 v7, 29, v1
	;; [unrolled: 1-line block ×4, first 2 shown]
	v_add_co_u32 v0, s12, v0, -1
	s_delay_alu instid0(VALU_DEP_1)
	v_cndmask_b32_e64 v16, 0, 1, s12
	v_not_b32_e32 v31, v6
	v_cmp_gt_i32_e64 s13, 0, v6
	v_not_b32_e32 v6, v7
	v_lshlrev_b32_e32 v18, 26, v1
	v_cmp_ne_u32_e64 s12, 0, v16
	v_ashrrev_i32_e32 v31, 31, v31
	v_lshlrev_b32_e32 v30, 25, v1
	v_ashrrev_i32_e32 v6, 31, v6
	v_lshlrev_b32_e32 v16, 24, v1
	v_xor_b32_e32 v0, s12, v0
	v_cmp_gt_i32_e64 s12, 0, v7
	v_not_b32_e32 v7, v15
	v_xor_b32_e32 v31, s13, v31
	v_cmp_gt_i32_e64 s13, 0, v15
	v_and_b32_e32 v0, exec_lo, v0
	v_not_b32_e32 v15, v17
	v_ashrrev_i32_e32 v7, 31, v7
	v_xor_b32_e32 v6, s12, v6
	v_cmp_gt_i32_e64 s12, 0, v17
	v_and_b32_e32 v0, v0, v31
	v_not_b32_e32 v17, v18
	v_ashrrev_i32_e32 v15, 31, v15
	v_xor_b32_e32 v7, s13, v7
	v_cmp_gt_i32_e64 s13, 0, v18
	v_and_b32_e32 v0, v0, v6
	v_not_b32_e32 v6, v30
	v_ashrrev_i32_e32 v17, 31, v17
	v_xor_b32_e32 v15, s12, v15
	v_cmp_gt_i32_e64 s12, 0, v30
	v_and_b32_e32 v0, v0, v7
	v_not_b32_e32 v7, v16
	v_ashrrev_i32_e32 v6, 31, v6
	v_xor_b32_e32 v17, s13, v17
	v_cmp_gt_i32_e64 s13, 0, v16
	v_and_b32_e32 v0, v0, v15
	v_mov_b32_e32 v16, v5
	v_ashrrev_i32_e32 v7, 31, v7
	v_xor_b32_e32 v6, s12, v6
	v_lshl_add_u32 v1, v1, 1, v23
	v_and_b32_e32 v0, v0, v17
	v_mov_b32_e32 v18, v3
	v_xor_b32_e32 v7, s13, v7
	v_mov_b32_e32 v17, v2
	v_mov_b32_e32 v15, v4
	v_and_b32_e32 v0, v0, v6
	v_lshl_add_u32 v31, v1, 2, 8
	s_delay_alu instid0(VALU_DEP_2) | instskip(NEXT) | instid1(VALU_DEP_1)
	v_and_b32_e32 v0, v0, v7
	v_mbcnt_lo_u32_b32 v30, v0, 0
	v_cmp_ne_u32_e64 s13, 0, v0
	s_delay_alu instid0(VALU_DEP_2) | instskip(NEXT) | instid1(VALU_DEP_1)
	v_cmp_eq_u32_e64 s12, 0, v30
	s_and_b32 s13, s12, s13
	s_delay_alu instid0(SALU_CYCLE_1)
	s_and_saveexec_b32 s12, s13
	s_cbranch_execz .LBB338_6
; %bb.5:                                ;   in Loop: Header=BB338_4 Depth=2
	v_bcnt_u32_b32 v0, v0, 0
	ds_store_b32 v31, v0
.LBB338_6:                              ;   in Loop: Header=BB338_4 Depth=2
	s_or_b32 exec_lo, exec_lo, s12
	v_lshrrev_b32_e32 v0, s24, v17
	v_lshrrev_b32_e32 v1, s20, v18
	; wave barrier
	s_delay_alu instid0(VALU_DEP_1) | instskip(NEXT) | instid1(VALU_DEP_1)
	v_and_b32_e32 v1, s22, v1
	v_dual_cndmask_b32 v1, 0, v1 :: v_dual_and_b32 v0, s25, v0
	s_delay_alu instid0(VALU_DEP_1) | instskip(NEXT) | instid1(VALU_DEP_1)
	v_lshlrev_b32_e32 v0, s23, v0
	v_cndmask_b32_e64 v0, 0, v0, s11
	s_delay_alu instid0(VALU_DEP_1) | instskip(NEXT) | instid1(VALU_DEP_1)
	v_or_b32_e32 v0, v1, v0
	v_and_b32_e32 v1, 1, v0
	v_lshlrev_b32_e32 v2, 30, v0
	v_lshlrev_b32_e32 v3, 29, v0
	;; [unrolled: 1-line block ×4, first 2 shown]
	v_add_co_u32 v1, s12, v1, -1
	s_delay_alu instid0(VALU_DEP_1)
	v_cndmask_b32_e64 v5, 0, 1, s12
	v_not_b32_e32 v33, v2
	v_cmp_gt_i32_e64 s13, 0, v2
	v_not_b32_e32 v2, v3
	v_lshlrev_b32_e32 v7, 26, v0
	v_cmp_ne_u32_e64 s12, 0, v5
	v_ashrrev_i32_e32 v33, 31, v33
	v_lshlrev_b32_e32 v32, 25, v0
	v_ashrrev_i32_e32 v2, 31, v2
	v_lshlrev_b32_e32 v5, 24, v0
	v_xor_b32_e32 v1, s12, v1
	v_cmp_gt_i32_e64 s12, 0, v3
	v_not_b32_e32 v3, v4
	v_xor_b32_e32 v33, s13, v33
	v_cmp_gt_i32_e64 s13, 0, v4
	v_and_b32_e32 v1, exec_lo, v1
	v_not_b32_e32 v4, v6
	v_ashrrev_i32_e32 v3, 31, v3
	v_xor_b32_e32 v2, s12, v2
	v_cmp_gt_i32_e64 s12, 0, v6
	v_and_b32_e32 v1, v1, v33
	v_not_b32_e32 v6, v7
	v_ashrrev_i32_e32 v4, 31, v4
	v_xor_b32_e32 v3, s13, v3
	v_cmp_gt_i32_e64 s13, 0, v7
	v_and_b32_e32 v1, v1, v2
	;; [unrolled: 5-line block ×3, first 2 shown]
	v_not_b32_e32 v3, v5
	v_ashrrev_i32_e32 v2, 31, v2
	v_xor_b32_e32 v6, s13, v6
	v_lshlrev_b32_e32 v0, 1, v0
	v_and_b32_e32 v1, v1, v4
	v_cmp_gt_i32_e64 s13, 0, v5
	v_ashrrev_i32_e32 v3, 31, v3
	v_xor_b32_e32 v2, s12, v2
	v_add_lshl_u32 v4, v0, v23, 2
	v_and_b32_e32 v1, v1, v6
	s_delay_alu instid0(VALU_DEP_4) | instskip(SKIP_3) | instid1(VALU_DEP_2)
	v_xor_b32_e32 v0, s13, v3
	ds_load_b32 v32, v4 offset:8
	v_and_b32_e32 v1, v1, v2
	v_add_nc_u32_e32 v34, 8, v4
	; wave barrier
	v_and_b32_e32 v0, v1, v0
	s_delay_alu instid0(VALU_DEP_1) | instskip(SKIP_1) | instid1(VALU_DEP_2)
	v_mbcnt_lo_u32_b32 v33, v0, 0
	v_cmp_ne_u32_e64 s13, 0, v0
	v_cmp_eq_u32_e64 s12, 0, v33
	s_delay_alu instid0(VALU_DEP_1) | instskip(NEXT) | instid1(SALU_CYCLE_1)
	s_and_b32 s13, s12, s13
	s_and_saveexec_b32 s12, s13
	s_cbranch_execz .LBB338_8
; %bb.7:                                ;   in Loop: Header=BB338_4 Depth=2
	s_waitcnt lgkmcnt(0)
	v_bcnt_u32_b32 v0, v0, v32
	ds_store_b32 v34, v0
.LBB338_8:                              ;   in Loop: Header=BB338_4 Depth=2
	s_or_b32 exec_lo, exec_lo, s12
	v_lshrrev_b32_e32 v0, s24, v15
	v_lshrrev_b32_e32 v1, s20, v16
	; wave barrier
	s_delay_alu instid0(VALU_DEP_1) | instskip(NEXT) | instid1(VALU_DEP_1)
	v_and_b32_e32 v1, s22, v1
	v_dual_cndmask_b32 v1, 0, v1 :: v_dual_and_b32 v0, s25, v0
	s_delay_alu instid0(VALU_DEP_1) | instskip(NEXT) | instid1(VALU_DEP_1)
	v_lshlrev_b32_e32 v0, s23, v0
	v_cndmask_b32_e64 v0, 0, v0, s11
	s_delay_alu instid0(VALU_DEP_1) | instskip(NEXT) | instid1(VALU_DEP_1)
	v_or_b32_e32 v0, v1, v0
	v_and_b32_e32 v1, 1, v0
	v_lshlrev_b32_e32 v2, 30, v0
	v_lshlrev_b32_e32 v3, 29, v0
	;; [unrolled: 1-line block ×4, first 2 shown]
	v_add_co_u32 v1, s11, v1, -1
	s_delay_alu instid0(VALU_DEP_1)
	v_cndmask_b32_e64 v5, 0, 1, s11
	v_not_b32_e32 v36, v2
	v_cmp_gt_i32_e64 s11, 0, v2
	v_not_b32_e32 v2, v3
	v_lshlrev_b32_e32 v7, 26, v0
	v_cmp_ne_u32_e32 vcc_lo, 0, v5
	v_ashrrev_i32_e32 v36, 31, v36
	v_lshlrev_b32_e32 v35, 25, v0
	v_ashrrev_i32_e32 v2, 31, v2
	v_lshlrev_b32_e32 v5, 24, v0
	v_xor_b32_e32 v1, vcc_lo, v1
	v_cmp_gt_i32_e32 vcc_lo, 0, v3
	v_not_b32_e32 v3, v4
	v_xor_b32_e32 v36, s11, v36
	v_cmp_gt_i32_e64 s11, 0, v4
	v_and_b32_e32 v1, exec_lo, v1
	v_not_b32_e32 v4, v6
	v_ashrrev_i32_e32 v3, 31, v3
	v_xor_b32_e32 v2, vcc_lo, v2
	v_cmp_gt_i32_e32 vcc_lo, 0, v6
	v_and_b32_e32 v1, v1, v36
	v_not_b32_e32 v6, v7
	v_ashrrev_i32_e32 v4, 31, v4
	v_xor_b32_e32 v3, s11, v3
	v_cmp_gt_i32_e64 s11, 0, v7
	v_and_b32_e32 v1, v1, v2
	v_not_b32_e32 v2, v35
	v_ashrrev_i32_e32 v6, 31, v6
	v_xor_b32_e32 v4, vcc_lo, v4
	v_cmp_gt_i32_e32 vcc_lo, 0, v35
	v_and_b32_e32 v1, v1, v3
	v_not_b32_e32 v3, v5
	v_ashrrev_i32_e32 v2, 31, v2
	v_xor_b32_e32 v6, s11, v6
	v_lshlrev_b32_e32 v0, 1, v0
	v_and_b32_e32 v1, v1, v4
	v_cmp_gt_i32_e64 s11, 0, v5
	v_ashrrev_i32_e32 v3, 31, v3
	v_xor_b32_e32 v2, vcc_lo, v2
	v_add_lshl_u32 v4, v0, v23, 2
	v_and_b32_e32 v1, v1, v6
	s_delay_alu instid0(VALU_DEP_4) | instskip(SKIP_3) | instid1(VALU_DEP_2)
	v_xor_b32_e32 v0, s11, v3
	ds_load_b32 v35, v4 offset:8
	v_and_b32_e32 v1, v1, v2
	v_add_nc_u32_e32 v37, 8, v4
	; wave barrier
	v_and_b32_e32 v0, v1, v0
	s_delay_alu instid0(VALU_DEP_1) | instskip(SKIP_1) | instid1(VALU_DEP_2)
	v_mbcnt_lo_u32_b32 v36, v0, 0
	v_cmp_ne_u32_e64 s11, 0, v0
	v_cmp_eq_u32_e32 vcc_lo, 0, v36
	s_delay_alu instid0(VALU_DEP_2) | instskip(NEXT) | instid1(SALU_CYCLE_1)
	s_and_b32 s12, vcc_lo, s11
	s_and_saveexec_b32 s11, s12
	s_cbranch_execz .LBB338_10
; %bb.9:                                ;   in Loop: Header=BB338_4 Depth=2
	s_waitcnt lgkmcnt(0)
	v_bcnt_u32_b32 v0, v0, v35
	ds_store_b32 v37, v0
.LBB338_10:                             ;   in Loop: Header=BB338_4 Depth=2
	s_or_b32 exec_lo, exec_lo, s11
	; wave barrier
	s_waitcnt lgkmcnt(0)
	s_barrier
	buffer_gl0_inv
	ds_load_2addr_b64 v[4:7], v19 offset0:1 offset1:2
	ds_load_2addr_b64 v[0:3], v22 offset0:2 offset1:3
	s_waitcnt lgkmcnt(1)
	v_add_nc_u32_e32 v38, v5, v4
	s_delay_alu instid0(VALU_DEP_1) | instskip(SKIP_1) | instid1(VALU_DEP_1)
	v_add3_u32 v38, v38, v6, v7
	s_waitcnt lgkmcnt(0)
	v_add3_u32 v38, v38, v0, v1
	s_delay_alu instid0(VALU_DEP_1) | instskip(NEXT) | instid1(VALU_DEP_1)
	v_add3_u32 v3, v38, v2, v3
	v_mov_b32_dpp v38, v3 row_shr:1 row_mask:0xf bank_mask:0xf
	s_delay_alu instid0(VALU_DEP_1) | instskip(NEXT) | instid1(VALU_DEP_1)
	v_cndmask_b32_e64 v38, v38, 0, s0
	v_add_nc_u32_e32 v3, v38, v3
	s_delay_alu instid0(VALU_DEP_1) | instskip(NEXT) | instid1(VALU_DEP_1)
	v_mov_b32_dpp v38, v3 row_shr:2 row_mask:0xf bank_mask:0xf
	v_cndmask_b32_e64 v38, 0, v38, s1
	s_delay_alu instid0(VALU_DEP_1) | instskip(NEXT) | instid1(VALU_DEP_1)
	v_add_nc_u32_e32 v3, v3, v38
	v_mov_b32_dpp v38, v3 row_shr:4 row_mask:0xf bank_mask:0xf
	s_delay_alu instid0(VALU_DEP_1) | instskip(NEXT) | instid1(VALU_DEP_1)
	v_cndmask_b32_e64 v38, 0, v38, s2
	v_add_nc_u32_e32 v3, v3, v38
	s_delay_alu instid0(VALU_DEP_1) | instskip(NEXT) | instid1(VALU_DEP_1)
	v_mov_b32_dpp v38, v3 row_shr:8 row_mask:0xf bank_mask:0xf
	v_cndmask_b32_e64 v38, 0, v38, s3
	s_delay_alu instid0(VALU_DEP_1) | instskip(SKIP_3) | instid1(VALU_DEP_1)
	v_add_nc_u32_e32 v3, v3, v38
	ds_swizzle_b32 v38, v3 offset:swizzle(BROADCAST,32,15)
	s_waitcnt lgkmcnt(0)
	v_cndmask_b32_e64 v38, v38, 0, s4
	v_add_nc_u32_e32 v3, v3, v38
	s_and_saveexec_b32 s11, s5
	s_cbranch_execz .LBB338_12
; %bb.11:                               ;   in Loop: Header=BB338_4 Depth=2
	ds_store_b32 v25, v3
.LBB338_12:                             ;   in Loop: Header=BB338_4 Depth=2
	s_or_b32 exec_lo, exec_lo, s11
	s_waitcnt lgkmcnt(0)
	s_barrier
	buffer_gl0_inv
	s_and_saveexec_b32 s11, s6
	s_cbranch_execz .LBB338_14
; %bb.13:                               ;   in Loop: Header=BB338_4 Depth=2
	ds_load_b32 v38, v26
	s_waitcnt lgkmcnt(0)
	v_mov_b32_dpp v39, v38 row_shr:1 row_mask:0xf bank_mask:0xf
	s_delay_alu instid0(VALU_DEP_1) | instskip(NEXT) | instid1(VALU_DEP_1)
	v_cndmask_b32_e64 v39, v39, 0, s10
	v_add_nc_u32_e32 v38, v39, v38
	ds_store_b32 v26, v38
.LBB338_14:                             ;   in Loop: Header=BB338_4 Depth=2
	s_or_b32 exec_lo, exec_lo, s11
	v_mov_b32_e32 v38, 0
	s_waitcnt lgkmcnt(0)
	s_barrier
	buffer_gl0_inv
	s_and_saveexec_b32 s11, s7
	s_cbranch_execz .LBB338_16
; %bb.15:                               ;   in Loop: Header=BB338_4 Depth=2
	ds_load_b32 v38, v27
.LBB338_16:                             ;   in Loop: Header=BB338_4 Depth=2
	s_or_b32 exec_lo, exec_lo, s11
	s_waitcnt lgkmcnt(0)
	v_add_nc_u32_e32 v3, v38, v3
	s_cmp_gt_u32 s20, 55
	ds_bpermute_b32 v3, v24, v3
	s_waitcnt lgkmcnt(0)
	v_cndmask_b32_e64 v3, v3, v38, s8
	s_delay_alu instid0(VALU_DEP_1) | instskip(NEXT) | instid1(VALU_DEP_1)
	v_cndmask_b32_e64 v3, v3, 0, s9
	v_add_nc_u32_e32 v4, v3, v4
	s_delay_alu instid0(VALU_DEP_1) | instskip(NEXT) | instid1(VALU_DEP_1)
	v_add_nc_u32_e32 v5, v4, v5
	v_add_nc_u32_e32 v6, v5, v6
	s_delay_alu instid0(VALU_DEP_1) | instskip(NEXT) | instid1(VALU_DEP_1)
	v_add_nc_u32_e32 v38, v6, v7
	;; [unrolled: 3-line block ×3, first 2 shown]
	v_add_nc_u32_e32 v1, v0, v2
	ds_store_2addr_b64 v19, v[3:4], v[5:6] offset0:1 offset1:2
	ds_store_2addr_b64 v22, v[38:39], v[0:1] offset0:2 offset1:3
	s_waitcnt lgkmcnt(0)
	s_barrier
	buffer_gl0_inv
	ds_load_b32 v0, v34
	ds_load_b32 v1, v37
	;; [unrolled: 1-line block ×3, first 2 shown]
	v_lshlrev_b32_e32 v3, 3, v30
	v_lshlrev_b32_e32 v4, 3, v33
	;; [unrolled: 1-line block ×5, first 2 shown]
	s_waitcnt lgkmcnt(0)
	v_lshlrev_b32_e32 v0, 3, v0
	v_lshlrev_b32_e32 v1, 3, v1
	v_lshl_add_u32 v6, v2, 3, v3
	s_delay_alu instid0(VALU_DEP_3) | instskip(NEXT) | instid1(VALU_DEP_3)
	v_add3_u32 v7, v4, v5, v0
	v_add3_u32 v30, v30, v31, v1
	s_cbranch_scc0 .LBB338_3
; %bb.17:                               ;   in Loop: Header=BB338_2 Depth=1
                                        ; implicit-def: $sgpr20
                                        ; implicit-def: $vgpr0_vgpr1
                                        ; implicit-def: $vgpr4_vgpr5
                                        ; implicit-def: $sgpr17
                                        ; implicit-def: $sgpr16
	s_branch .LBB338_1
.LBB338_18:
	v_lshlrev_b32_e32 v0, 3, v8
	s_add_u32 s0, s18, s14
	s_addc_u32 s1, s19, s15
	s_clause 0x2
	global_store_b64 v0, v[1:2], s[0:1]
	global_store_b64 v0, v[3:4], s[0:1] offset:512
	global_store_b64 v0, v[5:6], s[0:1] offset:1024
	s_nop 0
	s_sendmsg sendmsg(MSG_DEALLOC_VGPRS)
	s_endpgm
	.section	.rodata,"a",@progbits
	.p2align	6, 0x0
	.amdhsa_kernel _Z16sort_keys_kernelI22helper_blocked_stripedN15benchmark_utils11custom_typeIiiEELj64ELj3ELj10EEvPKT0_PS4_
		.amdhsa_group_segment_fixed_size 2064
		.amdhsa_private_segment_fixed_size 0
		.amdhsa_kernarg_size 272
		.amdhsa_user_sgpr_count 15
		.amdhsa_user_sgpr_dispatch_ptr 0
		.amdhsa_user_sgpr_queue_ptr 0
		.amdhsa_user_sgpr_kernarg_segment_ptr 1
		.amdhsa_user_sgpr_dispatch_id 0
		.amdhsa_user_sgpr_private_segment_size 0
		.amdhsa_wavefront_size32 1
		.amdhsa_uses_dynamic_stack 0
		.amdhsa_enable_private_segment 0
		.amdhsa_system_sgpr_workgroup_id_x 1
		.amdhsa_system_sgpr_workgroup_id_y 0
		.amdhsa_system_sgpr_workgroup_id_z 0
		.amdhsa_system_sgpr_workgroup_info 0
		.amdhsa_system_vgpr_workitem_id 2
		.amdhsa_next_free_vgpr 40
		.amdhsa_next_free_sgpr 26
		.amdhsa_reserve_vcc 1
		.amdhsa_float_round_mode_32 0
		.amdhsa_float_round_mode_16_64 0
		.amdhsa_float_denorm_mode_32 3
		.amdhsa_float_denorm_mode_16_64 3
		.amdhsa_dx10_clamp 1
		.amdhsa_ieee_mode 1
		.amdhsa_fp16_overflow 0
		.amdhsa_workgroup_processor_mode 1
		.amdhsa_memory_ordered 1
		.amdhsa_forward_progress 0
		.amdhsa_shared_vgpr_count 0
		.amdhsa_exception_fp_ieee_invalid_op 0
		.amdhsa_exception_fp_denorm_src 0
		.amdhsa_exception_fp_ieee_div_zero 0
		.amdhsa_exception_fp_ieee_overflow 0
		.amdhsa_exception_fp_ieee_underflow 0
		.amdhsa_exception_fp_ieee_inexact 0
		.amdhsa_exception_int_div_zero 0
	.end_amdhsa_kernel
	.section	.text._Z16sort_keys_kernelI22helper_blocked_stripedN15benchmark_utils11custom_typeIiiEELj64ELj3ELj10EEvPKT0_PS4_,"axG",@progbits,_Z16sort_keys_kernelI22helper_blocked_stripedN15benchmark_utils11custom_typeIiiEELj64ELj3ELj10EEvPKT0_PS4_,comdat
.Lfunc_end338:
	.size	_Z16sort_keys_kernelI22helper_blocked_stripedN15benchmark_utils11custom_typeIiiEELj64ELj3ELj10EEvPKT0_PS4_, .Lfunc_end338-_Z16sort_keys_kernelI22helper_blocked_stripedN15benchmark_utils11custom_typeIiiEELj64ELj3ELj10EEvPKT0_PS4_
                                        ; -- End function
	.section	.AMDGPU.csdata,"",@progbits
; Kernel info:
; codeLenInByte = 2616
; NumSgprs: 28
; NumVgprs: 40
; ScratchSize: 0
; MemoryBound: 0
; FloatMode: 240
; IeeeMode: 1
; LDSByteSize: 2064 bytes/workgroup (compile time only)
; SGPRBlocks: 3
; VGPRBlocks: 4
; NumSGPRsForWavesPerEU: 28
; NumVGPRsForWavesPerEU: 40
; Occupancy: 16
; WaveLimiterHint : 1
; COMPUTE_PGM_RSRC2:SCRATCH_EN: 0
; COMPUTE_PGM_RSRC2:USER_SGPR: 15
; COMPUTE_PGM_RSRC2:TRAP_HANDLER: 0
; COMPUTE_PGM_RSRC2:TGID_X_EN: 1
; COMPUTE_PGM_RSRC2:TGID_Y_EN: 0
; COMPUTE_PGM_RSRC2:TGID_Z_EN: 0
; COMPUTE_PGM_RSRC2:TIDIG_COMP_CNT: 2
	.section	.text._Z17sort_pairs_kernelI22helper_blocked_stripedN15benchmark_utils11custom_typeIiiEELj64ELj3ELj10EEvPKT0_PS4_,"axG",@progbits,_Z17sort_pairs_kernelI22helper_blocked_stripedN15benchmark_utils11custom_typeIiiEELj64ELj3ELj10EEvPKT0_PS4_,comdat
	.protected	_Z17sort_pairs_kernelI22helper_blocked_stripedN15benchmark_utils11custom_typeIiiEELj64ELj3ELj10EEvPKT0_PS4_ ; -- Begin function _Z17sort_pairs_kernelI22helper_blocked_stripedN15benchmark_utils11custom_typeIiiEELj64ELj3ELj10EEvPKT0_PS4_
	.globl	_Z17sort_pairs_kernelI22helper_blocked_stripedN15benchmark_utils11custom_typeIiiEELj64ELj3ELj10EEvPKT0_PS4_
	.p2align	8
	.type	_Z17sort_pairs_kernelI22helper_blocked_stripedN15benchmark_utils11custom_typeIiiEELj64ELj3ELj10EEvPKT0_PS4_,@function
_Z17sort_pairs_kernelI22helper_blocked_stripedN15benchmark_utils11custom_typeIiiEELj64ELj3ELj10EEvPKT0_PS4_: ; @_Z17sort_pairs_kernelI22helper_blocked_stripedN15benchmark_utils11custom_typeIiiEELj64ELj3ELj10EEvPKT0_PS4_
; %bb.0:
	s_clause 0x1
	s_load_b128 s[16:19], s[0:1], 0x0
	s_load_b32 s10, s[0:1], 0x1c
	v_and_b32_e32 v9, 0x3ff, v0
	s_mov_b32 s21, 0
	s_mul_i32 s20, s15, 0xc0
	v_mbcnt_lo_u32_b32 v7, -1, 0
	s_lshl_b64 s[14:15], s[20:21], 3
	v_mul_u32_u24_e32 v1, 3, v9
	s_mov_b32 s20, s21
	s_delay_alu instid0(VALU_DEP_2) | instskip(NEXT) | instid1(VALU_DEP_2)
	v_add_nc_u32_e32 v16, -1, v7
	v_dual_mov_b32 v12, s20 :: v_dual_lshlrev_b32 v5, 3, v1
	v_dual_mov_b32 v13, s21 :: v_dual_and_b32 v8, 16, v7
	s_delay_alu instid0(VALU_DEP_3) | instskip(SKIP_2) | instid1(VALU_DEP_4)
	v_cmp_gt_i32_e32 vcc_lo, 0, v16
	v_and_b32_e32 v17, 1, v7
	v_and_b32_e32 v6, 15, v7
	v_cmp_eq_u32_e64 s5, 0, v8
	s_waitcnt lgkmcnt(0)
	s_add_u32 s0, s16, s14
	s_addc_u32 s1, s17, s15
	s_clause 0x1
	global_load_b128 v[1:4], v5, s[0:1]
	global_load_b64 v[14:15], v5, s[0:1] offset:16
	s_mov_b32 s1, s21
	s_mov_b32 s0, s21
	v_mov_b32_e32 v11, s1
	v_bfe_u32 v5, v0, 10, 10
	v_bfe_u32 v0, v0, 20, 10
	v_mov_b32_e32 v10, s0
	v_lshrrev_b32_e32 v18, 5, v9
	v_cmp_eq_u32_e64 s1, 0, v6
	v_cmp_lt_u32_e64 s2, 1, v6
	v_cmp_lt_u32_e64 s3, 3, v6
	;; [unrolled: 1-line block ×3, first 2 shown]
	v_and_b32_e32 v6, 32, v9
	v_dual_cndmask_b32 v8, v16, v7 :: v_dual_lshlrev_b32 v19, 2, v9
	s_lshr_b32 s11, s10, 16
	v_lshlrev_b32_e32 v30, 5, v9
	v_mad_u32_u24 v0, v0, s11, v5
	v_mul_u32_u24_e32 v16, 0x60, v18
	v_lshlrev_b32_e32 v32, 2, v8
	v_mul_u32_u24_e32 v8, 3, v6
	s_and_b32 s10, s10, 0xffff
	v_cmp_eq_u32_e64 s9, 0, v17
	v_or_b32_e32 v17, 31, v6
	v_mad_u64_u32 v[5:6], null, v0, s10, v[9:10]
	v_lshlrev_b32_e32 v33, 2, v18
	v_mad_i32_i24 v34, 0xffffffe4, v9, v30
	v_lshlrev_b32_e32 v18, 3, v16
	v_or_b32_e32 v0, v7, v16
	v_or_b32_e32 v6, v7, v8
	v_cmp_eq_u32_e64 s0, 0, v7
	v_cmp_gt_u32_e64 s6, 2, v9
	v_cmp_lt_u32_e64 s7, 31, v9
	v_cmp_eq_u32_e64 s8, 0, v9
	v_or_b32_e32 v31, 8, v30
	v_cmp_eq_u32_e64 s10, v17, v9
	v_add_nc_u32_e32 v35, -4, v33
	v_mad_u32_u24 v36, v7, 24, v18
	v_lshlrev_b32_e32 v37, 3, v0
	v_lshlrev_b32_e32 v38, 3, v6
	v_lshrrev_b32_e32 v39, 5, v5
	v_add_nc_u32_e32 v40, v34, v19
	s_waitcnt vmcnt(1)
	v_add_nc_u32_e32 v6, 1, v2
	v_add_nc_u32_e32 v5, 1, v1
	;; [unrolled: 1-line block ×4, first 2 shown]
	s_waitcnt vmcnt(0)
	v_add_nc_u32_e32 v17, 1, v15
	v_add_nc_u32_e32 v16, 1, v14
	s_branch .LBB339_2
.LBB339_1:                              ;   in Loop: Header=BB339_2 Depth=1
	s_barrier
	buffer_gl0_inv
	ds_store_b64 v8, v[14:15]
	ds_store_b64 v41, v[24:25]
	;; [unrolled: 1-line block ×3, first 2 shown]
	s_waitcnt lgkmcnt(0)
	s_barrier
	buffer_gl0_inv
	ds_load_2addr_stride64_b64 v[1:4], v40 offset1:1
	ds_load_b64 v[14:15], v40 offset:1024
	s_waitcnt lgkmcnt(0)
	s_barrier
	buffer_gl0_inv
	ds_store_b64 v8, v[18:19]
	ds_store_b64 v41, v[16:17]
	;; [unrolled: 1-line block ×3, first 2 shown]
	s_waitcnt lgkmcnt(0)
	s_barrier
	buffer_gl0_inv
	ds_load_2addr_stride64_b64 v[5:8], v40 offset1:1
	ds_load_b64 v[16:17], v40 offset:1024
	s_add_i32 s21, s21, 1
	s_delay_alu instid0(SALU_CYCLE_1)
	s_cmp_lg_u32 s21, 10
	v_xor_b32_e32 v1, 0x80000000, v1
	v_xor_b32_e32 v2, 0x80000000, v2
	;; [unrolled: 1-line block ×6, first 2 shown]
	s_cbranch_scc0 .LBB339_18
.LBB339_2:                              ; =>This Loop Header: Depth=1
                                        ;     Child Loop BB339_4 Depth 2
	v_xor_b32_e32 v2, 0x80000000, v2
	v_xor_b32_e32 v1, 0x80000000, v1
	;; [unrolled: 1-line block ×6, first 2 shown]
	ds_store_2addr_b64 v36, v[1:2], v[3:4] offset1:1
	ds_store_b64 v36, v[14:15] offset:16
	; wave barrier
	ds_load_2addr_b64 v[0:3], v37 offset1:32
	ds_load_b64 v[26:27], v37 offset:512
	; wave barrier
	s_waitcnt lgkmcnt(5)
	ds_store_2addr_b64 v36, v[5:6], v[7:8] offset1:1
	s_waitcnt lgkmcnt(5)
	ds_store_b64 v36, v[16:17] offset:16
	; wave barrier
	ds_load_2addr_b64 v[4:7], v37 offset1:32
	ds_load_b64 v[28:29], v37 offset:512
	s_mov_b32 s16, 8
	s_mov_b32 s17, 32
	;; [unrolled: 1-line block ×3, first 2 shown]
	s_waitcnt lgkmcnt(0)
	s_barrier
	s_branch .LBB339_4
.LBB339_3:                              ;   in Loop: Header=BB339_4 Depth=2
	s_barrier
	buffer_gl0_inv
	ds_store_b64 v8, v[14:15]
	ds_store_b64 v41, v[24:25]
	;; [unrolled: 1-line block ×3, first 2 shown]
	s_waitcnt lgkmcnt(0)
	s_barrier
	buffer_gl0_inv
	ds_load_2addr_b64 v[0:3], v38 offset1:32
	ds_load_b64 v[26:27], v38 offset:512
	s_waitcnt lgkmcnt(0)
	s_barrier
	buffer_gl0_inv
	ds_store_b64 v8, v[18:19]
	ds_store_b64 v41, v[16:17]
	;; [unrolled: 1-line block ×3, first 2 shown]
	s_waitcnt lgkmcnt(0)
	s_barrier
	buffer_gl0_inv
	ds_load_2addr_b64 v[4:7], v38 offset1:32
	ds_load_b64 v[28:29], v38 offset:512
	s_add_i32 s17, s17, -8
	s_add_i32 s16, s16, 8
	s_add_i32 s20, s20, 8
	s_waitcnt lgkmcnt(0)
	s_barrier
	s_cbranch_execz .LBB339_1
.LBB339_4:                              ;   Parent Loop BB339_2 Depth=1
                                        ; =>  This Inner Loop Header: Depth=2
	s_min_i32 s12, s16, 32
	s_cmp_lt_u32 s20, 32
	v_dual_mov_b32 v15, v1 :: v_dual_mov_b32 v14, v0
	s_cselect_b32 vcc_lo, -1, 0
	s_cmp_gt_u32 s20, 24
	buffer_gl0_inv
	s_cselect_b32 s11, -1, 0
	s_sub_i32 s12, s12, 32
	v_lshrrev_b32_e32 v1, s20, v15
	s_add_i32 s13, s12, s17
	ds_store_2addr_b64 v30, v[12:13], v[10:11] offset0:1 offset1:2
	ds_store_2addr_b64 v31, v[12:13], v[10:11] offset0:2 offset1:3
	s_lshl_b32 s13, -1, s13
	s_waitcnt lgkmcnt(0)
	s_not_b32 s13, s13
	s_cmp_lg_u32 s12, s20
	s_barrier
	s_cselect_b32 s22, s13, -1
	s_max_i32 s23, s17, 0
	s_max_i32 s12, s20, 32
	v_and_b32_e32 v1, s22, v1
	s_sub_i32 s13, s12, s23
	s_sub_i32 s24, s12, 32
	;; [unrolled: 1-line block ×3, first 2 shown]
	v_lshrrev_b32_e32 v0, s24, v14
	s_min_i32 s12, s13, 32
	buffer_gl0_inv
	s_sub_i32 s12, s12, s24
	s_delay_alu instid0(SALU_CYCLE_1) | instskip(NEXT) | instid1(SALU_CYCLE_1)
	s_lshl_b32 s13, -1, s12
	; wave barrier
	s_not_b32 s13, s13
	s_cmp_lg_u32 s12, 32
	v_cndmask_b32_e32 v1, 0, v1, vcc_lo
	s_cselect_b32 s25, s13, -1
	s_delay_alu instid0(SALU_CYCLE_1) | instskip(SKIP_1) | instid1(VALU_DEP_2)
	v_dual_mov_b32 v25, v3 :: v_dual_and_b32 v0, s25, v0
	v_mov_b32_e32 v24, v2
	v_lshlrev_b32_e32 v0, s23, v0
	s_delay_alu instid0(VALU_DEP_1) | instskip(NEXT) | instid1(VALU_DEP_1)
	v_cndmask_b32_e64 v0, 0, v0, s11
	v_or_b32_e32 v1, v1, v0
	s_delay_alu instid0(VALU_DEP_1)
	v_and_b32_e32 v0, 1, v1
	v_lshlrev_b32_e32 v8, 30, v1
	v_lshlrev_b32_e32 v16, 29, v1
	;; [unrolled: 1-line block ×4, first 2 shown]
	v_add_co_u32 v0, s12, v0, -1
	s_delay_alu instid0(VALU_DEP_1)
	v_cndmask_b32_e64 v18, 0, 1, s12
	v_not_b32_e32 v22, v8
	v_cmp_gt_i32_e64 s13, 0, v8
	v_not_b32_e32 v8, v16
	v_lshlrev_b32_e32 v20, 26, v1
	v_cmp_ne_u32_e64 s12, 0, v18
	v_ashrrev_i32_e32 v22, 31, v22
	v_lshlrev_b32_e32 v21, 25, v1
	v_ashrrev_i32_e32 v8, 31, v8
	v_lshlrev_b32_e32 v18, 24, v1
	v_xor_b32_e32 v0, s12, v0
	v_cmp_gt_i32_e64 s12, 0, v16
	v_not_b32_e32 v16, v17
	v_xor_b32_e32 v22, s13, v22
	v_cmp_gt_i32_e64 s13, 0, v17
	v_and_b32_e32 v0, exec_lo, v0
	v_not_b32_e32 v17, v19
	v_ashrrev_i32_e32 v16, 31, v16
	v_xor_b32_e32 v8, s12, v8
	v_cmp_gt_i32_e64 s12, 0, v19
	v_and_b32_e32 v0, v0, v22
	v_mov_b32_e32 v22, v26
	v_ashrrev_i32_e32 v17, 31, v17
	v_xor_b32_e32 v16, s13, v16
	v_mov_b32_e32 v23, v27
	v_not_b32_e32 v19, v20
	v_and_b32_e32 v0, v0, v8
	v_cmp_gt_i32_e64 s13, 0, v20
	v_not_b32_e32 v8, v21
	v_xor_b32_e32 v17, s12, v17
	v_ashrrev_i32_e32 v19, 31, v19
	v_and_b32_e32 v0, v0, v16
	v_cmp_gt_i32_e64 s12, 0, v21
	v_not_b32_e32 v16, v18
	v_ashrrev_i32_e32 v8, 31, v8
	v_xor_b32_e32 v19, s13, v19
	v_and_b32_e32 v0, v0, v17
	v_cmp_gt_i32_e64 s13, 0, v18
	v_ashrrev_i32_e32 v16, 31, v16
	v_xor_b32_e32 v8, s12, v8
	v_lshl_add_u32 v1, v1, 1, v39
	v_dual_mov_b32 v19, v5 :: v_dual_and_b32 v0, v0, v19
	s_delay_alu instid0(VALU_DEP_4) | instskip(SKIP_1) | instid1(VALU_DEP_3)
	v_xor_b32_e32 v20, s13, v16
	v_dual_mov_b32 v17, v7 :: v_dual_mov_b32 v18, v4
	v_and_b32_e32 v0, v0, v8
	v_mov_b32_e32 v16, v6
	v_lshl_add_u32 v26, v1, 2, 8
	s_delay_alu instid0(VALU_DEP_3) | instskip(SKIP_1) | instid1(VALU_DEP_2)
	v_and_b32_e32 v0, v0, v20
	v_dual_mov_b32 v20, v28 :: v_dual_mov_b32 v21, v29
	v_mbcnt_lo_u32_b32 v8, v0, 0
	v_cmp_ne_u32_e64 s13, 0, v0
	s_delay_alu instid0(VALU_DEP_2) | instskip(NEXT) | instid1(VALU_DEP_1)
	v_cmp_eq_u32_e64 s12, 0, v8
	s_and_b32 s13, s12, s13
	s_delay_alu instid0(SALU_CYCLE_1)
	s_and_saveexec_b32 s12, s13
	s_cbranch_execz .LBB339_6
; %bb.5:                                ;   in Loop: Header=BB339_4 Depth=2
	v_bcnt_u32_b32 v0, v0, 0
	ds_store_b32 v26, v0
.LBB339_6:                              ;   in Loop: Header=BB339_4 Depth=2
	s_or_b32 exec_lo, exec_lo, s12
	v_lshrrev_b32_e32 v0, s24, v24
	v_lshrrev_b32_e32 v1, s20, v25
	; wave barrier
	s_delay_alu instid0(VALU_DEP_1) | instskip(NEXT) | instid1(VALU_DEP_1)
	v_and_b32_e32 v1, s22, v1
	v_dual_cndmask_b32 v1, 0, v1 :: v_dual_and_b32 v0, s25, v0
	s_delay_alu instid0(VALU_DEP_1) | instskip(NEXT) | instid1(VALU_DEP_1)
	v_lshlrev_b32_e32 v0, s23, v0
	v_cndmask_b32_e64 v0, 0, v0, s11
	s_delay_alu instid0(VALU_DEP_1) | instskip(NEXT) | instid1(VALU_DEP_1)
	v_or_b32_e32 v0, v1, v0
	v_and_b32_e32 v1, 1, v0
	v_lshlrev_b32_e32 v2, 30, v0
	v_lshlrev_b32_e32 v3, 29, v0
	;; [unrolled: 1-line block ×4, first 2 shown]
	v_add_co_u32 v1, s12, v1, -1
	s_delay_alu instid0(VALU_DEP_1)
	v_cndmask_b32_e64 v5, 0, 1, s12
	v_not_b32_e32 v28, v2
	v_cmp_gt_i32_e64 s13, 0, v2
	v_not_b32_e32 v2, v3
	v_lshlrev_b32_e32 v7, 26, v0
	v_cmp_ne_u32_e64 s12, 0, v5
	v_ashrrev_i32_e32 v28, 31, v28
	v_lshlrev_b32_e32 v27, 25, v0
	v_ashrrev_i32_e32 v2, 31, v2
	v_lshlrev_b32_e32 v5, 24, v0
	v_xor_b32_e32 v1, s12, v1
	v_cmp_gt_i32_e64 s12, 0, v3
	v_not_b32_e32 v3, v4
	v_xor_b32_e32 v28, s13, v28
	v_cmp_gt_i32_e64 s13, 0, v4
	v_and_b32_e32 v1, exec_lo, v1
	v_not_b32_e32 v4, v6
	v_ashrrev_i32_e32 v3, 31, v3
	v_xor_b32_e32 v2, s12, v2
	v_cmp_gt_i32_e64 s12, 0, v6
	v_and_b32_e32 v1, v1, v28
	v_not_b32_e32 v6, v7
	v_ashrrev_i32_e32 v4, 31, v4
	v_xor_b32_e32 v3, s13, v3
	v_cmp_gt_i32_e64 s13, 0, v7
	v_and_b32_e32 v1, v1, v2
	;; [unrolled: 5-line block ×3, first 2 shown]
	v_not_b32_e32 v3, v5
	v_ashrrev_i32_e32 v2, 31, v2
	v_xor_b32_e32 v6, s13, v6
	v_lshlrev_b32_e32 v0, 1, v0
	v_and_b32_e32 v1, v1, v4
	v_cmp_gt_i32_e64 s13, 0, v5
	v_ashrrev_i32_e32 v3, 31, v3
	v_xor_b32_e32 v2, s12, v2
	v_add_lshl_u32 v4, v0, v39, 2
	v_and_b32_e32 v1, v1, v6
	s_delay_alu instid0(VALU_DEP_4) | instskip(SKIP_3) | instid1(VALU_DEP_2)
	v_xor_b32_e32 v0, s13, v3
	ds_load_b32 v27, v4 offset:8
	v_and_b32_e32 v1, v1, v2
	v_add_nc_u32_e32 v29, 8, v4
	; wave barrier
	v_and_b32_e32 v0, v1, v0
	s_delay_alu instid0(VALU_DEP_1) | instskip(SKIP_1) | instid1(VALU_DEP_2)
	v_mbcnt_lo_u32_b32 v28, v0, 0
	v_cmp_ne_u32_e64 s13, 0, v0
	v_cmp_eq_u32_e64 s12, 0, v28
	s_delay_alu instid0(VALU_DEP_1) | instskip(NEXT) | instid1(SALU_CYCLE_1)
	s_and_b32 s13, s12, s13
	s_and_saveexec_b32 s12, s13
	s_cbranch_execz .LBB339_8
; %bb.7:                                ;   in Loop: Header=BB339_4 Depth=2
	s_waitcnt lgkmcnt(0)
	v_bcnt_u32_b32 v0, v0, v27
	ds_store_b32 v29, v0
.LBB339_8:                              ;   in Loop: Header=BB339_4 Depth=2
	s_or_b32 exec_lo, exec_lo, s12
	v_lshrrev_b32_e32 v0, s24, v22
	v_lshrrev_b32_e32 v1, s20, v23
	; wave barrier
	s_delay_alu instid0(VALU_DEP_1) | instskip(NEXT) | instid1(VALU_DEP_1)
	v_and_b32_e32 v1, s22, v1
	v_dual_cndmask_b32 v1, 0, v1 :: v_dual_and_b32 v0, s25, v0
	s_delay_alu instid0(VALU_DEP_1) | instskip(NEXT) | instid1(VALU_DEP_1)
	v_lshlrev_b32_e32 v0, s23, v0
	v_cndmask_b32_e64 v0, 0, v0, s11
	s_delay_alu instid0(VALU_DEP_1) | instskip(NEXT) | instid1(VALU_DEP_1)
	v_or_b32_e32 v0, v1, v0
	v_and_b32_e32 v1, 1, v0
	v_lshlrev_b32_e32 v2, 30, v0
	v_lshlrev_b32_e32 v3, 29, v0
	;; [unrolled: 1-line block ×4, first 2 shown]
	v_add_co_u32 v1, s11, v1, -1
	s_delay_alu instid0(VALU_DEP_1)
	v_cndmask_b32_e64 v5, 0, 1, s11
	v_not_b32_e32 v42, v2
	v_cmp_gt_i32_e64 s11, 0, v2
	v_not_b32_e32 v2, v3
	v_lshlrev_b32_e32 v7, 26, v0
	v_cmp_ne_u32_e32 vcc_lo, 0, v5
	v_ashrrev_i32_e32 v42, 31, v42
	v_lshlrev_b32_e32 v41, 25, v0
	v_ashrrev_i32_e32 v2, 31, v2
	v_lshlrev_b32_e32 v5, 24, v0
	v_xor_b32_e32 v1, vcc_lo, v1
	v_cmp_gt_i32_e32 vcc_lo, 0, v3
	v_not_b32_e32 v3, v4
	v_xor_b32_e32 v42, s11, v42
	v_cmp_gt_i32_e64 s11, 0, v4
	v_and_b32_e32 v1, exec_lo, v1
	v_not_b32_e32 v4, v6
	v_ashrrev_i32_e32 v3, 31, v3
	v_xor_b32_e32 v2, vcc_lo, v2
	v_cmp_gt_i32_e32 vcc_lo, 0, v6
	v_and_b32_e32 v1, v1, v42
	v_not_b32_e32 v6, v7
	v_ashrrev_i32_e32 v4, 31, v4
	v_xor_b32_e32 v3, s11, v3
	v_cmp_gt_i32_e64 s11, 0, v7
	v_and_b32_e32 v1, v1, v2
	v_not_b32_e32 v2, v41
	v_ashrrev_i32_e32 v6, 31, v6
	v_xor_b32_e32 v4, vcc_lo, v4
	v_cmp_gt_i32_e32 vcc_lo, 0, v41
	v_and_b32_e32 v1, v1, v3
	v_not_b32_e32 v3, v5
	v_ashrrev_i32_e32 v2, 31, v2
	v_xor_b32_e32 v6, s11, v6
	v_lshlrev_b32_e32 v0, 1, v0
	v_and_b32_e32 v1, v1, v4
	v_cmp_gt_i32_e64 s11, 0, v5
	v_ashrrev_i32_e32 v3, 31, v3
	v_xor_b32_e32 v2, vcc_lo, v2
	v_add_lshl_u32 v4, v0, v39, 2
	v_and_b32_e32 v1, v1, v6
	s_delay_alu instid0(VALU_DEP_4) | instskip(SKIP_3) | instid1(VALU_DEP_2)
	v_xor_b32_e32 v0, s11, v3
	ds_load_b32 v41, v4 offset:8
	v_and_b32_e32 v1, v1, v2
	v_add_nc_u32_e32 v43, 8, v4
	; wave barrier
	v_and_b32_e32 v0, v1, v0
	s_delay_alu instid0(VALU_DEP_1) | instskip(SKIP_1) | instid1(VALU_DEP_2)
	v_mbcnt_lo_u32_b32 v42, v0, 0
	v_cmp_ne_u32_e64 s11, 0, v0
	v_cmp_eq_u32_e32 vcc_lo, 0, v42
	s_delay_alu instid0(VALU_DEP_2) | instskip(NEXT) | instid1(SALU_CYCLE_1)
	s_and_b32 s12, vcc_lo, s11
	s_and_saveexec_b32 s11, s12
	s_cbranch_execz .LBB339_10
; %bb.9:                                ;   in Loop: Header=BB339_4 Depth=2
	s_waitcnt lgkmcnt(0)
	v_bcnt_u32_b32 v0, v0, v41
	ds_store_b32 v43, v0
.LBB339_10:                             ;   in Loop: Header=BB339_4 Depth=2
	s_or_b32 exec_lo, exec_lo, s11
	; wave barrier
	s_waitcnt lgkmcnt(0)
	s_barrier
	buffer_gl0_inv
	ds_load_2addr_b64 v[4:7], v30 offset0:1 offset1:2
	ds_load_2addr_b64 v[0:3], v31 offset0:2 offset1:3
	s_waitcnt lgkmcnt(1)
	v_add_nc_u32_e32 v44, v5, v4
	s_delay_alu instid0(VALU_DEP_1) | instskip(SKIP_1) | instid1(VALU_DEP_1)
	v_add3_u32 v44, v44, v6, v7
	s_waitcnt lgkmcnt(0)
	v_add3_u32 v44, v44, v0, v1
	s_delay_alu instid0(VALU_DEP_1) | instskip(NEXT) | instid1(VALU_DEP_1)
	v_add3_u32 v3, v44, v2, v3
	v_mov_b32_dpp v44, v3 row_shr:1 row_mask:0xf bank_mask:0xf
	s_delay_alu instid0(VALU_DEP_1) | instskip(NEXT) | instid1(VALU_DEP_1)
	v_cndmask_b32_e64 v44, v44, 0, s1
	v_add_nc_u32_e32 v3, v44, v3
	s_delay_alu instid0(VALU_DEP_1) | instskip(NEXT) | instid1(VALU_DEP_1)
	v_mov_b32_dpp v44, v3 row_shr:2 row_mask:0xf bank_mask:0xf
	v_cndmask_b32_e64 v44, 0, v44, s2
	s_delay_alu instid0(VALU_DEP_1) | instskip(NEXT) | instid1(VALU_DEP_1)
	v_add_nc_u32_e32 v3, v3, v44
	v_mov_b32_dpp v44, v3 row_shr:4 row_mask:0xf bank_mask:0xf
	s_delay_alu instid0(VALU_DEP_1) | instskip(NEXT) | instid1(VALU_DEP_1)
	v_cndmask_b32_e64 v44, 0, v44, s3
	v_add_nc_u32_e32 v3, v3, v44
	s_delay_alu instid0(VALU_DEP_1) | instskip(NEXT) | instid1(VALU_DEP_1)
	v_mov_b32_dpp v44, v3 row_shr:8 row_mask:0xf bank_mask:0xf
	v_cndmask_b32_e64 v44, 0, v44, s4
	s_delay_alu instid0(VALU_DEP_1) | instskip(SKIP_3) | instid1(VALU_DEP_1)
	v_add_nc_u32_e32 v3, v3, v44
	ds_swizzle_b32 v44, v3 offset:swizzle(BROADCAST,32,15)
	s_waitcnt lgkmcnt(0)
	v_cndmask_b32_e64 v44, v44, 0, s5
	v_add_nc_u32_e32 v3, v3, v44
	s_and_saveexec_b32 s11, s10
	s_cbranch_execz .LBB339_12
; %bb.11:                               ;   in Loop: Header=BB339_4 Depth=2
	ds_store_b32 v33, v3
.LBB339_12:                             ;   in Loop: Header=BB339_4 Depth=2
	s_or_b32 exec_lo, exec_lo, s11
	s_waitcnt lgkmcnt(0)
	s_barrier
	buffer_gl0_inv
	s_and_saveexec_b32 s11, s6
	s_cbranch_execz .LBB339_14
; %bb.13:                               ;   in Loop: Header=BB339_4 Depth=2
	ds_load_b32 v44, v34
	s_waitcnt lgkmcnt(0)
	v_mov_b32_dpp v45, v44 row_shr:1 row_mask:0xf bank_mask:0xf
	s_delay_alu instid0(VALU_DEP_1) | instskip(NEXT) | instid1(VALU_DEP_1)
	v_cndmask_b32_e64 v45, v45, 0, s9
	v_add_nc_u32_e32 v44, v45, v44
	ds_store_b32 v34, v44
.LBB339_14:                             ;   in Loop: Header=BB339_4 Depth=2
	s_or_b32 exec_lo, exec_lo, s11
	v_mov_b32_e32 v44, 0
	s_waitcnt lgkmcnt(0)
	s_barrier
	buffer_gl0_inv
	s_and_saveexec_b32 s11, s7
	s_cbranch_execz .LBB339_16
; %bb.15:                               ;   in Loop: Header=BB339_4 Depth=2
	ds_load_b32 v44, v35
.LBB339_16:                             ;   in Loop: Header=BB339_4 Depth=2
	s_or_b32 exec_lo, exec_lo, s11
	s_waitcnt lgkmcnt(0)
	v_add_nc_u32_e32 v3, v44, v3
	s_cmp_gt_u32 s20, 55
	ds_bpermute_b32 v3, v32, v3
	s_waitcnt lgkmcnt(0)
	v_cndmask_b32_e64 v3, v3, v44, s0
	s_delay_alu instid0(VALU_DEP_1) | instskip(NEXT) | instid1(VALU_DEP_1)
	v_cndmask_b32_e64 v3, v3, 0, s8
	v_add_nc_u32_e32 v4, v3, v4
	s_delay_alu instid0(VALU_DEP_1) | instskip(NEXT) | instid1(VALU_DEP_1)
	v_add_nc_u32_e32 v5, v4, v5
	v_add_nc_u32_e32 v6, v5, v6
	s_delay_alu instid0(VALU_DEP_1) | instskip(SKIP_1) | instid1(VALU_DEP_2)
	v_add_nc_u32_e32 v44, v6, v7
	v_lshlrev_b32_e32 v7, 3, v41
	v_add_nc_u32_e32 v45, v44, v0
	s_delay_alu instid0(VALU_DEP_1) | instskip(NEXT) | instid1(VALU_DEP_1)
	v_add_nc_u32_e32 v0, v45, v1
	v_add_nc_u32_e32 v1, v0, v2
	ds_store_2addr_b64 v30, v[3:4], v[5:6] offset0:1 offset1:2
	ds_store_2addr_b64 v31, v[44:45], v[0:1] offset0:2 offset1:3
	s_waitcnt lgkmcnt(0)
	s_barrier
	buffer_gl0_inv
	ds_load_b32 v0, v29
	ds_load_b32 v1, v43
	;; [unrolled: 1-line block ×3, first 2 shown]
	v_lshlrev_b32_e32 v3, 3, v8
	v_lshlrev_b32_e32 v4, 3, v28
	;; [unrolled: 1-line block ×4, first 2 shown]
	s_waitcnt lgkmcnt(0)
	v_lshlrev_b32_e32 v0, 3, v0
	v_lshlrev_b32_e32 v1, 3, v1
	v_lshl_add_u32 v8, v2, 3, v3
	s_delay_alu instid0(VALU_DEP_3) | instskip(NEXT) | instid1(VALU_DEP_3)
	v_add3_u32 v41, v4, v5, v0
	v_add3_u32 v42, v6, v7, v1
	s_cbranch_scc0 .LBB339_3
; %bb.17:                               ;   in Loop: Header=BB339_2 Depth=1
                                        ; implicit-def: $sgpr20
                                        ; implicit-def: $vgpr4_vgpr5
                                        ; implicit-def: $vgpr28_vgpr29
                                        ; implicit-def: $vgpr0_vgpr1
                                        ; implicit-def: $vgpr26_vgpr27
                                        ; implicit-def: $sgpr17
                                        ; implicit-def: $sgpr16
	s_branch .LBB339_1
.LBB339_18:
	s_waitcnt lgkmcnt(1)
	v_add_nc_u32_e32 v0, v1, v5
	v_add_nc_u32_e32 v1, v2, v6
	v_lshlrev_b32_e32 v6, 3, v9
	v_add_nc_u32_e32 v2, v3, v7
	v_add_nc_u32_e32 v3, v4, v8
	s_waitcnt lgkmcnt(0)
	v_add_nc_u32_e32 v4, v14, v16
	v_add_nc_u32_e32 v5, v15, v17
	s_add_u32 s0, s18, s14
	s_addc_u32 s1, s19, s15
	s_clause 0x2
	global_store_b64 v6, v[0:1], s[0:1]
	global_store_b64 v6, v[2:3], s[0:1] offset:512
	global_store_b64 v6, v[4:5], s[0:1] offset:1024
	s_nop 0
	s_sendmsg sendmsg(MSG_DEALLOC_VGPRS)
	s_endpgm
	.section	.rodata,"a",@progbits
	.p2align	6, 0x0
	.amdhsa_kernel _Z17sort_pairs_kernelI22helper_blocked_stripedN15benchmark_utils11custom_typeIiiEELj64ELj3ELj10EEvPKT0_PS4_
		.amdhsa_group_segment_fixed_size 2064
		.amdhsa_private_segment_fixed_size 0
		.amdhsa_kernarg_size 272
		.amdhsa_user_sgpr_count 15
		.amdhsa_user_sgpr_dispatch_ptr 0
		.amdhsa_user_sgpr_queue_ptr 0
		.amdhsa_user_sgpr_kernarg_segment_ptr 1
		.amdhsa_user_sgpr_dispatch_id 0
		.amdhsa_user_sgpr_private_segment_size 0
		.amdhsa_wavefront_size32 1
		.amdhsa_uses_dynamic_stack 0
		.amdhsa_enable_private_segment 0
		.amdhsa_system_sgpr_workgroup_id_x 1
		.amdhsa_system_sgpr_workgroup_id_y 0
		.amdhsa_system_sgpr_workgroup_id_z 0
		.amdhsa_system_sgpr_workgroup_info 0
		.amdhsa_system_vgpr_workitem_id 2
		.amdhsa_next_free_vgpr 46
		.amdhsa_next_free_sgpr 26
		.amdhsa_reserve_vcc 1
		.amdhsa_float_round_mode_32 0
		.amdhsa_float_round_mode_16_64 0
		.amdhsa_float_denorm_mode_32 3
		.amdhsa_float_denorm_mode_16_64 3
		.amdhsa_dx10_clamp 1
		.amdhsa_ieee_mode 1
		.amdhsa_fp16_overflow 0
		.amdhsa_workgroup_processor_mode 1
		.amdhsa_memory_ordered 1
		.amdhsa_forward_progress 0
		.amdhsa_shared_vgpr_count 0
		.amdhsa_exception_fp_ieee_invalid_op 0
		.amdhsa_exception_fp_denorm_src 0
		.amdhsa_exception_fp_ieee_div_zero 0
		.amdhsa_exception_fp_ieee_overflow 0
		.amdhsa_exception_fp_ieee_underflow 0
		.amdhsa_exception_fp_ieee_inexact 0
		.amdhsa_exception_int_div_zero 0
	.end_amdhsa_kernel
	.section	.text._Z17sort_pairs_kernelI22helper_blocked_stripedN15benchmark_utils11custom_typeIiiEELj64ELj3ELj10EEvPKT0_PS4_,"axG",@progbits,_Z17sort_pairs_kernelI22helper_blocked_stripedN15benchmark_utils11custom_typeIiiEELj64ELj3ELj10EEvPKT0_PS4_,comdat
.Lfunc_end339:
	.size	_Z17sort_pairs_kernelI22helper_blocked_stripedN15benchmark_utils11custom_typeIiiEELj64ELj3ELj10EEvPKT0_PS4_, .Lfunc_end339-_Z17sort_pairs_kernelI22helper_blocked_stripedN15benchmark_utils11custom_typeIiiEELj64ELj3ELj10EEvPKT0_PS4_
                                        ; -- End function
	.section	.AMDGPU.csdata,"",@progbits
; Kernel info:
; codeLenInByte = 2848
; NumSgprs: 28
; NumVgprs: 46
; ScratchSize: 0
; MemoryBound: 0
; FloatMode: 240
; IeeeMode: 1
; LDSByteSize: 2064 bytes/workgroup (compile time only)
; SGPRBlocks: 3
; VGPRBlocks: 5
; NumSGPRsForWavesPerEU: 28
; NumVGPRsForWavesPerEU: 46
; Occupancy: 16
; WaveLimiterHint : 1
; COMPUTE_PGM_RSRC2:SCRATCH_EN: 0
; COMPUTE_PGM_RSRC2:USER_SGPR: 15
; COMPUTE_PGM_RSRC2:TRAP_HANDLER: 0
; COMPUTE_PGM_RSRC2:TGID_X_EN: 1
; COMPUTE_PGM_RSRC2:TGID_Y_EN: 0
; COMPUTE_PGM_RSRC2:TGID_Z_EN: 0
; COMPUTE_PGM_RSRC2:TIDIG_COMP_CNT: 2
	.section	.text._Z16sort_keys_kernelI22helper_blocked_stripedN15benchmark_utils11custom_typeIiiEELj64ELj4ELj10EEvPKT0_PS4_,"axG",@progbits,_Z16sort_keys_kernelI22helper_blocked_stripedN15benchmark_utils11custom_typeIiiEELj64ELj4ELj10EEvPKT0_PS4_,comdat
	.protected	_Z16sort_keys_kernelI22helper_blocked_stripedN15benchmark_utils11custom_typeIiiEELj64ELj4ELj10EEvPKT0_PS4_ ; -- Begin function _Z16sort_keys_kernelI22helper_blocked_stripedN15benchmark_utils11custom_typeIiiEELj64ELj4ELj10EEvPKT0_PS4_
	.globl	_Z16sort_keys_kernelI22helper_blocked_stripedN15benchmark_utils11custom_typeIiiEELj64ELj4ELj10EEvPKT0_PS4_
	.p2align	8
	.type	_Z16sort_keys_kernelI22helper_blocked_stripedN15benchmark_utils11custom_typeIiiEELj64ELj4ELj10EEvPKT0_PS4_,@function
_Z16sort_keys_kernelI22helper_blocked_stripedN15benchmark_utils11custom_typeIiiEELj64ELj4ELj10EEvPKT0_PS4_: ; @_Z16sort_keys_kernelI22helper_blocked_stripedN15benchmark_utils11custom_typeIiiEELj64ELj4ELj10EEvPKT0_PS4_
; %bb.0:
	s_clause 0x1
	s_load_b128 s[16:19], s[0:1], 0x0
	s_load_b32 s2, s[0:1], 0x1c
	s_mov_b32 s23, 0
	s_lshl_b32 s22, s15, 8
	v_bfe_u32 v10, v0, 10, 10
	s_lshl_b64 s[20:21], s[22:23], 3
	s_mov_b32 s22, s23
	v_and_b32_e32 v9, 0x3ff, v0
	v_bfe_u32 v0, v0, 20, 10
	v_mbcnt_lo_u32_b32 v12, -1, 0
	s_delay_alu instid0(VALU_DEP_3) | instskip(NEXT) | instid1(VALU_DEP_2)
	v_lshlrev_b32_e32 v22, 5, v9
	v_and_b32_e32 v13, 3, v12
	v_cmp_eq_u32_e64 s12, 0, v12
	s_delay_alu instid0(VALU_DEP_2)
	v_cmp_eq_u32_e64 s3, 3, v13
	s_waitcnt lgkmcnt(0)
	s_add_u32 s0, s16, s20
	s_addc_u32 s1, s17, s21
	s_mov_b32 s16, s23
	s_clause 0x2
	global_load_b128 v[1:4], v22, s[0:1] offset:16
	global_load_b128 v[5:8], v22, s[0:1]
	global_load_b64 v[5:6], v22, s[0:1]
	s_lshr_b32 s0, s2, 16
	s_and_b32 s2, s2, 0xffff
	v_mad_u32_u24 v0, v0, s0, v10
	s_mov_b32 s17, s23
	v_cmp_eq_u32_e64 s0, 0, v13
	v_cmp_eq_u32_e64 s1, 1, v13
	v_and_b32_e32 v24, 28, v12
	v_mad_u64_u32 v[10:11], null, v0, s2, v[9:10]
	v_add_nc_u32_e32 v11, -1, v12
	v_and_b32_e32 v0, 15, v12
	v_cmp_eq_u32_e64 s2, 2, v13
	s_delay_alu instid0(VALU_DEP_3)
	v_cmp_gt_i32_e32 vcc_lo, 0, v11
	v_lshrrev_b32_e32 v29, 5, v10
	v_and_b32_e32 v10, 16, v12
	v_lshlrev_b32_e32 v23, 2, v9
	v_cmp_eq_u32_e64 s4, 0, v0
	v_cmp_lt_u32_e64 s5, 1, v0
	v_cmp_lt_u32_e64 s6, 3, v0
	v_cmp_eq_u32_e64 s8, 0, v10
	v_lshrrev_b32_e32 v10, 3, v9
	v_cmp_lt_u32_e64 s7, 7, v0
	s_delay_alu instid0(VALU_DEP_2) | instskip(SKIP_1) | instid1(VALU_DEP_2)
	v_dual_cndmask_b32 v0, v11, v12 :: v_dual_and_b32 v31, 4, v10
	v_and_or_b32 v10, 0x80, v23, v12
	v_lshlrev_b32_e32 v30, 2, v0
	v_and_b32_e32 v0, 1, v12
	s_delay_alu instid0(VALU_DEP_4) | instskip(NEXT) | instid1(VALU_DEP_4)
	v_add_nc_u32_e32 v33, -4, v31
	v_lshlrev_b32_e32 v34, 3, v10
	v_mov_b32_e32 v10, s22
	v_or_b32_e32 v13, 31, v9
	v_cmp_gt_u32_e64 s10, 2, v9
	v_cmp_lt_u32_e64 s11, 31, v9
	v_cmp_eq_u32_e64 s13, 0, v9
	v_cmp_eq_u32_e64 s14, 0, v0
	;; [unrolled: 1-line block ×3, first 2 shown]
	v_dual_mov_b32 v12, s16 :: v_dual_mov_b32 v11, s23
	v_or_b32_e32 v28, 8, v22
	v_mad_i32_i24 v32, 0xffffffe4, v9, v22
	v_mov_b32_e32 v13, s17
	v_or_b32_e32 v25, 32, v24
	v_or_b32_e32 v26, 64, v24
	;; [unrolled: 1-line block ×3, first 2 shown]
	s_branch .LBB340_2
.LBB340_1:                              ;   in Loop: Header=BB340_2 Depth=1
	v_add_nc_u32_e32 v4, v32, v23
	s_barrier
	buffer_gl0_inv
	ds_store_b64 v35, v[14:15]
	ds_store_b64 v36, v[20:21]
	;; [unrolled: 1-line block ×4, first 2 shown]
	s_waitcnt lgkmcnt(0)
	s_barrier
	buffer_gl0_inv
	ds_load_2addr_stride64_b64 v[0:3], v4 offset1:1
	ds_load_2addr_stride64_b64 v[14:17], v4 offset0:2 offset1:3
	s_add_i32 s23, s23, 1
	s_delay_alu instid0(SALU_CYCLE_1)
	s_cmp_eq_u32 s23, 10
	s_waitcnt lgkmcnt(1)
	v_xor_b32_e32 v5, 0x80000000, v0
	v_xor_b32_e32 v6, 0x80000000, v1
	;; [unrolled: 1-line block ×4, first 2 shown]
	s_waitcnt lgkmcnt(0)
	v_xor_b32_e32 v1, 0x80000000, v14
	v_xor_b32_e32 v2, 0x80000000, v15
	;; [unrolled: 1-line block ×4, first 2 shown]
	s_cbranch_scc1 .LBB340_20
.LBB340_2:                              ; =>This Loop Header: Depth=1
                                        ;     Child Loop BB340_4 Depth 2
	s_waitcnt vmcnt(0)
	v_xor_b32_e32 v0, 0x80000000, v6
	v_xor_b32_e32 v5, 0x80000000, v5
	;; [unrolled: 1-line block ×5, first 2 shown]
	ds_bpermute_b32 v8, v24, v0
	ds_bpermute_b32 v14, v24, v5
	;; [unrolled: 1-line block ×4, first 2 shown]
	v_xor_b32_e32 v2, 0x80000000, v2
	v_xor_b32_e32 v3, 0x80000000, v3
	ds_bpermute_b32 v17, v25, v0
	ds_bpermute_b32 v20, v24, v15
	v_xor_b32_e32 v4, 0x80000000, v4
	ds_bpermute_b32 v18, v25, v5
	ds_bpermute_b32 v19, v24, v2
	ds_bpermute_b32 v21, v24, v3
	ds_bpermute_b32 v35, v25, v7
	ds_bpermute_b32 v36, v25, v6
	ds_bpermute_b32 v37, v24, v4
	ds_bpermute_b32 v39, v25, v2
	ds_bpermute_b32 v40, v26, v5
	ds_bpermute_b32 v41, v26, v0
	ds_bpermute_b32 v5, v27, v5
	ds_bpermute_b32 v42, v26, v6
	s_waitcnt lgkmcnt(16)
	v_cndmask_b32_e64 v8, 0, v8, s0
	s_waitcnt lgkmcnt(15)
	v_cndmask_b32_e64 v14, 0, v14, s0
	ds_bpermute_b32 v43, v26, v7
	ds_bpermute_b32 v7, v27, v7
	;; [unrolled: 1-line block ×3, first 2 shown]
	s_waitcnt lgkmcnt(16)
	v_cndmask_b32_e64 v1, v8, v1, s1
	v_cndmask_b32_e64 v8, v14, v16, s1
	ds_bpermute_b32 v14, v27, v0
	s_waitcnt lgkmcnt(16)
	v_cndmask_b32_e64 v0, 0, v17, s0
	ds_bpermute_b32 v38, v25, v15
	s_waitcnt lgkmcnt(15)
	v_cndmask_b32_e64 v16, 0, v18, s0
	v_cndmask_b32_e64 v8, v8, v20, s2
	s_waitcnt lgkmcnt(14)
	v_cndmask_b32_e64 v1, v1, v19, s2
	s_waitcnt lgkmcnt(12)
	v_cndmask_b32_e64 v17, v0, v35, s1
	ds_bpermute_b32 v18, v26, v2
	ds_bpermute_b32 v19, v26, v15
	v_cndmask_b32_e64 v0, v8, v21, s3
	ds_bpermute_b32 v8, v25, v4
	ds_bpermute_b32 v2, v27, v2
	;; [unrolled: 1-line block ×3, first 2 shown]
	s_waitcnt lgkmcnt(16)
	v_cndmask_b32_e64 v16, v16, v36, s1
	s_waitcnt lgkmcnt(15)
	v_cndmask_b32_e64 v1, v1, v37, s3
	ds_bpermute_b32 v20, v25, v3
	ds_bpermute_b32 v21, v26, v4
	;; [unrolled: 1-line block ×5, first 2 shown]
	s_waitcnt lgkmcnt(19)
	v_cndmask_b32_e64 v3, v17, v39, s2
	s_waitcnt lgkmcnt(17)
	v_cndmask_b32_e64 v4, 0, v41, s0
	v_cndmask_b32_e64 v17, 0, v40, s0
	s_waitcnt lgkmcnt(11)
	v_cndmask_b32_e64 v14, 0, v14, s0
	;; [unrolled: 3-line block ×3, first 2 shown]
	v_cndmask_b32_e64 v4, v4, v43, s1
	v_cndmask_b32_e64 v17, v17, v42, s1
	;; [unrolled: 1-line block ×4, first 2 shown]
	s_waitcnt lgkmcnt(7)
	v_cndmask_b32_e64 v3, v3, v8, s3
	v_cndmask_b32_e64 v4, v4, v18, s2
	v_cndmask_b32_e64 v6, v17, v19, s2
	s_waitcnt lgkmcnt(6)
	v_cndmask_b32_e64 v7, v7, v2, s2
	s_waitcnt lgkmcnt(5)
	v_cndmask_b32_e64 v8, v5, v15, s2
	s_waitcnt lgkmcnt(4)
	v_cndmask_b32_e64 v2, v16, v20, s3
	s_waitcnt lgkmcnt(3)
	v_cndmask_b32_e64 v5, v4, v21, s3
	s_waitcnt lgkmcnt(2)
	v_cndmask_b32_e64 v4, v6, v35, s3
	s_waitcnt lgkmcnt(1)
	v_cndmask_b32_e64 v7, v7, v36, s3
	s_waitcnt lgkmcnt(0)
	v_cndmask_b32_e64 v6, v8, v37, s3
	s_mov_b32 s22, 8
	s_mov_b32 s24, 32
	;; [unrolled: 1-line block ×3, first 2 shown]
	s_barrier
	s_branch .LBB340_4
.LBB340_3:                              ;   in Loop: Header=BB340_4 Depth=2
	s_barrier
	buffer_gl0_inv
	ds_store_b64 v35, v[14:15]
	ds_store_b64 v36, v[20:21]
	;; [unrolled: 1-line block ×4, first 2 shown]
	s_waitcnt lgkmcnt(0)
	s_barrier
	buffer_gl0_inv
	ds_load_2addr_b64 v[0:3], v34 offset1:32
	ds_load_2addr_b64 v[4:7], v34 offset0:64 offset1:96
	s_add_i32 s24, s24, -8
	s_add_i32 s22, s22, 8
	s_add_i32 s25, s25, 8
	s_waitcnt lgkmcnt(0)
	s_barrier
	s_cbranch_execz .LBB340_1
.LBB340_4:                              ;   Parent Loop BB340_2 Depth=1
                                        ; =>  This Inner Loop Header: Depth=2
	s_min_i32 s16, s22, 32
	s_cmp_lt_u32 s25, 32
	v_dual_mov_b32 v15, v1 :: v_dual_mov_b32 v14, v0
	s_cselect_b32 vcc_lo, -1, 0
	s_cmp_gt_u32 s25, 24
	buffer_gl0_inv
	s_cselect_b32 s15, -1, 0
	s_sub_i32 s16, s16, 32
	v_lshrrev_b32_e32 v1, s25, v15
	s_add_i32 s17, s16, s24
	ds_store_2addr_b64 v22, v[10:11], v[12:13] offset0:1 offset1:2
	ds_store_2addr_b64 v28, v[10:11], v[12:13] offset0:2 offset1:3
	s_lshl_b32 s17, -1, s17
	s_waitcnt lgkmcnt(0)
	s_not_b32 s17, s17
	s_cmp_lg_u32 s16, s25
	s_barrier
	s_cselect_b32 s26, s17, -1
	s_max_i32 s27, s24, 0
	s_max_i32 s16, s25, 32
	v_and_b32_e32 v1, s26, v1
	s_sub_i32 s17, s16, s27
	s_sub_i32 s28, s16, 32
	;; [unrolled: 1-line block ×3, first 2 shown]
	v_lshrrev_b32_e32 v0, s28, v14
	s_min_i32 s16, s17, 32
	buffer_gl0_inv
	s_sub_i32 s16, s16, s28
	s_delay_alu instid0(SALU_CYCLE_1) | instskip(NEXT) | instid1(SALU_CYCLE_1)
	s_lshl_b32 s17, -1, s16
	; wave barrier
	s_not_b32 s17, s17
	s_cmp_lg_u32 s16, 32
	v_cndmask_b32_e32 v1, 0, v1, vcc_lo
	s_cselect_b32 s29, s17, -1
	s_delay_alu instid0(SALU_CYCLE_1) | instskip(NEXT) | instid1(VALU_DEP_1)
	v_and_b32_e32 v0, s29, v0
	v_lshlrev_b32_e32 v0, s27, v0
	s_delay_alu instid0(VALU_DEP_1) | instskip(NEXT) | instid1(VALU_DEP_1)
	v_cndmask_b32_e64 v0, 0, v0, s15
	v_or_b32_e32 v1, v1, v0
	s_delay_alu instid0(VALU_DEP_1)
	v_and_b32_e32 v0, 1, v1
	v_lshlrev_b32_e32 v8, 30, v1
	v_lshlrev_b32_e32 v16, 29, v1
	;; [unrolled: 1-line block ×4, first 2 shown]
	v_add_co_u32 v0, s16, v0, -1
	s_delay_alu instid0(VALU_DEP_1)
	v_cndmask_b32_e64 v18, 0, 1, s16
	v_not_b32_e32 v35, v8
	v_cmp_gt_i32_e64 s17, 0, v8
	v_not_b32_e32 v8, v16
	v_lshlrev_b32_e32 v20, 26, v1
	v_cmp_ne_u32_e64 s16, 0, v18
	v_ashrrev_i32_e32 v35, 31, v35
	v_lshlrev_b32_e32 v21, 25, v1
	v_ashrrev_i32_e32 v8, 31, v8
	v_lshlrev_b32_e32 v18, 24, v1
	v_xor_b32_e32 v0, s16, v0
	v_cmp_gt_i32_e64 s16, 0, v16
	v_not_b32_e32 v16, v17
	v_xor_b32_e32 v35, s17, v35
	v_cmp_gt_i32_e64 s17, 0, v17
	v_and_b32_e32 v0, exec_lo, v0
	v_not_b32_e32 v17, v19
	v_ashrrev_i32_e32 v16, 31, v16
	v_xor_b32_e32 v8, s16, v8
	v_cmp_gt_i32_e64 s16, 0, v19
	v_and_b32_e32 v0, v0, v35
	v_not_b32_e32 v19, v20
	v_ashrrev_i32_e32 v17, 31, v17
	v_xor_b32_e32 v16, s17, v16
	v_cmp_gt_i32_e64 s17, 0, v20
	v_and_b32_e32 v0, v0, v8
	;; [unrolled: 5-line block ×4, first 2 shown]
	v_ashrrev_i32_e32 v16, 31, v16
	v_xor_b32_e32 v8, s16, v8
	v_lshl_add_u32 v1, v1, 1, v29
	s_delay_alu instid0(VALU_DEP_4) | instskip(NEXT) | instid1(VALU_DEP_4)
	v_dual_mov_b32 v21, v3 :: v_dual_and_b32 v0, v0, v19
	v_xor_b32_e32 v16, s17, v16
	v_dual_mov_b32 v19, v5 :: v_dual_mov_b32 v20, v2
	v_mov_b32_e32 v18, v4
	s_delay_alu instid0(VALU_DEP_4) | instskip(SKIP_1) | instid1(VALU_DEP_2)
	v_and_b32_e32 v0, v0, v8
	v_lshl_add_u32 v35, v1, 2, 8
	v_dual_mov_b32 v17, v7 :: v_dual_and_b32 v0, v0, v16
	v_mov_b32_e32 v16, v6
	s_delay_alu instid0(VALU_DEP_2) | instskip(SKIP_1) | instid1(VALU_DEP_2)
	v_mbcnt_lo_u32_b32 v8, v0, 0
	v_cmp_ne_u32_e64 s17, 0, v0
	v_cmp_eq_u32_e64 s16, 0, v8
	s_delay_alu instid0(VALU_DEP_1) | instskip(NEXT) | instid1(SALU_CYCLE_1)
	s_and_b32 s17, s16, s17
	s_and_saveexec_b32 s16, s17
	s_cbranch_execz .LBB340_6
; %bb.5:                                ;   in Loop: Header=BB340_4 Depth=2
	v_bcnt_u32_b32 v0, v0, 0
	ds_store_b32 v35, v0
.LBB340_6:                              ;   in Loop: Header=BB340_4 Depth=2
	s_or_b32 exec_lo, exec_lo, s16
	v_lshrrev_b32_e32 v0, s28, v20
	v_lshrrev_b32_e32 v1, s25, v21
	; wave barrier
	s_delay_alu instid0(VALU_DEP_1) | instskip(NEXT) | instid1(VALU_DEP_1)
	v_and_b32_e32 v1, s26, v1
	v_dual_cndmask_b32 v1, 0, v1 :: v_dual_and_b32 v0, s29, v0
	s_delay_alu instid0(VALU_DEP_1) | instskip(NEXT) | instid1(VALU_DEP_1)
	v_lshlrev_b32_e32 v0, s27, v0
	v_cndmask_b32_e64 v0, 0, v0, s15
	s_delay_alu instid0(VALU_DEP_1) | instskip(NEXT) | instid1(VALU_DEP_1)
	v_or_b32_e32 v0, v1, v0
	v_and_b32_e32 v1, 1, v0
	v_lshlrev_b32_e32 v2, 30, v0
	v_lshlrev_b32_e32 v3, 29, v0
	;; [unrolled: 1-line block ×4, first 2 shown]
	v_add_co_u32 v1, s16, v1, -1
	s_delay_alu instid0(VALU_DEP_1)
	v_cndmask_b32_e64 v5, 0, 1, s16
	v_not_b32_e32 v37, v2
	v_cmp_gt_i32_e64 s17, 0, v2
	v_not_b32_e32 v2, v3
	v_lshlrev_b32_e32 v7, 26, v0
	v_cmp_ne_u32_e64 s16, 0, v5
	v_ashrrev_i32_e32 v37, 31, v37
	v_lshlrev_b32_e32 v36, 25, v0
	v_ashrrev_i32_e32 v2, 31, v2
	v_lshlrev_b32_e32 v5, 24, v0
	v_xor_b32_e32 v1, s16, v1
	v_cmp_gt_i32_e64 s16, 0, v3
	v_not_b32_e32 v3, v4
	v_xor_b32_e32 v37, s17, v37
	v_cmp_gt_i32_e64 s17, 0, v4
	v_and_b32_e32 v1, exec_lo, v1
	v_not_b32_e32 v4, v6
	v_ashrrev_i32_e32 v3, 31, v3
	v_xor_b32_e32 v2, s16, v2
	v_cmp_gt_i32_e64 s16, 0, v6
	v_and_b32_e32 v1, v1, v37
	v_not_b32_e32 v6, v7
	v_ashrrev_i32_e32 v4, 31, v4
	v_xor_b32_e32 v3, s17, v3
	v_cmp_gt_i32_e64 s17, 0, v7
	v_and_b32_e32 v1, v1, v2
	;; [unrolled: 5-line block ×3, first 2 shown]
	v_not_b32_e32 v3, v5
	v_ashrrev_i32_e32 v2, 31, v2
	v_xor_b32_e32 v6, s17, v6
	v_lshlrev_b32_e32 v0, 1, v0
	v_and_b32_e32 v1, v1, v4
	v_cmp_gt_i32_e64 s17, 0, v5
	v_ashrrev_i32_e32 v3, 31, v3
	v_xor_b32_e32 v2, s16, v2
	v_add_lshl_u32 v4, v0, v29, 2
	v_and_b32_e32 v1, v1, v6
	s_delay_alu instid0(VALU_DEP_4) | instskip(SKIP_3) | instid1(VALU_DEP_2)
	v_xor_b32_e32 v0, s17, v3
	ds_load_b32 v36, v4 offset:8
	v_and_b32_e32 v1, v1, v2
	v_add_nc_u32_e32 v38, 8, v4
	; wave barrier
	v_and_b32_e32 v0, v1, v0
	s_delay_alu instid0(VALU_DEP_1) | instskip(SKIP_1) | instid1(VALU_DEP_2)
	v_mbcnt_lo_u32_b32 v37, v0, 0
	v_cmp_ne_u32_e64 s17, 0, v0
	v_cmp_eq_u32_e64 s16, 0, v37
	s_delay_alu instid0(VALU_DEP_1) | instskip(NEXT) | instid1(SALU_CYCLE_1)
	s_and_b32 s17, s16, s17
	s_and_saveexec_b32 s16, s17
	s_cbranch_execz .LBB340_8
; %bb.7:                                ;   in Loop: Header=BB340_4 Depth=2
	s_waitcnt lgkmcnt(0)
	v_bcnt_u32_b32 v0, v0, v36
	ds_store_b32 v38, v0
.LBB340_8:                              ;   in Loop: Header=BB340_4 Depth=2
	s_or_b32 exec_lo, exec_lo, s16
	v_lshrrev_b32_e32 v0, s28, v18
	v_lshrrev_b32_e32 v1, s25, v19
	; wave barrier
	s_delay_alu instid0(VALU_DEP_1) | instskip(NEXT) | instid1(VALU_DEP_1)
	v_and_b32_e32 v1, s26, v1
	v_dual_cndmask_b32 v1, 0, v1 :: v_dual_and_b32 v0, s29, v0
	s_delay_alu instid0(VALU_DEP_1) | instskip(NEXT) | instid1(VALU_DEP_1)
	v_lshlrev_b32_e32 v0, s27, v0
	v_cndmask_b32_e64 v0, 0, v0, s15
	s_delay_alu instid0(VALU_DEP_1) | instskip(NEXT) | instid1(VALU_DEP_1)
	v_or_b32_e32 v0, v1, v0
	v_and_b32_e32 v1, 1, v0
	v_lshlrev_b32_e32 v2, 30, v0
	v_lshlrev_b32_e32 v3, 29, v0
	;; [unrolled: 1-line block ×4, first 2 shown]
	v_add_co_u32 v1, s16, v1, -1
	s_delay_alu instid0(VALU_DEP_1)
	v_cndmask_b32_e64 v5, 0, 1, s16
	v_not_b32_e32 v40, v2
	v_cmp_gt_i32_e64 s17, 0, v2
	v_not_b32_e32 v2, v3
	v_lshlrev_b32_e32 v7, 26, v0
	v_cmp_ne_u32_e64 s16, 0, v5
	v_ashrrev_i32_e32 v40, 31, v40
	v_lshlrev_b32_e32 v39, 25, v0
	v_ashrrev_i32_e32 v2, 31, v2
	v_lshlrev_b32_e32 v5, 24, v0
	v_xor_b32_e32 v1, s16, v1
	v_cmp_gt_i32_e64 s16, 0, v3
	v_not_b32_e32 v3, v4
	v_xor_b32_e32 v40, s17, v40
	v_cmp_gt_i32_e64 s17, 0, v4
	v_and_b32_e32 v1, exec_lo, v1
	v_not_b32_e32 v4, v6
	v_ashrrev_i32_e32 v3, 31, v3
	v_xor_b32_e32 v2, s16, v2
	v_cmp_gt_i32_e64 s16, 0, v6
	v_and_b32_e32 v1, v1, v40
	v_not_b32_e32 v6, v7
	v_ashrrev_i32_e32 v4, 31, v4
	v_xor_b32_e32 v3, s17, v3
	v_cmp_gt_i32_e64 s17, 0, v7
	v_and_b32_e32 v1, v1, v2
	;; [unrolled: 5-line block ×3, first 2 shown]
	v_not_b32_e32 v3, v5
	v_ashrrev_i32_e32 v2, 31, v2
	v_xor_b32_e32 v6, s17, v6
	v_lshlrev_b32_e32 v0, 1, v0
	v_and_b32_e32 v1, v1, v4
	v_cmp_gt_i32_e64 s17, 0, v5
	v_ashrrev_i32_e32 v3, 31, v3
	v_xor_b32_e32 v2, s16, v2
	v_add_lshl_u32 v4, v0, v29, 2
	v_and_b32_e32 v1, v1, v6
	s_delay_alu instid0(VALU_DEP_4) | instskip(SKIP_3) | instid1(VALU_DEP_2)
	v_xor_b32_e32 v0, s17, v3
	ds_load_b32 v39, v4 offset:8
	v_and_b32_e32 v1, v1, v2
	v_add_nc_u32_e32 v41, 8, v4
	; wave barrier
	v_and_b32_e32 v0, v1, v0
	s_delay_alu instid0(VALU_DEP_1) | instskip(SKIP_1) | instid1(VALU_DEP_2)
	v_mbcnt_lo_u32_b32 v40, v0, 0
	v_cmp_ne_u32_e64 s17, 0, v0
	v_cmp_eq_u32_e64 s16, 0, v40
	s_delay_alu instid0(VALU_DEP_1) | instskip(NEXT) | instid1(SALU_CYCLE_1)
	s_and_b32 s17, s16, s17
	s_and_saveexec_b32 s16, s17
	s_cbranch_execz .LBB340_10
; %bb.9:                                ;   in Loop: Header=BB340_4 Depth=2
	s_waitcnt lgkmcnt(0)
	v_bcnt_u32_b32 v0, v0, v39
	ds_store_b32 v41, v0
.LBB340_10:                             ;   in Loop: Header=BB340_4 Depth=2
	s_or_b32 exec_lo, exec_lo, s16
	v_lshrrev_b32_e32 v0, s28, v16
	v_lshrrev_b32_e32 v1, s25, v17
	; wave barrier
	s_delay_alu instid0(VALU_DEP_1) | instskip(NEXT) | instid1(VALU_DEP_1)
	v_and_b32_e32 v1, s26, v1
	v_dual_cndmask_b32 v1, 0, v1 :: v_dual_and_b32 v0, s29, v0
	s_delay_alu instid0(VALU_DEP_1) | instskip(NEXT) | instid1(VALU_DEP_1)
	v_lshlrev_b32_e32 v0, s27, v0
	v_cndmask_b32_e64 v0, 0, v0, s15
	s_delay_alu instid0(VALU_DEP_1) | instskip(NEXT) | instid1(VALU_DEP_1)
	v_or_b32_e32 v0, v1, v0
	v_and_b32_e32 v1, 1, v0
	v_lshlrev_b32_e32 v2, 30, v0
	v_lshlrev_b32_e32 v3, 29, v0
	;; [unrolled: 1-line block ×4, first 2 shown]
	v_add_co_u32 v1, s15, v1, -1
	s_delay_alu instid0(VALU_DEP_1)
	v_cndmask_b32_e64 v5, 0, 1, s15
	v_not_b32_e32 v43, v2
	v_cmp_gt_i32_e64 s15, 0, v2
	v_not_b32_e32 v2, v3
	v_lshlrev_b32_e32 v7, 26, v0
	v_cmp_ne_u32_e32 vcc_lo, 0, v5
	v_ashrrev_i32_e32 v43, 31, v43
	v_lshlrev_b32_e32 v42, 25, v0
	v_ashrrev_i32_e32 v2, 31, v2
	v_lshlrev_b32_e32 v5, 24, v0
	v_xor_b32_e32 v1, vcc_lo, v1
	v_cmp_gt_i32_e32 vcc_lo, 0, v3
	v_not_b32_e32 v3, v4
	v_xor_b32_e32 v43, s15, v43
	v_cmp_gt_i32_e64 s15, 0, v4
	v_and_b32_e32 v1, exec_lo, v1
	v_not_b32_e32 v4, v6
	v_ashrrev_i32_e32 v3, 31, v3
	v_xor_b32_e32 v2, vcc_lo, v2
	v_cmp_gt_i32_e32 vcc_lo, 0, v6
	v_and_b32_e32 v1, v1, v43
	v_not_b32_e32 v6, v7
	v_ashrrev_i32_e32 v4, 31, v4
	v_xor_b32_e32 v3, s15, v3
	v_cmp_gt_i32_e64 s15, 0, v7
	v_and_b32_e32 v1, v1, v2
	v_not_b32_e32 v2, v42
	v_ashrrev_i32_e32 v6, 31, v6
	v_xor_b32_e32 v4, vcc_lo, v4
	v_cmp_gt_i32_e32 vcc_lo, 0, v42
	v_and_b32_e32 v1, v1, v3
	v_not_b32_e32 v3, v5
	v_ashrrev_i32_e32 v2, 31, v2
	v_xor_b32_e32 v6, s15, v6
	v_lshlrev_b32_e32 v0, 1, v0
	v_and_b32_e32 v1, v1, v4
	v_cmp_gt_i32_e64 s15, 0, v5
	v_ashrrev_i32_e32 v3, 31, v3
	v_xor_b32_e32 v2, vcc_lo, v2
	v_add_lshl_u32 v4, v0, v29, 2
	v_and_b32_e32 v1, v1, v6
	s_delay_alu instid0(VALU_DEP_4) | instskip(SKIP_3) | instid1(VALU_DEP_2)
	v_xor_b32_e32 v0, s15, v3
	ds_load_b32 v42, v4 offset:8
	v_and_b32_e32 v1, v1, v2
	v_add_nc_u32_e32 v44, 8, v4
	; wave barrier
	v_and_b32_e32 v0, v1, v0
	s_delay_alu instid0(VALU_DEP_1) | instskip(SKIP_1) | instid1(VALU_DEP_2)
	v_mbcnt_lo_u32_b32 v43, v0, 0
	v_cmp_ne_u32_e64 s15, 0, v0
	v_cmp_eq_u32_e32 vcc_lo, 0, v43
	s_delay_alu instid0(VALU_DEP_2) | instskip(NEXT) | instid1(SALU_CYCLE_1)
	s_and_b32 s16, vcc_lo, s15
	s_and_saveexec_b32 s15, s16
	s_cbranch_execz .LBB340_12
; %bb.11:                               ;   in Loop: Header=BB340_4 Depth=2
	s_waitcnt lgkmcnt(0)
	v_bcnt_u32_b32 v0, v0, v42
	ds_store_b32 v44, v0
.LBB340_12:                             ;   in Loop: Header=BB340_4 Depth=2
	s_or_b32 exec_lo, exec_lo, s15
	; wave barrier
	s_waitcnt lgkmcnt(0)
	s_barrier
	buffer_gl0_inv
	ds_load_2addr_b64 v[4:7], v22 offset0:1 offset1:2
	ds_load_2addr_b64 v[0:3], v28 offset0:2 offset1:3
	s_waitcnt lgkmcnt(1)
	v_add_nc_u32_e32 v45, v5, v4
	s_delay_alu instid0(VALU_DEP_1) | instskip(SKIP_1) | instid1(VALU_DEP_1)
	v_add3_u32 v45, v45, v6, v7
	s_waitcnt lgkmcnt(0)
	v_add3_u32 v45, v45, v0, v1
	s_delay_alu instid0(VALU_DEP_1) | instskip(NEXT) | instid1(VALU_DEP_1)
	v_add3_u32 v3, v45, v2, v3
	v_mov_b32_dpp v45, v3 row_shr:1 row_mask:0xf bank_mask:0xf
	s_delay_alu instid0(VALU_DEP_1) | instskip(NEXT) | instid1(VALU_DEP_1)
	v_cndmask_b32_e64 v45, v45, 0, s4
	v_add_nc_u32_e32 v3, v45, v3
	s_delay_alu instid0(VALU_DEP_1) | instskip(NEXT) | instid1(VALU_DEP_1)
	v_mov_b32_dpp v45, v3 row_shr:2 row_mask:0xf bank_mask:0xf
	v_cndmask_b32_e64 v45, 0, v45, s5
	s_delay_alu instid0(VALU_DEP_1) | instskip(NEXT) | instid1(VALU_DEP_1)
	v_add_nc_u32_e32 v3, v3, v45
	v_mov_b32_dpp v45, v3 row_shr:4 row_mask:0xf bank_mask:0xf
	s_delay_alu instid0(VALU_DEP_1) | instskip(NEXT) | instid1(VALU_DEP_1)
	v_cndmask_b32_e64 v45, 0, v45, s6
	v_add_nc_u32_e32 v3, v3, v45
	s_delay_alu instid0(VALU_DEP_1) | instskip(NEXT) | instid1(VALU_DEP_1)
	v_mov_b32_dpp v45, v3 row_shr:8 row_mask:0xf bank_mask:0xf
	v_cndmask_b32_e64 v45, 0, v45, s7
	s_delay_alu instid0(VALU_DEP_1) | instskip(SKIP_3) | instid1(VALU_DEP_1)
	v_add_nc_u32_e32 v3, v3, v45
	ds_swizzle_b32 v45, v3 offset:swizzle(BROADCAST,32,15)
	s_waitcnt lgkmcnt(0)
	v_cndmask_b32_e64 v45, v45, 0, s8
	v_add_nc_u32_e32 v3, v3, v45
	s_and_saveexec_b32 s15, s9
	s_cbranch_execz .LBB340_14
; %bb.13:                               ;   in Loop: Header=BB340_4 Depth=2
	ds_store_b32 v31, v3
.LBB340_14:                             ;   in Loop: Header=BB340_4 Depth=2
	s_or_b32 exec_lo, exec_lo, s15
	s_waitcnt lgkmcnt(0)
	s_barrier
	buffer_gl0_inv
	s_and_saveexec_b32 s15, s10
	s_cbranch_execz .LBB340_16
; %bb.15:                               ;   in Loop: Header=BB340_4 Depth=2
	ds_load_b32 v45, v32
	s_waitcnt lgkmcnt(0)
	v_mov_b32_dpp v46, v45 row_shr:1 row_mask:0xf bank_mask:0xf
	s_delay_alu instid0(VALU_DEP_1) | instskip(NEXT) | instid1(VALU_DEP_1)
	v_cndmask_b32_e64 v46, v46, 0, s14
	v_add_nc_u32_e32 v45, v46, v45
	ds_store_b32 v32, v45
.LBB340_16:                             ;   in Loop: Header=BB340_4 Depth=2
	s_or_b32 exec_lo, exec_lo, s15
	v_mov_b32_e32 v45, 0
	s_waitcnt lgkmcnt(0)
	s_barrier
	buffer_gl0_inv
	s_and_saveexec_b32 s15, s11
	s_cbranch_execz .LBB340_18
; %bb.17:                               ;   in Loop: Header=BB340_4 Depth=2
	ds_load_b32 v45, v33
.LBB340_18:                             ;   in Loop: Header=BB340_4 Depth=2
	s_or_b32 exec_lo, exec_lo, s15
	s_waitcnt lgkmcnt(0)
	v_add_nc_u32_e32 v3, v45, v3
	s_cmp_gt_u32 s25, 55
	ds_bpermute_b32 v3, v30, v3
	s_waitcnt lgkmcnt(0)
	v_cndmask_b32_e64 v3, v3, v45, s12
	s_delay_alu instid0(VALU_DEP_1) | instskip(NEXT) | instid1(VALU_DEP_1)
	v_cndmask_b32_e64 v3, v3, 0, s13
	v_add_nc_u32_e32 v4, v3, v4
	s_delay_alu instid0(VALU_DEP_1) | instskip(NEXT) | instid1(VALU_DEP_1)
	v_add_nc_u32_e32 v5, v4, v5
	v_add_nc_u32_e32 v6, v5, v6
	s_delay_alu instid0(VALU_DEP_1) | instskip(SKIP_1) | instid1(VALU_DEP_2)
	v_add_nc_u32_e32 v45, v6, v7
	v_lshlrev_b32_e32 v7, 3, v40
	v_add_nc_u32_e32 v46, v45, v0
	s_delay_alu instid0(VALU_DEP_1) | instskip(NEXT) | instid1(VALU_DEP_1)
	v_add_nc_u32_e32 v0, v46, v1
	v_add_nc_u32_e32 v1, v0, v2
	ds_store_2addr_b64 v22, v[3:4], v[5:6] offset0:1 offset1:2
	ds_store_2addr_b64 v28, v[45:46], v[0:1] offset0:2 offset1:3
	s_waitcnt lgkmcnt(0)
	s_barrier
	buffer_gl0_inv
	ds_load_b32 v0, v38
	ds_load_b32 v1, v41
	;; [unrolled: 1-line block ×4, first 2 shown]
	v_lshlrev_b32_e32 v4, 3, v8
	v_lshlrev_b32_e32 v5, 3, v37
	;; [unrolled: 1-line block ×6, first 2 shown]
	s_waitcnt lgkmcnt(0)
	v_lshlrev_b32_e32 v0, 3, v0
	v_lshlrev_b32_e32 v1, 3, v1
	;; [unrolled: 1-line block ×3, first 2 shown]
	v_lshl_add_u32 v35, v3, 3, v4
	s_delay_alu instid0(VALU_DEP_4) | instskip(NEXT) | instid1(VALU_DEP_4)
	v_add3_u32 v36, v5, v6, v0
	v_add3_u32 v37, v7, v8, v1
	s_delay_alu instid0(VALU_DEP_4)
	v_add3_u32 v8, v38, v39, v2
	s_cbranch_scc0 .LBB340_3
; %bb.19:                               ;   in Loop: Header=BB340_2 Depth=1
                                        ; implicit-def: $sgpr25
                                        ; implicit-def: $vgpr0_vgpr1
                                        ; implicit-def: $vgpr4_vgpr5
                                        ; implicit-def: $sgpr24
                                        ; implicit-def: $sgpr22
	s_branch .LBB340_1
.LBB340_20:
	v_lshlrev_b32_e32 v0, 3, v9
	s_add_u32 s0, s18, s20
	s_addc_u32 s1, s19, s21
	s_clause 0x3
	global_store_b64 v0, v[5:6], s[0:1]
	global_store_b64 v0, v[7:8], s[0:1] offset:512
	global_store_b64 v0, v[1:2], s[0:1] offset:1024
	;; [unrolled: 1-line block ×3, first 2 shown]
	s_nop 0
	s_sendmsg sendmsg(MSG_DEALLOC_VGPRS)
	s_endpgm
	.section	.rodata,"a",@progbits
	.p2align	6, 0x0
	.amdhsa_kernel _Z16sort_keys_kernelI22helper_blocked_stripedN15benchmark_utils11custom_typeIiiEELj64ELj4ELj10EEvPKT0_PS4_
		.amdhsa_group_segment_fixed_size 2064
		.amdhsa_private_segment_fixed_size 0
		.amdhsa_kernarg_size 272
		.amdhsa_user_sgpr_count 15
		.amdhsa_user_sgpr_dispatch_ptr 0
		.amdhsa_user_sgpr_queue_ptr 0
		.amdhsa_user_sgpr_kernarg_segment_ptr 1
		.amdhsa_user_sgpr_dispatch_id 0
		.amdhsa_user_sgpr_private_segment_size 0
		.amdhsa_wavefront_size32 1
		.amdhsa_uses_dynamic_stack 0
		.amdhsa_enable_private_segment 0
		.amdhsa_system_sgpr_workgroup_id_x 1
		.amdhsa_system_sgpr_workgroup_id_y 0
		.amdhsa_system_sgpr_workgroup_id_z 0
		.amdhsa_system_sgpr_workgroup_info 0
		.amdhsa_system_vgpr_workitem_id 2
		.amdhsa_next_free_vgpr 47
		.amdhsa_next_free_sgpr 30
		.amdhsa_reserve_vcc 1
		.amdhsa_float_round_mode_32 0
		.amdhsa_float_round_mode_16_64 0
		.amdhsa_float_denorm_mode_32 3
		.amdhsa_float_denorm_mode_16_64 3
		.amdhsa_dx10_clamp 1
		.amdhsa_ieee_mode 1
		.amdhsa_fp16_overflow 0
		.amdhsa_workgroup_processor_mode 1
		.amdhsa_memory_ordered 1
		.amdhsa_forward_progress 0
		.amdhsa_shared_vgpr_count 0
		.amdhsa_exception_fp_ieee_invalid_op 0
		.amdhsa_exception_fp_denorm_src 0
		.amdhsa_exception_fp_ieee_div_zero 0
		.amdhsa_exception_fp_ieee_overflow 0
		.amdhsa_exception_fp_ieee_underflow 0
		.amdhsa_exception_fp_ieee_inexact 0
		.amdhsa_exception_int_div_zero 0
	.end_amdhsa_kernel
	.section	.text._Z16sort_keys_kernelI22helper_blocked_stripedN15benchmark_utils11custom_typeIiiEELj64ELj4ELj10EEvPKT0_PS4_,"axG",@progbits,_Z16sort_keys_kernelI22helper_blocked_stripedN15benchmark_utils11custom_typeIiiEELj64ELj4ELj10EEvPKT0_PS4_,comdat
.Lfunc_end340:
	.size	_Z16sort_keys_kernelI22helper_blocked_stripedN15benchmark_utils11custom_typeIiiEELj64ELj4ELj10EEvPKT0_PS4_, .Lfunc_end340-_Z16sort_keys_kernelI22helper_blocked_stripedN15benchmark_utils11custom_typeIiiEELj64ELj4ELj10EEvPKT0_PS4_
                                        ; -- End function
	.section	.AMDGPU.csdata,"",@progbits
; Kernel info:
; codeLenInByte = 3660
; NumSgprs: 32
; NumVgprs: 47
; ScratchSize: 0
; MemoryBound: 0
; FloatMode: 240
; IeeeMode: 1
; LDSByteSize: 2064 bytes/workgroup (compile time only)
; SGPRBlocks: 3
; VGPRBlocks: 5
; NumSGPRsForWavesPerEU: 32
; NumVGPRsForWavesPerEU: 47
; Occupancy: 16
; WaveLimiterHint : 1
; COMPUTE_PGM_RSRC2:SCRATCH_EN: 0
; COMPUTE_PGM_RSRC2:USER_SGPR: 15
; COMPUTE_PGM_RSRC2:TRAP_HANDLER: 0
; COMPUTE_PGM_RSRC2:TGID_X_EN: 1
; COMPUTE_PGM_RSRC2:TGID_Y_EN: 0
; COMPUTE_PGM_RSRC2:TGID_Z_EN: 0
; COMPUTE_PGM_RSRC2:TIDIG_COMP_CNT: 2
	.section	.text._Z17sort_pairs_kernelI22helper_blocked_stripedN15benchmark_utils11custom_typeIiiEELj64ELj4ELj10EEvPKT0_PS4_,"axG",@progbits,_Z17sort_pairs_kernelI22helper_blocked_stripedN15benchmark_utils11custom_typeIiiEELj64ELj4ELj10EEvPKT0_PS4_,comdat
	.protected	_Z17sort_pairs_kernelI22helper_blocked_stripedN15benchmark_utils11custom_typeIiiEELj64ELj4ELj10EEvPKT0_PS4_ ; -- Begin function _Z17sort_pairs_kernelI22helper_blocked_stripedN15benchmark_utils11custom_typeIiiEELj64ELj4ELj10EEvPKT0_PS4_
	.globl	_Z17sort_pairs_kernelI22helper_blocked_stripedN15benchmark_utils11custom_typeIiiEELj64ELj4ELj10EEvPKT0_PS4_
	.p2align	8
	.type	_Z17sort_pairs_kernelI22helper_blocked_stripedN15benchmark_utils11custom_typeIiiEELj64ELj4ELj10EEvPKT0_PS4_,@function
_Z17sort_pairs_kernelI22helper_blocked_stripedN15benchmark_utils11custom_typeIiiEELj64ELj4ELj10EEvPKT0_PS4_: ; @_Z17sort_pairs_kernelI22helper_blocked_stripedN15benchmark_utils11custom_typeIiiEELj64ELj4ELj10EEvPKT0_PS4_
; %bb.0:
	s_clause 0x1
	s_load_b128 s[16:19], s[0:1], 0x0
	s_load_b32 s14, s[0:1], 0x1c
	v_mbcnt_lo_u32_b32 v11, -1, 0
	s_mov_b32 s23, 0
	s_lshl_b32 s22, s15, 8
	v_bfe_u32 v10, v0, 10, 10
	s_lshl_b64 s[20:21], s[22:23], 3
	v_add_nc_u32_e32 v14, -1, v11
	v_and_b32_e32 v13, 16, v11
	v_and_b32_e32 v9, 3, v11
	;; [unrolled: 1-line block ×4, first 2 shown]
	v_cmp_gt_i32_e32 vcc_lo, 0, v14
	v_and_b32_e32 v18, 0x3ff, v0
	v_cmp_eq_u32_e64 s9, 0, v13
	v_bfe_u32 v0, v0, 20, 10
	v_cmp_eq_u32_e64 s2, 1, v9
	v_cndmask_b32_e32 v13, v14, v11, vcc_lo
	v_lshlrev_b32_e32 v33, 5, v18
	v_lshlrev_b32_e32 v35, 2, v18
	s_waitcnt lgkmcnt(0)
	s_add_u32 s0, s16, s20
	s_addc_u32 s1, s17, s21
	s_lshr_b32 s13, s14, 16
	s_clause 0x1
	global_load_b128 v[5:8], v33, s[0:1]
	global_load_b128 v[1:4], v33, s[0:1] offset:16
	v_mad_u32_u24 v0, v0, s13, v10
	v_lshrrev_b32_e32 v14, 3, v18
	s_and_b32 s14, s14, 0xffff
	v_cmp_eq_u32_e64 s1, 0, v9
	v_cmp_eq_u32_e64 s3, 2, v9
	;; [unrolled: 1-line block ×3, first 2 shown]
	v_mad_u64_u32 v[9:10], null, v0, s14, v[18:19]
	v_and_b32_e32 v15, 1, v11
	v_cmp_eq_u32_e64 s5, 0, v12
	v_cmp_lt_u32_e64 s6, 1, v12
	v_cmp_lt_u32_e64 s7, 3, v12
	;; [unrolled: 1-line block ×3, first 2 shown]
	v_or_b32_e32 v12, 31, v18
	v_and_b32_e32 v40, 4, v14
	v_and_or_b32 v0, 0x80, v35, v11
	v_cmp_eq_u32_e64 s0, 0, v11
	v_or_b32_e32 v36, 32, v34
	v_or_b32_e32 v37, 64, v34
	;; [unrolled: 1-line block ×3, first 2 shown]
	v_cmp_gt_u32_e64 s10, 2, v18
	v_cmp_lt_u32_e64 s11, 31, v18
	v_cmp_eq_u32_e64 s12, 0, v18
	v_cmp_eq_u32_e64 s13, 0, v15
	v_or_b32_e32 v39, 8, v33
	v_cmp_eq_u32_e64 s14, v12, v18
	v_lshlrev_b32_e32 v41, 2, v13
	v_mad_i32_i24 v42, 0xffffffe4, v18, v33
	v_add_nc_u32_e32 v43, -4, v40
	v_lshlrev_b32_e32 v44, 3, v0
	v_lshrrev_b32_e32 v45, 5, v9
	s_mov_b32 s22, s23
	s_mov_b32 s24, s23
	s_mov_b32 s25, s23
	s_mov_b32 s26, s23
	s_waitcnt vmcnt(1)
	v_add_nc_u32_e32 v15, 1, v6
	v_add_nc_u32_e32 v14, 1, v5
	;; [unrolled: 1-line block ×4, first 2 shown]
	s_waitcnt vmcnt(0)
	v_add_nc_u32_e32 v11, 1, v2
	v_add_nc_u32_e32 v10, 1, v1
	;; [unrolled: 1-line block ×4, first 2 shown]
	s_branch .LBB341_2
.LBB341_1:                              ;   in Loop: Header=BB341_2 Depth=1
	v_add_nc_u32_e32 v4, v42, v35
	s_barrier
	buffer_gl0_inv
	ds_store_b64 v46, v[16:17]
	ds_store_b64 v47, v[29:30]
	;; [unrolled: 1-line block ×4, first 2 shown]
	s_waitcnt lgkmcnt(0)
	s_barrier
	buffer_gl0_inv
	ds_load_2addr_stride64_b64 v[0:3], v4 offset1:1
	ds_load_2addr_stride64_b64 v[27:30], v4 offset0:2 offset1:3
	s_waitcnt lgkmcnt(0)
	s_barrier
	buffer_gl0_inv
	ds_store_b64 v46, v[21:22]
	ds_store_b64 v47, v[19:20]
	ds_store_b64 v48, v[25:26]
	ds_store_b64 v49, v[23:24]
	s_waitcnt lgkmcnt(0)
	s_barrier
	buffer_gl0_inv
	ds_load_2addr_stride64_b64 v[14:17], v4 offset1:1
	ds_load_2addr_stride64_b64 v[10:13], v4 offset0:2 offset1:3
	s_add_i32 s26, s26, 1
	s_delay_alu instid0(SALU_CYCLE_1)
	s_cmp_lg_u32 s26, 10
	v_xor_b32_e32 v5, 0x80000000, v0
	v_xor_b32_e32 v6, 0x80000000, v1
	;; [unrolled: 1-line block ×8, first 2 shown]
	s_cbranch_scc0 .LBB341_20
.LBB341_2:                              ; =>This Loop Header: Depth=1
                                        ;     Child Loop BB341_4 Depth 2
	v_xor_b32_e32 v0, 0x80000000, v6
	v_xor_b32_e32 v5, 0x80000000, v5
	;; [unrolled: 1-line block ×5, first 2 shown]
	ds_bpermute_b32 v1, v34, v0
	v_xor_b32_e32 v9, 0x80000000, v2
	ds_bpermute_b32 v2, v34, v5
	v_xor_b32_e32 v19, 0x80000000, v3
	ds_bpermute_b32 v3, v34, v7
	ds_bpermute_b32 v20, v34, v6
	;; [unrolled: 1-line block ×6, first 2 shown]
	v_xor_b32_e32 v4, 0x80000000, v4
	ds_bpermute_b32 v21, v34, v8
	ds_bpermute_b32 v23, v34, v9
	;; [unrolled: 1-line block ×9, first 2 shown]
	s_waitcnt lgkmcnt(16)
	v_cndmask_b32_e64 v1, 0, v1, s1
	ds_bpermute_b32 v47, v36, v4
	s_waitcnt lgkmcnt(16)
	v_cndmask_b32_e64 v2, 0, v2, s1
	ds_bpermute_b32 v48, v37, v7
	ds_bpermute_b32 v49, v37, v6
	s_waitcnt lgkmcnt(17)
	v_cndmask_b32_e64 v1, v1, v3, s2
	s_waitcnt lgkmcnt(15)
	v_cndmask_b32_e64 v3, 0, v22, s1
	v_cndmask_b32_e64 v2, v2, v20, s2
	s_waitcnt lgkmcnt(14)
	v_cndmask_b32_e64 v20, 0, v25, s1
	ds_bpermute_b32 v22, v38, v0
	ds_bpermute_b32 v51, v37, v9
	s_waitcnt lgkmcnt(15)
	v_cndmask_b32_e64 v0, v3, v27, s2
	s_waitcnt lgkmcnt(12)
	v_cndmask_b32_e64 v1, v1, v23, s3
	v_cndmask_b32_e64 v3, v20, v28, s2
	;; [unrolled: 1-line block ×3, first 2 shown]
	ds_bpermute_b32 v5, v38, v5
	s_waitcnt lgkmcnt(9)
	v_cndmask_b32_e64 v23, v0, v30, s3
	v_cndmask_b32_e64 v1, v1, v26, s4
	;; [unrolled: 1-line block ×4, first 2 shown]
	ds_bpermute_b32 v7, v38, v7
	ds_bpermute_b32 v26, v34, v14
	ds_bpermute_b32 v50, v37, v8
	s_waitcnt lgkmcnt(11)
	v_cndmask_b32_e64 v2, v25, v46, s4
	ds_bpermute_b32 v25, v34, v15
	s_waitcnt lgkmcnt(11)
	v_cndmask_b32_e64 v20, 0, v31, s1
	ds_bpermute_b32 v24, v37, v4
	ds_bpermute_b32 v6, v38, v6
	;; [unrolled: 1-line block ×4, first 2 shown]
	s_waitcnt lgkmcnt(14)
	v_cndmask_b32_e64 v21, 0, v32, s1
	s_waitcnt lgkmcnt(12)
	v_cndmask_b32_e64 v20, v20, v48, s2
	v_cndmask_b32_e64 v3, v23, v47, s4
	ds_bpermute_b32 v9, v38, v9
	ds_bpermute_b32 v8, v38, v8
	;; [unrolled: 1-line block ×5, first 2 shown]
	s_waitcnt lgkmcnt(16)
	v_cndmask_b32_e64 v21, v21, v49, s2
	s_waitcnt lgkmcnt(14)
	v_cndmask_b32_e64 v20, v20, v51, s3
	ds_bpermute_b32 v23, v37, v19
	v_cndmask_b32_e64 v22, 0, v22, s1
	ds_bpermute_b32 v30, v38, v4
	ds_bpermute_b32 v48, v34, v13
	;; [unrolled: 1-line block ×4, first 2 shown]
	s_waitcnt lgkmcnt(18)
	v_cndmask_b32_e64 v29, 0, v5, s1
	ds_bpermute_b32 v46, v36, v15
	s_waitcnt lgkmcnt(18)
	v_cndmask_b32_e64 v4, v22, v7, s2
	s_waitcnt lgkmcnt(15)
	v_cndmask_b32_e64 v7, 0, v25, s1
	v_cndmask_b32_e64 v22, 0, v26, s1
	;; [unrolled: 1-line block ×3, first 2 shown]
	ds_bpermute_b32 v19, v38, v19
	ds_bpermute_b32 v50, v36, v17
	s_waitcnt lgkmcnt(16)
	v_cndmask_b32_e64 v5, v20, v24, s4
	s_waitcnt lgkmcnt(15)
	v_cndmask_b32_e64 v6, v29, v6, s2
	;; [unrolled: 2-line block ×5, first 2 shown]
	ds_bpermute_b32 v25, v37, v17
	s_waitcnt lgkmcnt(12)
	v_cndmask_b32_e64 v6, v6, v8, s3
	s_waitcnt lgkmcnt(11)
	v_cndmask_b32_e64 v8, v20, v31, s3
	;; [unrolled: 2-line block ×9, first 2 shown]
	ds_bpermute_b32 v22, v37, v15
	ds_bpermute_b32 v23, v37, v14
	;; [unrolled: 1-line block ×4, first 2 shown]
	s_waitcnt lgkmcnt(7)
	v_cndmask_b32_e64 v21, 0, v46, s1
	ds_bpermute_b32 v26, v37, v16
	ds_bpermute_b32 v17, v38, v17
	;; [unrolled: 1-line block ×3, first 2 shown]
	s_waitcnt lgkmcnt(9)
	v_cndmask_b32_e64 v6, v6, v19, s4
	s_waitcnt lgkmcnt(8)
	v_cndmask_b32_e64 v19, v21, v50, s2
	ds_bpermute_b32 v21, v36, v11
	ds_bpermute_b32 v24, v36, v10
	ds_bpermute_b32 v28, v37, v11
	ds_bpermute_b32 v29, v37, v10
	ds_bpermute_b32 v30, v38, v11
	ds_bpermute_b32 v10, v38, v10
	ds_bpermute_b32 v27, v36, v13
	ds_bpermute_b32 v31, v36, v12
	ds_bpermute_b32 v32, v37, v13
	ds_bpermute_b32 v46, v37, v12
	ds_bpermute_b32 v47, v38, v13
	ds_bpermute_b32 v48, v38, v12
	s_waitcnt lgkmcnt(18)
	v_cndmask_b32_e64 v12, 0, v22, s1
	s_waitcnt lgkmcnt(17)
	v_cndmask_b32_e64 v13, 0, v23, s1
	;; [unrolled: 2-line block ×4, first 2 shown]
	s_mov_b32 s27, 8
	v_cndmask_b32_e64 v12, v12, v25, s2
	s_waitcnt lgkmcnt(14)
	v_cndmask_b32_e64 v13, v13, v26, s2
	s_waitcnt lgkmcnt(13)
	v_cndmask_b32_e64 v15, v15, v17, s2
	s_waitcnt lgkmcnt(12)
	v_cndmask_b32_e64 v14, v14, v16, s2
	s_waitcnt lgkmcnt(11)
	v_cndmask_b32_e64 v11, v19, v21, s3
	s_waitcnt lgkmcnt(10)
	v_cndmask_b32_e64 v19, v20, v24, s3
	s_waitcnt lgkmcnt(9)
	v_cndmask_b32_e64 v12, v12, v28, s3
	s_waitcnt lgkmcnt(8)
	v_cndmask_b32_e64 v16, v13, v29, s3
	s_waitcnt lgkmcnt(7)
	v_cndmask_b32_e64 v15, v15, v30, s3
	s_waitcnt lgkmcnt(6)
	v_cndmask_b32_e64 v14, v14, v10, s3
	s_waitcnt lgkmcnt(5)
	v_cndmask_b32_e64 v11, v11, v27, s4
	s_waitcnt lgkmcnt(4)
	v_cndmask_b32_e64 v10, v19, v31, s4
	s_waitcnt lgkmcnt(3)
	v_cndmask_b32_e64 v13, v12, v32, s4
	s_waitcnt lgkmcnt(2)
	v_cndmask_b32_e64 v12, v16, v46, s4
	s_waitcnt lgkmcnt(1)
	v_cndmask_b32_e64 v15, v15, v47, s4
	s_waitcnt lgkmcnt(0)
	v_cndmask_b32_e64 v14, v14, v48, s4
	s_mov_b32 s28, 32
	s_mov_b32 s29, 0
	s_barrier
	s_branch .LBB341_4
.LBB341_3:                              ;   in Loop: Header=BB341_4 Depth=2
	s_barrier
	buffer_gl0_inv
	ds_store_b64 v46, v[16:17]
	ds_store_b64 v47, v[29:30]
	ds_store_b64 v48, v[31:32]
	ds_store_b64 v49, v[27:28]
	s_waitcnt lgkmcnt(0)
	s_barrier
	buffer_gl0_inv
	ds_load_2addr_b64 v[0:3], v44 offset1:32
	ds_load_2addr_b64 v[4:7], v44 offset0:64 offset1:96
	s_waitcnt lgkmcnt(0)
	s_barrier
	buffer_gl0_inv
	ds_store_b64 v46, v[21:22]
	ds_store_b64 v47, v[19:20]
	;; [unrolled: 1-line block ×4, first 2 shown]
	s_waitcnt lgkmcnt(0)
	s_barrier
	buffer_gl0_inv
	ds_load_2addr_b64 v[8:11], v44 offset1:32
	ds_load_2addr_b64 v[12:15], v44 offset0:64 offset1:96
	s_add_i32 s28, s28, -8
	s_add_i32 s27, s27, 8
	s_add_i32 s29, s29, 8
	s_waitcnt lgkmcnt(0)
	s_barrier
	s_cbranch_execz .LBB341_1
.LBB341_4:                              ;   Parent Loop BB341_2 Depth=1
                                        ; =>  This Inner Loop Header: Depth=2
	s_min_i32 s16, s27, 32
	s_cmp_lt_u32 s29, 32
	v_dual_mov_b32 v17, v1 :: v_dual_mov_b32 v16, v0
	s_cselect_b32 vcc_lo, -1, 0
	s_cmp_gt_u32 s29, 24
	v_mov_b32_e32 v28, v7
	s_cselect_b32 s15, -1, 0
	s_sub_i32 s16, s16, 32
	v_lshrrev_b32_e32 v1, s29, v17
	s_add_i32 s17, s16, s28
	v_mov_b32_e32 v32, v5
	s_lshl_b32 s17, -1, s17
	buffer_gl0_inv
	s_not_b32 s17, s17
	s_cmp_lg_u32 s16, s29
	v_mov_b32_e32 v30, v3
	s_cselect_b32 s30, s17, -1
	s_max_i32 s31, s28, 0
	s_max_i32 s16, s29, 32
	v_and_b32_e32 v1, s30, v1
	s_sub_i32 s17, s16, s31
	s_sub_i32 s33, s16, 32
	;; [unrolled: 1-line block ×3, first 2 shown]
	v_lshrrev_b32_e32 v0, s33, v16
	s_min_i32 s16, s17, 32
	v_cndmask_b32_e32 v1, 0, v1, vcc_lo
	s_sub_i32 s16, s16, s33
	v_mov_b32_e32 v29, v2
	s_lshl_b32 s17, -1, s16
	v_mov_b32_e32 v27, v6
	s_not_b32 s17, s17
	s_cmp_lg_u32 s16, 32
	v_mov_b32_e32 v31, v4
	s_cselect_b32 s34, s17, -1
	s_delay_alu instid0(SALU_CYCLE_1) | instskip(NEXT) | instid1(VALU_DEP_1)
	v_and_b32_e32 v0, s34, v0
	v_lshlrev_b32_e32 v0, s31, v0
	s_delay_alu instid0(VALU_DEP_1) | instskip(NEXT) | instid1(VALU_DEP_1)
	v_cndmask_b32_e64 v0, 0, v0, s15
	v_or_b32_e32 v46, v1, v0
	s_delay_alu instid0(VALU_DEP_1)
	v_and_b32_e32 v0, 1, v46
	v_lshlrev_b32_e32 v1, 30, v46
	v_lshlrev_b32_e32 v19, 29, v46
	;; [unrolled: 1-line block ×4, first 2 shown]
	v_add_co_u32 v0, s16, v0, -1
	s_delay_alu instid0(VALU_DEP_1)
	v_cndmask_b32_e64 v21, 0, 1, s16
	v_not_b32_e32 v25, v1
	v_cmp_gt_i32_e64 s17, 0, v1
	v_lshlrev_b32_e32 v23, 26, v46
	v_lshlrev_b32_e32 v24, 25, v46
	v_cmp_ne_u32_e64 s16, 0, v21
	v_ashrrev_i32_e32 v25, 31, v25
	v_lshlrev_b32_e32 v21, 24, v46
	s_delay_alu instid0(VALU_DEP_3) | instskip(NEXT) | instid1(VALU_DEP_3)
	v_xor_b32_e32 v0, s16, v0
	v_xor_b32_e32 v25, s17, v25
	s_delay_alu instid0(VALU_DEP_2) | instskip(NEXT) | instid1(VALU_DEP_1)
	v_and_b32_e32 v0, exec_lo, v0
	v_and_b32_e32 v0, v0, v25
	v_mov_b32_e32 v26, v13
	v_not_b32_e32 v1, v19
	v_cmp_gt_i32_e64 s16, 0, v19
	v_mov_b32_e32 v25, v12
	v_not_b32_e32 v19, v20
	v_cmp_gt_i32_e64 s17, 0, v20
	v_ashrrev_i32_e32 v1, 31, v1
	v_not_b32_e32 v20, v22
	s_delay_alu instid0(VALU_DEP_4) | instskip(NEXT) | instid1(VALU_DEP_3)
	v_ashrrev_i32_e32 v19, 31, v19
	v_xor_b32_e32 v1, s16, v1
	v_cmp_gt_i32_e64 s16, 0, v22
	v_not_b32_e32 v22, v23
	v_ashrrev_i32_e32 v20, 31, v20
	v_xor_b32_e32 v19, s17, v19
	v_and_b32_e32 v0, v0, v1
	v_cmp_gt_i32_e64 s17, 0, v23
	v_not_b32_e32 v1, v24
	v_ashrrev_i32_e32 v22, 31, v22
	v_xor_b32_e32 v20, s16, v20
	v_and_b32_e32 v0, v0, v19
	;; [unrolled: 5-line block ×3, first 2 shown]
	v_cmp_gt_i32_e64 s17, 0, v21
	v_ashrrev_i32_e32 v23, 31, v19
	v_xor_b32_e32 v1, s16, v1
	v_mov_b32_e32 v20, v11
	v_and_b32_e32 v0, v0, v22
	v_dual_mov_b32 v22, v9 :: v_dual_mov_b32 v21, v8
	v_xor_b32_e32 v8, s17, v23
	s_delay_alu instid0(VALU_DEP_3) | instskip(SKIP_3) | instid1(VALU_DEP_4)
	v_dual_mov_b32 v19, v10 :: v_dual_and_b32 v0, v0, v1
	v_mov_b32_e32 v1, s22
	v_dual_mov_b32 v9, s24 :: v_dual_mov_b32 v2, s23
	v_mov_b32_e32 v10, s25
	v_and_b32_e32 v0, v0, v8
	ds_store_2addr_b64 v33, v[1:2], v[9:10] offset0:1 offset1:2
	ds_store_2addr_b64 v39, v[1:2], v[9:10] offset0:2 offset1:3
	v_mbcnt_lo_u32_b32 v8, v0, 0
	v_lshl_add_u32 v1, v46, 1, v45
	v_cmp_ne_u32_e64 s17, 0, v0
	v_dual_mov_b32 v24, v15 :: v_dual_mov_b32 v23, v14
	s_delay_alu instid0(VALU_DEP_4) | instskip(NEXT) | instid1(VALU_DEP_4)
	v_cmp_eq_u32_e64 s16, 0, v8
	v_lshl_add_u32 v9, v1, 2, 8
	s_waitcnt lgkmcnt(0)
	s_barrier
	buffer_gl0_inv
	s_and_b32 s17, s16, s17
	; wave barrier
	s_delay_alu instid0(SALU_CYCLE_1)
	s_and_saveexec_b32 s16, s17
	s_cbranch_execz .LBB341_6
; %bb.5:                                ;   in Loop: Header=BB341_4 Depth=2
	v_bcnt_u32_b32 v0, v0, 0
	ds_store_b32 v9, v0
.LBB341_6:                              ;   in Loop: Header=BB341_4 Depth=2
	s_or_b32 exec_lo, exec_lo, s16
	v_lshrrev_b32_e32 v0, s33, v29
	v_lshrrev_b32_e32 v1, s29, v30
	; wave barrier
	s_delay_alu instid0(VALU_DEP_1) | instskip(NEXT) | instid1(VALU_DEP_1)
	v_and_b32_e32 v1, s30, v1
	v_dual_cndmask_b32 v1, 0, v1 :: v_dual_and_b32 v0, s34, v0
	s_delay_alu instid0(VALU_DEP_1) | instskip(NEXT) | instid1(VALU_DEP_1)
	v_lshlrev_b32_e32 v0, s31, v0
	v_cndmask_b32_e64 v0, 0, v0, s15
	s_delay_alu instid0(VALU_DEP_1) | instskip(NEXT) | instid1(VALU_DEP_1)
	v_or_b32_e32 v0, v1, v0
	v_and_b32_e32 v1, 1, v0
	v_lshlrev_b32_e32 v2, 30, v0
	v_lshlrev_b32_e32 v3, 29, v0
	;; [unrolled: 1-line block ×4, first 2 shown]
	v_add_co_u32 v1, s16, v1, -1
	s_delay_alu instid0(VALU_DEP_1)
	v_cndmask_b32_e64 v5, 0, 1, s16
	v_not_b32_e32 v11, v2
	v_cmp_gt_i32_e64 s17, 0, v2
	v_not_b32_e32 v2, v3
	v_lshlrev_b32_e32 v7, 26, v0
	v_cmp_ne_u32_e64 s16, 0, v5
	v_ashrrev_i32_e32 v11, 31, v11
	v_lshlrev_b32_e32 v10, 25, v0
	v_ashrrev_i32_e32 v2, 31, v2
	v_lshlrev_b32_e32 v5, 24, v0
	v_xor_b32_e32 v1, s16, v1
	v_cmp_gt_i32_e64 s16, 0, v3
	v_not_b32_e32 v3, v4
	v_xor_b32_e32 v11, s17, v11
	v_cmp_gt_i32_e64 s17, 0, v4
	v_and_b32_e32 v1, exec_lo, v1
	v_not_b32_e32 v4, v6
	v_ashrrev_i32_e32 v3, 31, v3
	v_xor_b32_e32 v2, s16, v2
	v_cmp_gt_i32_e64 s16, 0, v6
	v_and_b32_e32 v1, v1, v11
	v_not_b32_e32 v6, v7
	v_ashrrev_i32_e32 v4, 31, v4
	v_xor_b32_e32 v3, s17, v3
	v_cmp_gt_i32_e64 s17, 0, v7
	v_and_b32_e32 v1, v1, v2
	;; [unrolled: 5-line block ×3, first 2 shown]
	v_not_b32_e32 v3, v5
	v_ashrrev_i32_e32 v2, 31, v2
	v_xor_b32_e32 v6, s17, v6
	v_lshlrev_b32_e32 v0, 1, v0
	v_and_b32_e32 v1, v1, v4
	v_cmp_gt_i32_e64 s17, 0, v5
	v_ashrrev_i32_e32 v3, 31, v3
	v_xor_b32_e32 v2, s16, v2
	v_add_lshl_u32 v4, v0, v45, 2
	v_and_b32_e32 v1, v1, v6
	s_delay_alu instid0(VALU_DEP_4) | instskip(SKIP_3) | instid1(VALU_DEP_2)
	v_xor_b32_e32 v0, s17, v3
	ds_load_b32 v10, v4 offset:8
	v_and_b32_e32 v1, v1, v2
	v_add_nc_u32_e32 v12, 8, v4
	; wave barrier
	v_and_b32_e32 v0, v1, v0
	s_delay_alu instid0(VALU_DEP_1) | instskip(SKIP_1) | instid1(VALU_DEP_2)
	v_mbcnt_lo_u32_b32 v11, v0, 0
	v_cmp_ne_u32_e64 s17, 0, v0
	v_cmp_eq_u32_e64 s16, 0, v11
	s_delay_alu instid0(VALU_DEP_1) | instskip(NEXT) | instid1(SALU_CYCLE_1)
	s_and_b32 s17, s16, s17
	s_and_saveexec_b32 s16, s17
	s_cbranch_execz .LBB341_8
; %bb.7:                                ;   in Loop: Header=BB341_4 Depth=2
	s_waitcnt lgkmcnt(0)
	v_bcnt_u32_b32 v0, v0, v10
	ds_store_b32 v12, v0
.LBB341_8:                              ;   in Loop: Header=BB341_4 Depth=2
	s_or_b32 exec_lo, exec_lo, s16
	v_lshrrev_b32_e32 v0, s33, v31
	v_lshrrev_b32_e32 v1, s29, v32
	; wave barrier
	s_delay_alu instid0(VALU_DEP_1) | instskip(NEXT) | instid1(VALU_DEP_1)
	v_and_b32_e32 v1, s30, v1
	v_dual_cndmask_b32 v1, 0, v1 :: v_dual_and_b32 v0, s34, v0
	s_delay_alu instid0(VALU_DEP_1) | instskip(NEXT) | instid1(VALU_DEP_1)
	v_lshlrev_b32_e32 v0, s31, v0
	v_cndmask_b32_e64 v0, 0, v0, s15
	s_delay_alu instid0(VALU_DEP_1) | instskip(NEXT) | instid1(VALU_DEP_1)
	v_or_b32_e32 v0, v1, v0
	v_and_b32_e32 v1, 1, v0
	v_lshlrev_b32_e32 v2, 30, v0
	v_lshlrev_b32_e32 v3, 29, v0
	;; [unrolled: 1-line block ×4, first 2 shown]
	v_add_co_u32 v1, s16, v1, -1
	s_delay_alu instid0(VALU_DEP_1)
	v_cndmask_b32_e64 v5, 0, 1, s16
	v_not_b32_e32 v14, v2
	v_cmp_gt_i32_e64 s17, 0, v2
	v_not_b32_e32 v2, v3
	v_lshlrev_b32_e32 v7, 26, v0
	v_cmp_ne_u32_e64 s16, 0, v5
	v_ashrrev_i32_e32 v14, 31, v14
	v_lshlrev_b32_e32 v13, 25, v0
	v_ashrrev_i32_e32 v2, 31, v2
	v_lshlrev_b32_e32 v5, 24, v0
	v_xor_b32_e32 v1, s16, v1
	v_cmp_gt_i32_e64 s16, 0, v3
	v_not_b32_e32 v3, v4
	v_xor_b32_e32 v14, s17, v14
	v_cmp_gt_i32_e64 s17, 0, v4
	v_and_b32_e32 v1, exec_lo, v1
	v_not_b32_e32 v4, v6
	v_ashrrev_i32_e32 v3, 31, v3
	v_xor_b32_e32 v2, s16, v2
	v_cmp_gt_i32_e64 s16, 0, v6
	v_and_b32_e32 v1, v1, v14
	v_not_b32_e32 v6, v7
	v_ashrrev_i32_e32 v4, 31, v4
	v_xor_b32_e32 v3, s17, v3
	v_cmp_gt_i32_e64 s17, 0, v7
	v_and_b32_e32 v1, v1, v2
	v_not_b32_e32 v2, v13
	v_ashrrev_i32_e32 v6, 31, v6
	v_xor_b32_e32 v4, s16, v4
	v_cmp_gt_i32_e64 s16, 0, v13
	v_and_b32_e32 v1, v1, v3
	v_not_b32_e32 v3, v5
	v_ashrrev_i32_e32 v2, 31, v2
	v_xor_b32_e32 v6, s17, v6
	v_lshlrev_b32_e32 v0, 1, v0
	v_and_b32_e32 v1, v1, v4
	v_cmp_gt_i32_e64 s17, 0, v5
	v_ashrrev_i32_e32 v3, 31, v3
	v_xor_b32_e32 v2, s16, v2
	v_add_lshl_u32 v4, v0, v45, 2
	v_and_b32_e32 v1, v1, v6
	s_delay_alu instid0(VALU_DEP_4) | instskip(SKIP_3) | instid1(VALU_DEP_2)
	v_xor_b32_e32 v0, s17, v3
	ds_load_b32 v13, v4 offset:8
	v_and_b32_e32 v1, v1, v2
	v_add_nc_u32_e32 v15, 8, v4
	; wave barrier
	v_and_b32_e32 v0, v1, v0
	s_delay_alu instid0(VALU_DEP_1) | instskip(SKIP_1) | instid1(VALU_DEP_2)
	v_mbcnt_lo_u32_b32 v14, v0, 0
	v_cmp_ne_u32_e64 s17, 0, v0
	v_cmp_eq_u32_e64 s16, 0, v14
	s_delay_alu instid0(VALU_DEP_1) | instskip(NEXT) | instid1(SALU_CYCLE_1)
	s_and_b32 s17, s16, s17
	s_and_saveexec_b32 s16, s17
	s_cbranch_execz .LBB341_10
; %bb.9:                                ;   in Loop: Header=BB341_4 Depth=2
	s_waitcnt lgkmcnt(0)
	v_bcnt_u32_b32 v0, v0, v13
	ds_store_b32 v15, v0
.LBB341_10:                             ;   in Loop: Header=BB341_4 Depth=2
	s_or_b32 exec_lo, exec_lo, s16
	v_lshrrev_b32_e32 v0, s33, v27
	v_lshrrev_b32_e32 v1, s29, v28
	; wave barrier
	s_delay_alu instid0(VALU_DEP_1) | instskip(NEXT) | instid1(VALU_DEP_1)
	v_and_b32_e32 v1, s30, v1
	v_dual_cndmask_b32 v1, 0, v1 :: v_dual_and_b32 v0, s34, v0
	s_delay_alu instid0(VALU_DEP_1) | instskip(NEXT) | instid1(VALU_DEP_1)
	v_lshlrev_b32_e32 v0, s31, v0
	v_cndmask_b32_e64 v0, 0, v0, s15
	s_delay_alu instid0(VALU_DEP_1) | instskip(NEXT) | instid1(VALU_DEP_1)
	v_or_b32_e32 v0, v1, v0
	v_and_b32_e32 v1, 1, v0
	v_lshlrev_b32_e32 v2, 30, v0
	v_lshlrev_b32_e32 v3, 29, v0
	;; [unrolled: 1-line block ×4, first 2 shown]
	v_add_co_u32 v1, s15, v1, -1
	s_delay_alu instid0(VALU_DEP_1)
	v_cndmask_b32_e64 v5, 0, 1, s15
	v_not_b32_e32 v47, v2
	v_cmp_gt_i32_e64 s15, 0, v2
	v_not_b32_e32 v2, v3
	v_lshlrev_b32_e32 v7, 26, v0
	v_cmp_ne_u32_e32 vcc_lo, 0, v5
	v_ashrrev_i32_e32 v47, 31, v47
	v_lshlrev_b32_e32 v46, 25, v0
	v_ashrrev_i32_e32 v2, 31, v2
	v_lshlrev_b32_e32 v5, 24, v0
	v_xor_b32_e32 v1, vcc_lo, v1
	v_cmp_gt_i32_e32 vcc_lo, 0, v3
	v_not_b32_e32 v3, v4
	v_xor_b32_e32 v47, s15, v47
	v_cmp_gt_i32_e64 s15, 0, v4
	v_and_b32_e32 v1, exec_lo, v1
	v_not_b32_e32 v4, v6
	v_ashrrev_i32_e32 v3, 31, v3
	v_xor_b32_e32 v2, vcc_lo, v2
	v_cmp_gt_i32_e32 vcc_lo, 0, v6
	v_and_b32_e32 v1, v1, v47
	v_not_b32_e32 v6, v7
	v_ashrrev_i32_e32 v4, 31, v4
	v_xor_b32_e32 v3, s15, v3
	v_cmp_gt_i32_e64 s15, 0, v7
	v_and_b32_e32 v1, v1, v2
	v_not_b32_e32 v2, v46
	v_ashrrev_i32_e32 v6, 31, v6
	v_xor_b32_e32 v4, vcc_lo, v4
	v_cmp_gt_i32_e32 vcc_lo, 0, v46
	v_and_b32_e32 v1, v1, v3
	v_not_b32_e32 v3, v5
	v_ashrrev_i32_e32 v2, 31, v2
	v_xor_b32_e32 v6, s15, v6
	v_lshlrev_b32_e32 v0, 1, v0
	v_and_b32_e32 v1, v1, v4
	v_cmp_gt_i32_e64 s15, 0, v5
	v_ashrrev_i32_e32 v3, 31, v3
	v_xor_b32_e32 v2, vcc_lo, v2
	v_add_lshl_u32 v4, v0, v45, 2
	v_and_b32_e32 v1, v1, v6
	s_delay_alu instid0(VALU_DEP_4) | instskip(SKIP_3) | instid1(VALU_DEP_2)
	v_xor_b32_e32 v0, s15, v3
	ds_load_b32 v46, v4 offset:8
	v_and_b32_e32 v1, v1, v2
	v_add_nc_u32_e32 v48, 8, v4
	; wave barrier
	v_and_b32_e32 v0, v1, v0
	s_delay_alu instid0(VALU_DEP_1) | instskip(SKIP_1) | instid1(VALU_DEP_2)
	v_mbcnt_lo_u32_b32 v47, v0, 0
	v_cmp_ne_u32_e64 s15, 0, v0
	v_cmp_eq_u32_e32 vcc_lo, 0, v47
	s_delay_alu instid0(VALU_DEP_2) | instskip(NEXT) | instid1(SALU_CYCLE_1)
	s_and_b32 s16, vcc_lo, s15
	s_and_saveexec_b32 s15, s16
	s_cbranch_execz .LBB341_12
; %bb.11:                               ;   in Loop: Header=BB341_4 Depth=2
	s_waitcnt lgkmcnt(0)
	v_bcnt_u32_b32 v0, v0, v46
	ds_store_b32 v48, v0
.LBB341_12:                             ;   in Loop: Header=BB341_4 Depth=2
	s_or_b32 exec_lo, exec_lo, s15
	; wave barrier
	s_waitcnt lgkmcnt(0)
	s_barrier
	buffer_gl0_inv
	ds_load_2addr_b64 v[4:7], v33 offset0:1 offset1:2
	ds_load_2addr_b64 v[0:3], v39 offset0:2 offset1:3
	s_waitcnt lgkmcnt(1)
	v_add_nc_u32_e32 v49, v5, v4
	s_delay_alu instid0(VALU_DEP_1) | instskip(SKIP_1) | instid1(VALU_DEP_1)
	v_add3_u32 v49, v49, v6, v7
	s_waitcnt lgkmcnt(0)
	v_add3_u32 v49, v49, v0, v1
	s_delay_alu instid0(VALU_DEP_1) | instskip(NEXT) | instid1(VALU_DEP_1)
	v_add3_u32 v3, v49, v2, v3
	v_mov_b32_dpp v49, v3 row_shr:1 row_mask:0xf bank_mask:0xf
	s_delay_alu instid0(VALU_DEP_1) | instskip(NEXT) | instid1(VALU_DEP_1)
	v_cndmask_b32_e64 v49, v49, 0, s5
	v_add_nc_u32_e32 v3, v49, v3
	s_delay_alu instid0(VALU_DEP_1) | instskip(NEXT) | instid1(VALU_DEP_1)
	v_mov_b32_dpp v49, v3 row_shr:2 row_mask:0xf bank_mask:0xf
	v_cndmask_b32_e64 v49, 0, v49, s6
	s_delay_alu instid0(VALU_DEP_1) | instskip(NEXT) | instid1(VALU_DEP_1)
	v_add_nc_u32_e32 v3, v3, v49
	v_mov_b32_dpp v49, v3 row_shr:4 row_mask:0xf bank_mask:0xf
	s_delay_alu instid0(VALU_DEP_1) | instskip(NEXT) | instid1(VALU_DEP_1)
	v_cndmask_b32_e64 v49, 0, v49, s7
	v_add_nc_u32_e32 v3, v3, v49
	s_delay_alu instid0(VALU_DEP_1) | instskip(NEXT) | instid1(VALU_DEP_1)
	v_mov_b32_dpp v49, v3 row_shr:8 row_mask:0xf bank_mask:0xf
	v_cndmask_b32_e64 v49, 0, v49, s8
	s_delay_alu instid0(VALU_DEP_1) | instskip(SKIP_3) | instid1(VALU_DEP_1)
	v_add_nc_u32_e32 v3, v3, v49
	ds_swizzle_b32 v49, v3 offset:swizzle(BROADCAST,32,15)
	s_waitcnt lgkmcnt(0)
	v_cndmask_b32_e64 v49, v49, 0, s9
	v_add_nc_u32_e32 v3, v3, v49
	s_and_saveexec_b32 s15, s14
	s_cbranch_execz .LBB341_14
; %bb.13:                               ;   in Loop: Header=BB341_4 Depth=2
	ds_store_b32 v40, v3
.LBB341_14:                             ;   in Loop: Header=BB341_4 Depth=2
	s_or_b32 exec_lo, exec_lo, s15
	s_waitcnt lgkmcnt(0)
	s_barrier
	buffer_gl0_inv
	s_and_saveexec_b32 s15, s10
	s_cbranch_execz .LBB341_16
; %bb.15:                               ;   in Loop: Header=BB341_4 Depth=2
	ds_load_b32 v49, v42
	s_waitcnt lgkmcnt(0)
	v_mov_b32_dpp v50, v49 row_shr:1 row_mask:0xf bank_mask:0xf
	s_delay_alu instid0(VALU_DEP_1) | instskip(NEXT) | instid1(VALU_DEP_1)
	v_cndmask_b32_e64 v50, v50, 0, s13
	v_add_nc_u32_e32 v49, v50, v49
	ds_store_b32 v42, v49
.LBB341_16:                             ;   in Loop: Header=BB341_4 Depth=2
	s_or_b32 exec_lo, exec_lo, s15
	v_mov_b32_e32 v49, 0
	s_waitcnt lgkmcnt(0)
	s_barrier
	buffer_gl0_inv
	s_and_saveexec_b32 s15, s11
	s_cbranch_execz .LBB341_18
; %bb.17:                               ;   in Loop: Header=BB341_4 Depth=2
	ds_load_b32 v49, v43
.LBB341_18:                             ;   in Loop: Header=BB341_4 Depth=2
	s_or_b32 exec_lo, exec_lo, s15
	s_waitcnt lgkmcnt(0)
	v_add_nc_u32_e32 v3, v49, v3
	s_cmp_gt_u32 s29, 55
	ds_bpermute_b32 v3, v41, v3
	s_waitcnt lgkmcnt(0)
	v_cndmask_b32_e64 v3, v3, v49, s0
	s_delay_alu instid0(VALU_DEP_1) | instskip(NEXT) | instid1(VALU_DEP_1)
	v_cndmask_b32_e64 v3, v3, 0, s12
	v_add_nc_u32_e32 v4, v3, v4
	s_delay_alu instid0(VALU_DEP_1) | instskip(NEXT) | instid1(VALU_DEP_1)
	v_add_nc_u32_e32 v5, v4, v5
	v_add_nc_u32_e32 v6, v5, v6
	s_delay_alu instid0(VALU_DEP_1) | instskip(SKIP_1) | instid1(VALU_DEP_2)
	v_add_nc_u32_e32 v49, v6, v7
	v_lshlrev_b32_e32 v7, 3, v14
	v_add_nc_u32_e32 v50, v49, v0
	s_delay_alu instid0(VALU_DEP_1) | instskip(NEXT) | instid1(VALU_DEP_1)
	v_add_nc_u32_e32 v0, v50, v1
	v_add_nc_u32_e32 v1, v0, v2
	ds_store_2addr_b64 v33, v[3:4], v[5:6] offset0:1 offset1:2
	ds_store_2addr_b64 v39, v[49:50], v[0:1] offset0:2 offset1:3
	s_waitcnt lgkmcnt(0)
	s_barrier
	buffer_gl0_inv
	ds_load_b32 v0, v12
	ds_load_b32 v1, v15
	ds_load_b32 v2, v48
	ds_load_b32 v3, v9
	v_lshlrev_b32_e32 v4, 3, v8
	v_lshlrev_b32_e32 v5, 3, v11
	;; [unrolled: 1-line block ×6, first 2 shown]
	s_waitcnt lgkmcnt(0)
	v_lshlrev_b32_e32 v0, 3, v0
	v_lshlrev_b32_e32 v1, 3, v1
	;; [unrolled: 1-line block ×3, first 2 shown]
	v_lshl_add_u32 v46, v3, 3, v4
	s_delay_alu instid0(VALU_DEP_4) | instskip(NEXT) | instid1(VALU_DEP_4)
	v_add3_u32 v47, v5, v6, v0
	v_add3_u32 v48, v7, v8, v1
	s_delay_alu instid0(VALU_DEP_4)
	v_add3_u32 v49, v9, v10, v2
	s_cbranch_scc0 .LBB341_3
; %bb.19:                               ;   in Loop: Header=BB341_2 Depth=1
                                        ; implicit-def: $sgpr29
                                        ; implicit-def: $vgpr8_vgpr9
                                        ; implicit-def: $vgpr12_vgpr13
                                        ; implicit-def: $vgpr0_vgpr1
                                        ; implicit-def: $vgpr4_vgpr5
                                        ; implicit-def: $sgpr28
                                        ; implicit-def: $sgpr27
	s_branch .LBB341_1
.LBB341_20:
	s_waitcnt lgkmcnt(1)
	v_add_nc_u32_e32 v5, v5, v14
	v_add_nc_u32_e32 v6, v6, v15
	v_lshlrev_b32_e32 v9, 3, v18
	v_add_nc_u32_e32 v7, v7, v16
	v_add_nc_u32_e32 v8, v8, v17
	s_waitcnt lgkmcnt(0)
	v_add_nc_u32_e32 v0, v1, v10
	v_add_nc_u32_e32 v1, v2, v11
	s_add_u32 s0, s18, s20
	v_add_nc_u32_e32 v2, v3, v12
	v_add_nc_u32_e32 v3, v4, v13
	s_addc_u32 s1, s19, s21
	s_clause 0x3
	global_store_b64 v9, v[5:6], s[0:1]
	global_store_b64 v9, v[7:8], s[0:1] offset:512
	global_store_b64 v9, v[0:1], s[0:1] offset:1024
	;; [unrolled: 1-line block ×3, first 2 shown]
	s_nop 0
	s_sendmsg sendmsg(MSG_DEALLOC_VGPRS)
	s_endpgm
	.section	.rodata,"a",@progbits
	.p2align	6, 0x0
	.amdhsa_kernel _Z17sort_pairs_kernelI22helper_blocked_stripedN15benchmark_utils11custom_typeIiiEELj64ELj4ELj10EEvPKT0_PS4_
		.amdhsa_group_segment_fixed_size 2064
		.amdhsa_private_segment_fixed_size 0
		.amdhsa_kernarg_size 272
		.amdhsa_user_sgpr_count 15
		.amdhsa_user_sgpr_dispatch_ptr 0
		.amdhsa_user_sgpr_queue_ptr 0
		.amdhsa_user_sgpr_kernarg_segment_ptr 1
		.amdhsa_user_sgpr_dispatch_id 0
		.amdhsa_user_sgpr_private_segment_size 0
		.amdhsa_wavefront_size32 1
		.amdhsa_uses_dynamic_stack 0
		.amdhsa_enable_private_segment 0
		.amdhsa_system_sgpr_workgroup_id_x 1
		.amdhsa_system_sgpr_workgroup_id_y 0
		.amdhsa_system_sgpr_workgroup_id_z 0
		.amdhsa_system_sgpr_workgroup_info 0
		.amdhsa_system_vgpr_workitem_id 2
		.amdhsa_next_free_vgpr 52
		.amdhsa_next_free_sgpr 35
		.amdhsa_reserve_vcc 1
		.amdhsa_float_round_mode_32 0
		.amdhsa_float_round_mode_16_64 0
		.amdhsa_float_denorm_mode_32 3
		.amdhsa_float_denorm_mode_16_64 3
		.amdhsa_dx10_clamp 1
		.amdhsa_ieee_mode 1
		.amdhsa_fp16_overflow 0
		.amdhsa_workgroup_processor_mode 1
		.amdhsa_memory_ordered 1
		.amdhsa_forward_progress 0
		.amdhsa_shared_vgpr_count 0
		.amdhsa_exception_fp_ieee_invalid_op 0
		.amdhsa_exception_fp_denorm_src 0
		.amdhsa_exception_fp_ieee_div_zero 0
		.amdhsa_exception_fp_ieee_overflow 0
		.amdhsa_exception_fp_ieee_underflow 0
		.amdhsa_exception_fp_ieee_inexact 0
		.amdhsa_exception_int_div_zero 0
	.end_amdhsa_kernel
	.section	.text._Z17sort_pairs_kernelI22helper_blocked_stripedN15benchmark_utils11custom_typeIiiEELj64ELj4ELj10EEvPKT0_PS4_,"axG",@progbits,_Z17sort_pairs_kernelI22helper_blocked_stripedN15benchmark_utils11custom_typeIiiEELj64ELj4ELj10EEvPKT0_PS4_,comdat
.Lfunc_end341:
	.size	_Z17sort_pairs_kernelI22helper_blocked_stripedN15benchmark_utils11custom_typeIiiEELj64ELj4ELj10EEvPKT0_PS4_, .Lfunc_end341-_Z17sort_pairs_kernelI22helper_blocked_stripedN15benchmark_utils11custom_typeIiiEELj64ELj4ELj10EEvPKT0_PS4_
                                        ; -- End function
	.section	.AMDGPU.csdata,"",@progbits
; Kernel info:
; codeLenInByte = 4540
; NumSgprs: 37
; NumVgprs: 52
; ScratchSize: 0
; MemoryBound: 0
; FloatMode: 240
; IeeeMode: 1
; LDSByteSize: 2064 bytes/workgroup (compile time only)
; SGPRBlocks: 4
; VGPRBlocks: 6
; NumSGPRsForWavesPerEU: 37
; NumVGPRsForWavesPerEU: 52
; Occupancy: 16
; WaveLimiterHint : 1
; COMPUTE_PGM_RSRC2:SCRATCH_EN: 0
; COMPUTE_PGM_RSRC2:USER_SGPR: 15
; COMPUTE_PGM_RSRC2:TRAP_HANDLER: 0
; COMPUTE_PGM_RSRC2:TGID_X_EN: 1
; COMPUTE_PGM_RSRC2:TGID_Y_EN: 0
; COMPUTE_PGM_RSRC2:TGID_Z_EN: 0
; COMPUTE_PGM_RSRC2:TIDIG_COMP_CNT: 2
	.section	.text._Z16sort_keys_kernelI22helper_blocked_stripedN15benchmark_utils11custom_typeIiiEELj64ELj8ELj10EEvPKT0_PS4_,"axG",@progbits,_Z16sort_keys_kernelI22helper_blocked_stripedN15benchmark_utils11custom_typeIiiEELj64ELj8ELj10EEvPKT0_PS4_,comdat
	.protected	_Z16sort_keys_kernelI22helper_blocked_stripedN15benchmark_utils11custom_typeIiiEELj64ELj8ELj10EEvPKT0_PS4_ ; -- Begin function _Z16sort_keys_kernelI22helper_blocked_stripedN15benchmark_utils11custom_typeIiiEELj64ELj8ELj10EEvPKT0_PS4_
	.globl	_Z16sort_keys_kernelI22helper_blocked_stripedN15benchmark_utils11custom_typeIiiEELj64ELj8ELj10EEvPKT0_PS4_
	.p2align	8
	.type	_Z16sort_keys_kernelI22helper_blocked_stripedN15benchmark_utils11custom_typeIiiEELj64ELj8ELj10EEvPKT0_PS4_,@function
_Z16sort_keys_kernelI22helper_blocked_stripedN15benchmark_utils11custom_typeIiiEELj64ELj8ELj10EEvPKT0_PS4_: ; @_Z16sort_keys_kernelI22helper_blocked_stripedN15benchmark_utils11custom_typeIiiEELj64ELj8ELj10EEvPKT0_PS4_
; %bb.0:
	s_clause 0x1
	s_load_b128 s[16:19], s[0:1], 0x0
	s_load_b32 s2, s[0:1], 0x1c
	v_and_b32_e32 v17, 0x3ff, v0
	s_mov_b32 s21, 0
	s_lshl_b32 s20, s15, 9
	v_mbcnt_lo_u32_b32 v20, -1, 0
	s_lshl_b64 s[14:15], s[20:21], 3
	v_lshlrev_b32_e32 v18, 6, v17
	v_lshlrev_b32_e32 v32, 3, v17
	v_lshlrev_b32_e32 v33, 5, v17
	v_cmp_gt_u32_e64 s6, 2, v17
	v_cmp_lt_u32_e64 s7, 31, v17
	v_cmp_eq_u32_e64 s8, 0, v20
	v_cmp_eq_u32_e64 s9, 0, v17
	v_mad_i32_i24 v40, 0xffffffe4, v17, v33
	v_or_b32_e32 v36, 8, v33
	s_mov_b32 s20, s21
	s_mov_b32 s22, s21
	s_waitcnt lgkmcnt(0)
	s_add_u32 s0, s16, s14
	s_addc_u32 s1, s17, s15
	s_mov_b32 s16, s21
	s_clause 0x4
	global_load_b128 v[1:4], v18, s[0:1] offset:48
	global_load_b128 v[5:8], v18, s[0:1] offset:32
	;; [unrolled: 1-line block ×3, first 2 shown]
	global_load_b128 v[13:16], v18, s[0:1]
	global_load_b64 v[13:14], v18, s[0:1]
	v_bfe_u32 v18, v0, 10, 10
	v_bfe_u32 v0, v0, 20, 10
	s_lshr_b32 s0, s2, 16
	s_mov_b32 s17, s21
	s_delay_alu instid0(VALU_DEP_1)
	v_mad_u32_u24 v0, v0, s0, v18
	s_and_b32 s0, s2, 0xffff
	s_delay_alu instid0(VALU_DEP_1) | instid1(SALU_CYCLE_1)
	v_mad_u64_u32 v[18:19], null, v0, s0, v[17:18]
	v_and_or_b32 v0, 0x100, v32, v20
	v_and_b32_e32 v19, 15, v20
	s_delay_alu instid0(VALU_DEP_2) | instskip(NEXT) | instid1(VALU_DEP_4)
	v_lshlrev_b32_e32 v35, 3, v0
	v_lshrrev_b32_e32 v37, 5, v18
	v_add_nc_u32_e32 v18, -1, v20
	v_and_b32_e32 v0, 16, v20
	v_cmp_eq_u32_e64 s0, 0, v19
	v_cmp_lt_u32_e64 s1, 1, v19
	v_cmp_lt_u32_e64 s2, 3, v19
	v_cmp_gt_i32_e32 vcc_lo, 0, v18
	v_and_b32_e32 v21, 32, v17
	v_cmp_eq_u32_e64 s4, 0, v0
	v_cmp_lt_u32_e64 s3, 7, v19
	v_cndmask_b32_e32 v0, v18, v20, vcc_lo
	v_lshrrev_b32_e32 v18, 3, v17
	v_or_b32_e32 v22, v20, v21
	v_or_b32_e32 v21, 31, v21
	s_delay_alu instid0(VALU_DEP_4)
	v_lshlrev_b32_e32 v38, 2, v0
	v_and_b32_e32 v0, 1, v20
	v_and_b32_e32 v39, 4, v18
	v_lshlrev_b32_e32 v18, 2, v17
	v_lshlrev_b32_e32 v34, 6, v22
	v_cmp_eq_u32_e64 s5, v21, v17
	v_cmp_eq_u32_e64 s10, 0, v0
	v_add_nc_u32_e32 v41, -4, v39
	v_add_nc_u32_e32 v42, v40, v18
	s_branch .LBB342_2
.LBB342_1:                              ;   in Loop: Header=BB342_2 Depth=1
	s_barrier
	buffer_gl0_inv
	ds_store_b64 v43, v[16:17]
	ds_store_b64 v44, v[20:21]
	;; [unrolled: 1-line block ×8, first 2 shown]
	s_waitcnt lgkmcnt(0)
	s_barrier
	buffer_gl0_inv
	ds_load_2addr_stride64_b64 v[0:3], v42 offset1:1
	ds_load_2addr_stride64_b64 v[4:7], v42 offset0:2 offset1:3
	ds_load_2addr_stride64_b64 v[17:20], v42 offset0:4 offset1:5
	;; [unrolled: 1-line block ×3, first 2 shown]
	s_add_i32 s22, s22, 1
	s_delay_alu instid0(SALU_CYCLE_1)
	s_cmp_eq_u32 s22, 10
	s_waitcnt lgkmcnt(3)
	v_xor_b32_e32 v13, 0x80000000, v0
	v_xor_b32_e32 v14, 0x80000000, v1
	v_xor_b32_e32 v15, 0x80000000, v2
	v_xor_b32_e32 v16, 0x80000000, v3
	s_waitcnt lgkmcnt(2)
	v_xor_b32_e32 v9, 0x80000000, v4
	v_xor_b32_e32 v10, 0x80000000, v5
	v_xor_b32_e32 v11, 0x80000000, v6
	v_xor_b32_e32 v12, 0x80000000, v7
	;; [unrolled: 5-line block ×4, first 2 shown]
	s_cbranch_scc1 .LBB342_28
.LBB342_2:                              ; =>This Loop Header: Depth=1
                                        ;     Child Loop BB342_4 Depth 2
	s_waitcnt vmcnt(0)
	v_xor_b32_e32 v14, 0x80000000, v14
	v_xor_b32_e32 v13, 0x80000000, v13
	;; [unrolled: 1-line block ×16, first 2 shown]
	ds_store_2addr_b64 v34, v[13:14], v[15:16] offset1:1
	ds_store_2addr_b64 v34, v[9:10], v[11:12] offset0:2 offset1:3
	ds_store_2addr_b64 v34, v[5:6], v[7:8] offset0:4 offset1:5
	;; [unrolled: 1-line block ×3, first 2 shown]
	; wave barrier
	ds_load_2addr_b64 v[0:3], v35 offset1:32
	ds_load_2addr_b64 v[4:7], v35 offset0:64 offset1:96
	ds_load_2addr_b64 v[8:11], v35 offset0:128 offset1:160
	;; [unrolled: 1-line block ×3, first 2 shown]
	s_mov_b32 s23, 8
	s_mov_b32 s24, 32
	;; [unrolled: 1-line block ×3, first 2 shown]
	s_waitcnt lgkmcnt(0)
	s_barrier
	buffer_gl0_inv
	; wave barrier
	s_barrier
	s_branch .LBB342_4
.LBB342_3:                              ;   in Loop: Header=BB342_4 Depth=2
	s_barrier
	buffer_gl0_inv
	ds_store_b64 v43, v[16:17]
	ds_store_b64 v44, v[20:21]
	;; [unrolled: 1-line block ×8, first 2 shown]
	s_waitcnt lgkmcnt(0)
	s_barrier
	buffer_gl0_inv
	ds_load_2addr_b64 v[0:3], v35 offset1:32
	ds_load_2addr_b64 v[4:7], v35 offset0:64 offset1:96
	ds_load_2addr_b64 v[8:11], v35 offset0:128 offset1:160
	;; [unrolled: 1-line block ×3, first 2 shown]
	s_add_i32 s24, s24, -8
	s_add_i32 s23, s23, 8
	s_add_i32 s25, s25, 8
	s_waitcnt lgkmcnt(0)
	s_barrier
	s_cbranch_execz .LBB342_1
.LBB342_4:                              ;   Parent Loop BB342_2 Depth=1
                                        ; =>  This Inner Loop Header: Depth=2
	s_min_i32 s12, s23, 32
	s_cmp_lt_u32 s25, 32
	v_dual_mov_b32 v17, v1 :: v_dual_mov_b32 v16, v0
	s_cselect_b32 vcc_lo, -1, 0
	s_cmp_gt_u32 s25, 24
	buffer_gl0_inv
	s_cselect_b32 s11, -1, 0
	s_sub_i32 s12, s12, 32
	v_lshrrev_b32_e32 v1, s25, v17
	s_add_i32 s13, s12, s24
	v_mov_b32_e32 v27, v7
	s_lshl_b32 s13, -1, s13
	v_mov_b32_e32 v26, v6
	s_not_b32 s13, s13
	s_cmp_lg_u32 s12, s25
	v_mov_b32_e32 v31, v13
	s_cselect_b32 s26, s13, -1
	s_max_i32 s27, s24, 0
	s_max_i32 s12, s25, 32
	v_and_b32_e32 v1, s26, v1
	s_sub_i32 s13, s12, s27
	s_sub_i32 s28, s12, 32
	;; [unrolled: 1-line block ×3, first 2 shown]
	v_lshrrev_b32_e32 v0, s28, v16
	s_min_i32 s12, s13, 32
	v_cndmask_b32_e32 v1, 0, v1, vcc_lo
	s_sub_i32 s12, s12, s28
	v_mov_b32_e32 v30, v12
	s_lshl_b32 s13, -1, s12
	v_mov_b32_e32 v29, v15
	s_not_b32 s13, s13
	s_cmp_lg_u32 s12, 32
	v_mov_b32_e32 v28, v14
	s_cselect_b32 s29, s13, -1
	s_delay_alu instid0(SALU_CYCLE_1) | instskip(NEXT) | instid1(VALU_DEP_1)
	v_and_b32_e32 v0, s29, v0
	v_lshlrev_b32_e32 v0, s27, v0
	s_delay_alu instid0(VALU_DEP_1) | instskip(NEXT) | instid1(VALU_DEP_1)
	v_cndmask_b32_e64 v0, 0, v0, s11
	v_or_b32_e32 v43, v1, v0
	s_delay_alu instid0(VALU_DEP_1)
	v_and_b32_e32 v0, 1, v43
	v_lshlrev_b32_e32 v1, 30, v43
	v_lshlrev_b32_e32 v18, 29, v43
	;; [unrolled: 1-line block ×4, first 2 shown]
	v_add_co_u32 v0, s12, v0, -1
	s_delay_alu instid0(VALU_DEP_1)
	v_cndmask_b32_e64 v20, 0, 1, s12
	v_not_b32_e32 v24, v1
	v_cmp_gt_i32_e64 s13, 0, v1
	v_not_b32_e32 v1, v18
	v_lshlrev_b32_e32 v22, 26, v43
	v_cmp_ne_u32_e64 s12, 0, v20
	v_ashrrev_i32_e32 v24, 31, v24
	v_lshlrev_b32_e32 v23, 25, v43
	v_ashrrev_i32_e32 v1, 31, v1
	v_lshlrev_b32_e32 v20, 24, v43
	v_xor_b32_e32 v0, s12, v0
	v_xor_b32_e32 v24, s13, v24
	v_cmp_gt_i32_e64 s12, 0, v18
	v_not_b32_e32 v18, v19
	v_cmp_gt_i32_e64 s13, 0, v19
	v_and_b32_e32 v0, exec_lo, v0
	s_delay_alu instid0(VALU_DEP_4) | instskip(NEXT) | instid1(VALU_DEP_4)
	v_xor_b32_e32 v1, s12, v1
	v_ashrrev_i32_e32 v18, 31, v18
	s_delay_alu instid0(VALU_DEP_3)
	v_dual_mov_b32 v25, v9 :: v_dual_and_b32 v0, v0, v24
	v_mov_b32_e32 v24, v8
	v_not_b32_e32 v19, v21
	v_cmp_gt_i32_e64 s12, 0, v21
	v_not_b32_e32 v21, v22
	v_xor_b32_e32 v18, s13, v18
	v_and_b32_e32 v0, v0, v1
	v_ashrrev_i32_e32 v19, 31, v19
	v_cmp_gt_i32_e64 s13, 0, v22
	v_not_b32_e32 v1, v23
	v_ashrrev_i32_e32 v21, 31, v21
	v_and_b32_e32 v0, v0, v18
	v_xor_b32_e32 v19, s12, v19
	v_cmp_gt_i32_e64 s12, 0, v23
	v_not_b32_e32 v18, v20
	v_ashrrev_i32_e32 v1, 31, v1
	v_xor_b32_e32 v21, s13, v21
	v_and_b32_e32 v0, v0, v19
	v_cmp_gt_i32_e64 s13, 0, v20
	v_ashrrev_i32_e32 v22, 31, v18
	v_xor_b32_e32 v1, s12, v1
	s_delay_alu instid0(VALU_DEP_4) | instskip(SKIP_1) | instid1(VALU_DEP_4)
	v_dual_mov_b32 v19, v5 :: v_dual_and_b32 v0, v0, v21
	v_dual_mov_b32 v21, v3 :: v_dual_mov_b32 v20, v2
	v_xor_b32_e32 v3, s13, v22
	v_mov_b32_e32 v18, v4
	s_delay_alu instid0(VALU_DEP_4) | instskip(SKIP_2) | instid1(VALU_DEP_3)
	v_dual_mov_b32 v1, s20 :: v_dual_and_b32 v0, v0, v1
	v_dual_mov_b32 v2, s21 :: v_dual_mov_b32 v23, v11
	v_mov_b32_e32 v22, v10
	v_dual_mov_b32 v3, s16 :: v_dual_and_b32 v0, v0, v3
	v_mov_b32_e32 v4, s17
	ds_store_2addr_b64 v33, v[1:2], v[3:4] offset0:1 offset1:2
	ds_store_2addr_b64 v36, v[1:2], v[3:4] offset0:2 offset1:3
	v_mbcnt_lo_u32_b32 v9, v0, 0
	v_lshl_add_u32 v1, v43, 1, v37
	v_cmp_ne_u32_e64 s13, 0, v0
	s_waitcnt lgkmcnt(0)
	s_barrier
	v_cmp_eq_u32_e64 s12, 0, v9
	v_lshl_add_u32 v8, v1, 2, 8
	buffer_gl0_inv
	; wave barrier
	s_and_b32 s13, s12, s13
	s_delay_alu instid0(SALU_CYCLE_1)
	s_and_saveexec_b32 s12, s13
	s_cbranch_execz .LBB342_6
; %bb.5:                                ;   in Loop: Header=BB342_4 Depth=2
	v_bcnt_u32_b32 v0, v0, 0
	ds_store_b32 v8, v0
.LBB342_6:                              ;   in Loop: Header=BB342_4 Depth=2
	s_or_b32 exec_lo, exec_lo, s12
	v_lshrrev_b32_e32 v0, s28, v20
	v_lshrrev_b32_e32 v1, s25, v21
	; wave barrier
	s_delay_alu instid0(VALU_DEP_1) | instskip(NEXT) | instid1(VALU_DEP_1)
	v_and_b32_e32 v1, s26, v1
	v_dual_cndmask_b32 v1, 0, v1 :: v_dual_and_b32 v0, s29, v0
	s_delay_alu instid0(VALU_DEP_1) | instskip(NEXT) | instid1(VALU_DEP_1)
	v_lshlrev_b32_e32 v0, s27, v0
	v_cndmask_b32_e64 v0, 0, v0, s11
	s_delay_alu instid0(VALU_DEP_1) | instskip(NEXT) | instid1(VALU_DEP_1)
	v_or_b32_e32 v0, v1, v0
	v_and_b32_e32 v1, 1, v0
	v_lshlrev_b32_e32 v2, 30, v0
	v_lshlrev_b32_e32 v3, 29, v0
	;; [unrolled: 1-line block ×4, first 2 shown]
	v_add_co_u32 v1, s12, v1, -1
	s_delay_alu instid0(VALU_DEP_1)
	v_cndmask_b32_e64 v5, 0, 1, s12
	v_not_b32_e32 v11, v2
	v_cmp_gt_i32_e64 s13, 0, v2
	v_not_b32_e32 v2, v3
	v_lshlrev_b32_e32 v7, 26, v0
	v_cmp_ne_u32_e64 s12, 0, v5
	v_ashrrev_i32_e32 v11, 31, v11
	v_lshlrev_b32_e32 v10, 25, v0
	v_ashrrev_i32_e32 v2, 31, v2
	v_lshlrev_b32_e32 v5, 24, v0
	v_xor_b32_e32 v1, s12, v1
	v_cmp_gt_i32_e64 s12, 0, v3
	v_not_b32_e32 v3, v4
	v_xor_b32_e32 v11, s13, v11
	v_cmp_gt_i32_e64 s13, 0, v4
	v_and_b32_e32 v1, exec_lo, v1
	v_not_b32_e32 v4, v6
	v_ashrrev_i32_e32 v3, 31, v3
	v_xor_b32_e32 v2, s12, v2
	v_cmp_gt_i32_e64 s12, 0, v6
	v_and_b32_e32 v1, v1, v11
	v_not_b32_e32 v6, v7
	v_ashrrev_i32_e32 v4, 31, v4
	v_xor_b32_e32 v3, s13, v3
	v_cmp_gt_i32_e64 s13, 0, v7
	v_and_b32_e32 v1, v1, v2
	;; [unrolled: 5-line block ×3, first 2 shown]
	v_not_b32_e32 v3, v5
	v_ashrrev_i32_e32 v2, 31, v2
	v_xor_b32_e32 v6, s13, v6
	v_lshlrev_b32_e32 v0, 1, v0
	v_and_b32_e32 v1, v1, v4
	v_cmp_gt_i32_e64 s13, 0, v5
	v_ashrrev_i32_e32 v3, 31, v3
	v_xor_b32_e32 v2, s12, v2
	v_add_lshl_u32 v4, v0, v37, 2
	v_and_b32_e32 v1, v1, v6
	s_delay_alu instid0(VALU_DEP_4) | instskip(SKIP_3) | instid1(VALU_DEP_2)
	v_xor_b32_e32 v0, s13, v3
	ds_load_b32 v10, v4 offset:8
	v_and_b32_e32 v1, v1, v2
	v_add_nc_u32_e32 v11, 8, v4
	; wave barrier
	v_and_b32_e32 v0, v1, v0
	s_delay_alu instid0(VALU_DEP_1) | instskip(SKIP_1) | instid1(VALU_DEP_2)
	v_mbcnt_lo_u32_b32 v12, v0, 0
	v_cmp_ne_u32_e64 s13, 0, v0
	v_cmp_eq_u32_e64 s12, 0, v12
	s_delay_alu instid0(VALU_DEP_1) | instskip(NEXT) | instid1(SALU_CYCLE_1)
	s_and_b32 s13, s12, s13
	s_and_saveexec_b32 s12, s13
	s_cbranch_execz .LBB342_8
; %bb.7:                                ;   in Loop: Header=BB342_4 Depth=2
	s_waitcnt lgkmcnt(0)
	v_bcnt_u32_b32 v0, v0, v10
	ds_store_b32 v11, v0
.LBB342_8:                              ;   in Loop: Header=BB342_4 Depth=2
	s_or_b32 exec_lo, exec_lo, s12
	v_lshrrev_b32_e32 v0, s28, v18
	v_lshrrev_b32_e32 v1, s25, v19
	; wave barrier
	s_delay_alu instid0(VALU_DEP_1) | instskip(NEXT) | instid1(VALU_DEP_1)
	v_and_b32_e32 v1, s26, v1
	v_dual_cndmask_b32 v1, 0, v1 :: v_dual_and_b32 v0, s29, v0
	s_delay_alu instid0(VALU_DEP_1) | instskip(NEXT) | instid1(VALU_DEP_1)
	v_lshlrev_b32_e32 v0, s27, v0
	v_cndmask_b32_e64 v0, 0, v0, s11
	s_delay_alu instid0(VALU_DEP_1) | instskip(NEXT) | instid1(VALU_DEP_1)
	v_or_b32_e32 v0, v1, v0
	v_and_b32_e32 v1, 1, v0
	v_lshlrev_b32_e32 v2, 30, v0
	v_lshlrev_b32_e32 v3, 29, v0
	;; [unrolled: 1-line block ×4, first 2 shown]
	v_add_co_u32 v1, s12, v1, -1
	s_delay_alu instid0(VALU_DEP_1)
	v_cndmask_b32_e64 v5, 0, 1, s12
	v_not_b32_e32 v14, v2
	v_cmp_gt_i32_e64 s13, 0, v2
	v_not_b32_e32 v2, v3
	v_lshlrev_b32_e32 v7, 26, v0
	v_cmp_ne_u32_e64 s12, 0, v5
	v_ashrrev_i32_e32 v14, 31, v14
	v_lshlrev_b32_e32 v13, 25, v0
	v_ashrrev_i32_e32 v2, 31, v2
	v_lshlrev_b32_e32 v5, 24, v0
	v_xor_b32_e32 v1, s12, v1
	v_cmp_gt_i32_e64 s12, 0, v3
	v_not_b32_e32 v3, v4
	v_xor_b32_e32 v14, s13, v14
	v_cmp_gt_i32_e64 s13, 0, v4
	v_and_b32_e32 v1, exec_lo, v1
	v_not_b32_e32 v4, v6
	v_ashrrev_i32_e32 v3, 31, v3
	v_xor_b32_e32 v2, s12, v2
	v_cmp_gt_i32_e64 s12, 0, v6
	v_and_b32_e32 v1, v1, v14
	v_not_b32_e32 v6, v7
	v_ashrrev_i32_e32 v4, 31, v4
	v_xor_b32_e32 v3, s13, v3
	v_cmp_gt_i32_e64 s13, 0, v7
	v_and_b32_e32 v1, v1, v2
	;; [unrolled: 5-line block ×3, first 2 shown]
	v_not_b32_e32 v3, v5
	v_ashrrev_i32_e32 v2, 31, v2
	v_xor_b32_e32 v6, s13, v6
	v_lshlrev_b32_e32 v0, 1, v0
	v_and_b32_e32 v1, v1, v4
	v_cmp_gt_i32_e64 s13, 0, v5
	v_ashrrev_i32_e32 v3, 31, v3
	v_xor_b32_e32 v2, s12, v2
	v_add_lshl_u32 v4, v0, v37, 2
	v_and_b32_e32 v1, v1, v6
	s_delay_alu instid0(VALU_DEP_4) | instskip(SKIP_3) | instid1(VALU_DEP_2)
	v_xor_b32_e32 v0, s13, v3
	ds_load_b32 v13, v4 offset:8
	v_and_b32_e32 v1, v1, v2
	v_add_nc_u32_e32 v15, 8, v4
	; wave barrier
	v_and_b32_e32 v0, v1, v0
	s_delay_alu instid0(VALU_DEP_1) | instskip(SKIP_1) | instid1(VALU_DEP_2)
	v_mbcnt_lo_u32_b32 v14, v0, 0
	v_cmp_ne_u32_e64 s13, 0, v0
	v_cmp_eq_u32_e64 s12, 0, v14
	s_delay_alu instid0(VALU_DEP_1) | instskip(NEXT) | instid1(SALU_CYCLE_1)
	s_and_b32 s13, s12, s13
	s_and_saveexec_b32 s12, s13
	s_cbranch_execz .LBB342_10
; %bb.9:                                ;   in Loop: Header=BB342_4 Depth=2
	s_waitcnt lgkmcnt(0)
	v_bcnt_u32_b32 v0, v0, v13
	ds_store_b32 v15, v0
.LBB342_10:                             ;   in Loop: Header=BB342_4 Depth=2
	s_or_b32 exec_lo, exec_lo, s12
	v_lshrrev_b32_e32 v0, s28, v26
	v_lshrrev_b32_e32 v1, s25, v27
	; wave barrier
	s_delay_alu instid0(VALU_DEP_1) | instskip(NEXT) | instid1(VALU_DEP_1)
	v_and_b32_e32 v1, s26, v1
	v_dual_cndmask_b32 v1, 0, v1 :: v_dual_and_b32 v0, s29, v0
	s_delay_alu instid0(VALU_DEP_1) | instskip(NEXT) | instid1(VALU_DEP_1)
	v_lshlrev_b32_e32 v0, s27, v0
	v_cndmask_b32_e64 v0, 0, v0, s11
	s_delay_alu instid0(VALU_DEP_1) | instskip(NEXT) | instid1(VALU_DEP_1)
	v_or_b32_e32 v0, v1, v0
	v_and_b32_e32 v1, 1, v0
	v_lshlrev_b32_e32 v2, 30, v0
	v_lshlrev_b32_e32 v3, 29, v0
	;; [unrolled: 1-line block ×4, first 2 shown]
	v_add_co_u32 v1, s12, v1, -1
	s_delay_alu instid0(VALU_DEP_1)
	v_cndmask_b32_e64 v5, 0, 1, s12
	v_not_b32_e32 v44, v2
	v_cmp_gt_i32_e64 s13, 0, v2
	v_not_b32_e32 v2, v3
	v_lshlrev_b32_e32 v7, 26, v0
	v_cmp_ne_u32_e64 s12, 0, v5
	v_ashrrev_i32_e32 v44, 31, v44
	v_lshlrev_b32_e32 v43, 25, v0
	v_ashrrev_i32_e32 v2, 31, v2
	v_lshlrev_b32_e32 v5, 24, v0
	v_xor_b32_e32 v1, s12, v1
	v_cmp_gt_i32_e64 s12, 0, v3
	v_not_b32_e32 v3, v4
	v_xor_b32_e32 v44, s13, v44
	v_cmp_gt_i32_e64 s13, 0, v4
	v_and_b32_e32 v1, exec_lo, v1
	v_not_b32_e32 v4, v6
	v_ashrrev_i32_e32 v3, 31, v3
	v_xor_b32_e32 v2, s12, v2
	v_cmp_gt_i32_e64 s12, 0, v6
	v_and_b32_e32 v1, v1, v44
	v_not_b32_e32 v6, v7
	v_ashrrev_i32_e32 v4, 31, v4
	v_xor_b32_e32 v3, s13, v3
	v_cmp_gt_i32_e64 s13, 0, v7
	v_and_b32_e32 v1, v1, v2
	;; [unrolled: 5-line block ×3, first 2 shown]
	v_not_b32_e32 v3, v5
	v_ashrrev_i32_e32 v2, 31, v2
	v_xor_b32_e32 v6, s13, v6
	v_lshlrev_b32_e32 v0, 1, v0
	v_and_b32_e32 v1, v1, v4
	v_cmp_gt_i32_e64 s13, 0, v5
	v_ashrrev_i32_e32 v3, 31, v3
	v_xor_b32_e32 v2, s12, v2
	v_add_lshl_u32 v4, v0, v37, 2
	v_and_b32_e32 v1, v1, v6
	s_delay_alu instid0(VALU_DEP_4) | instskip(SKIP_3) | instid1(VALU_DEP_2)
	v_xor_b32_e32 v0, s13, v3
	ds_load_b32 v43, v4 offset:8
	v_and_b32_e32 v1, v1, v2
	v_add_nc_u32_e32 v45, 8, v4
	; wave barrier
	v_and_b32_e32 v0, v1, v0
	s_delay_alu instid0(VALU_DEP_1) | instskip(SKIP_1) | instid1(VALU_DEP_2)
	v_mbcnt_lo_u32_b32 v44, v0, 0
	v_cmp_ne_u32_e64 s13, 0, v0
	v_cmp_eq_u32_e64 s12, 0, v44
	s_delay_alu instid0(VALU_DEP_1) | instskip(NEXT) | instid1(SALU_CYCLE_1)
	s_and_b32 s13, s12, s13
	s_and_saveexec_b32 s12, s13
	s_cbranch_execz .LBB342_12
; %bb.11:                               ;   in Loop: Header=BB342_4 Depth=2
	s_waitcnt lgkmcnt(0)
	v_bcnt_u32_b32 v0, v0, v43
	ds_store_b32 v45, v0
.LBB342_12:                             ;   in Loop: Header=BB342_4 Depth=2
	s_or_b32 exec_lo, exec_lo, s12
	v_lshrrev_b32_e32 v0, s28, v24
	v_lshrrev_b32_e32 v1, s25, v25
	; wave barrier
	s_delay_alu instid0(VALU_DEP_1) | instskip(NEXT) | instid1(VALU_DEP_1)
	v_and_b32_e32 v1, s26, v1
	v_dual_cndmask_b32 v1, 0, v1 :: v_dual_and_b32 v0, s29, v0
	s_delay_alu instid0(VALU_DEP_1) | instskip(NEXT) | instid1(VALU_DEP_1)
	v_lshlrev_b32_e32 v0, s27, v0
	v_cndmask_b32_e64 v0, 0, v0, s11
	s_delay_alu instid0(VALU_DEP_1) | instskip(NEXT) | instid1(VALU_DEP_1)
	v_or_b32_e32 v0, v1, v0
	v_and_b32_e32 v1, 1, v0
	v_lshlrev_b32_e32 v2, 30, v0
	v_lshlrev_b32_e32 v3, 29, v0
	;; [unrolled: 1-line block ×4, first 2 shown]
	v_add_co_u32 v1, s12, v1, -1
	s_delay_alu instid0(VALU_DEP_1)
	v_cndmask_b32_e64 v5, 0, 1, s12
	v_not_b32_e32 v47, v2
	v_cmp_gt_i32_e64 s13, 0, v2
	v_not_b32_e32 v2, v3
	v_lshlrev_b32_e32 v7, 26, v0
	v_cmp_ne_u32_e64 s12, 0, v5
	v_ashrrev_i32_e32 v47, 31, v47
	v_lshlrev_b32_e32 v46, 25, v0
	v_ashrrev_i32_e32 v2, 31, v2
	v_lshlrev_b32_e32 v5, 24, v0
	v_xor_b32_e32 v1, s12, v1
	v_cmp_gt_i32_e64 s12, 0, v3
	v_not_b32_e32 v3, v4
	v_xor_b32_e32 v47, s13, v47
	v_cmp_gt_i32_e64 s13, 0, v4
	v_and_b32_e32 v1, exec_lo, v1
	v_not_b32_e32 v4, v6
	v_ashrrev_i32_e32 v3, 31, v3
	v_xor_b32_e32 v2, s12, v2
	v_cmp_gt_i32_e64 s12, 0, v6
	v_and_b32_e32 v1, v1, v47
	v_not_b32_e32 v6, v7
	v_ashrrev_i32_e32 v4, 31, v4
	v_xor_b32_e32 v3, s13, v3
	v_cmp_gt_i32_e64 s13, 0, v7
	v_and_b32_e32 v1, v1, v2
	;; [unrolled: 5-line block ×3, first 2 shown]
	v_not_b32_e32 v3, v5
	v_ashrrev_i32_e32 v2, 31, v2
	v_xor_b32_e32 v6, s13, v6
	v_lshlrev_b32_e32 v0, 1, v0
	v_and_b32_e32 v1, v1, v4
	v_cmp_gt_i32_e64 s13, 0, v5
	v_ashrrev_i32_e32 v3, 31, v3
	v_xor_b32_e32 v2, s12, v2
	v_add_lshl_u32 v4, v0, v37, 2
	v_and_b32_e32 v1, v1, v6
	s_delay_alu instid0(VALU_DEP_4) | instskip(SKIP_3) | instid1(VALU_DEP_2)
	v_xor_b32_e32 v0, s13, v3
	ds_load_b32 v46, v4 offset:8
	v_and_b32_e32 v1, v1, v2
	v_add_nc_u32_e32 v48, 8, v4
	; wave barrier
	v_and_b32_e32 v0, v1, v0
	s_delay_alu instid0(VALU_DEP_1) | instskip(SKIP_1) | instid1(VALU_DEP_2)
	v_mbcnt_lo_u32_b32 v47, v0, 0
	v_cmp_ne_u32_e64 s13, 0, v0
	v_cmp_eq_u32_e64 s12, 0, v47
	s_delay_alu instid0(VALU_DEP_1) | instskip(NEXT) | instid1(SALU_CYCLE_1)
	s_and_b32 s13, s12, s13
	s_and_saveexec_b32 s12, s13
	s_cbranch_execz .LBB342_14
; %bb.13:                               ;   in Loop: Header=BB342_4 Depth=2
	s_waitcnt lgkmcnt(0)
	v_bcnt_u32_b32 v0, v0, v46
	ds_store_b32 v48, v0
.LBB342_14:                             ;   in Loop: Header=BB342_4 Depth=2
	s_or_b32 exec_lo, exec_lo, s12
	v_lshrrev_b32_e32 v0, s28, v22
	v_lshrrev_b32_e32 v1, s25, v23
	; wave barrier
	s_delay_alu instid0(VALU_DEP_1) | instskip(NEXT) | instid1(VALU_DEP_1)
	v_and_b32_e32 v1, s26, v1
	v_dual_cndmask_b32 v1, 0, v1 :: v_dual_and_b32 v0, s29, v0
	s_delay_alu instid0(VALU_DEP_1) | instskip(NEXT) | instid1(VALU_DEP_1)
	v_lshlrev_b32_e32 v0, s27, v0
	v_cndmask_b32_e64 v0, 0, v0, s11
	s_delay_alu instid0(VALU_DEP_1) | instskip(NEXT) | instid1(VALU_DEP_1)
	v_or_b32_e32 v0, v1, v0
	v_and_b32_e32 v1, 1, v0
	v_lshlrev_b32_e32 v2, 30, v0
	v_lshlrev_b32_e32 v3, 29, v0
	;; [unrolled: 1-line block ×4, first 2 shown]
	v_add_co_u32 v1, s12, v1, -1
	s_delay_alu instid0(VALU_DEP_1)
	v_cndmask_b32_e64 v5, 0, 1, s12
	v_not_b32_e32 v50, v2
	v_cmp_gt_i32_e64 s13, 0, v2
	v_not_b32_e32 v2, v3
	v_lshlrev_b32_e32 v7, 26, v0
	v_cmp_ne_u32_e64 s12, 0, v5
	v_ashrrev_i32_e32 v50, 31, v50
	v_lshlrev_b32_e32 v49, 25, v0
	v_ashrrev_i32_e32 v2, 31, v2
	v_lshlrev_b32_e32 v5, 24, v0
	v_xor_b32_e32 v1, s12, v1
	v_cmp_gt_i32_e64 s12, 0, v3
	v_not_b32_e32 v3, v4
	v_xor_b32_e32 v50, s13, v50
	v_cmp_gt_i32_e64 s13, 0, v4
	v_and_b32_e32 v1, exec_lo, v1
	v_not_b32_e32 v4, v6
	v_ashrrev_i32_e32 v3, 31, v3
	v_xor_b32_e32 v2, s12, v2
	v_cmp_gt_i32_e64 s12, 0, v6
	v_and_b32_e32 v1, v1, v50
	v_not_b32_e32 v6, v7
	v_ashrrev_i32_e32 v4, 31, v4
	v_xor_b32_e32 v3, s13, v3
	v_cmp_gt_i32_e64 s13, 0, v7
	v_and_b32_e32 v1, v1, v2
	;; [unrolled: 5-line block ×3, first 2 shown]
	v_not_b32_e32 v3, v5
	v_ashrrev_i32_e32 v2, 31, v2
	v_xor_b32_e32 v6, s13, v6
	v_lshlrev_b32_e32 v0, 1, v0
	v_and_b32_e32 v1, v1, v4
	v_cmp_gt_i32_e64 s13, 0, v5
	v_ashrrev_i32_e32 v3, 31, v3
	v_xor_b32_e32 v2, s12, v2
	v_add_lshl_u32 v4, v0, v37, 2
	v_and_b32_e32 v1, v1, v6
	s_delay_alu instid0(VALU_DEP_4) | instskip(SKIP_3) | instid1(VALU_DEP_2)
	v_xor_b32_e32 v0, s13, v3
	ds_load_b32 v49, v4 offset:8
	v_and_b32_e32 v1, v1, v2
	v_add_nc_u32_e32 v51, 8, v4
	; wave barrier
	v_and_b32_e32 v0, v1, v0
	s_delay_alu instid0(VALU_DEP_1) | instskip(SKIP_1) | instid1(VALU_DEP_2)
	v_mbcnt_lo_u32_b32 v50, v0, 0
	v_cmp_ne_u32_e64 s13, 0, v0
	v_cmp_eq_u32_e64 s12, 0, v50
	s_delay_alu instid0(VALU_DEP_1) | instskip(NEXT) | instid1(SALU_CYCLE_1)
	s_and_b32 s13, s12, s13
	s_and_saveexec_b32 s12, s13
	s_cbranch_execz .LBB342_16
; %bb.15:                               ;   in Loop: Header=BB342_4 Depth=2
	s_waitcnt lgkmcnt(0)
	v_bcnt_u32_b32 v0, v0, v49
	ds_store_b32 v51, v0
.LBB342_16:                             ;   in Loop: Header=BB342_4 Depth=2
	s_or_b32 exec_lo, exec_lo, s12
	v_lshrrev_b32_e32 v0, s28, v30
	v_lshrrev_b32_e32 v1, s25, v31
	; wave barrier
	s_delay_alu instid0(VALU_DEP_1) | instskip(NEXT) | instid1(VALU_DEP_1)
	v_and_b32_e32 v1, s26, v1
	v_dual_cndmask_b32 v1, 0, v1 :: v_dual_and_b32 v0, s29, v0
	s_delay_alu instid0(VALU_DEP_1) | instskip(NEXT) | instid1(VALU_DEP_1)
	v_lshlrev_b32_e32 v0, s27, v0
	v_cndmask_b32_e64 v0, 0, v0, s11
	s_delay_alu instid0(VALU_DEP_1) | instskip(NEXT) | instid1(VALU_DEP_1)
	v_or_b32_e32 v0, v1, v0
	v_and_b32_e32 v1, 1, v0
	v_lshlrev_b32_e32 v2, 30, v0
	v_lshlrev_b32_e32 v3, 29, v0
	;; [unrolled: 1-line block ×4, first 2 shown]
	v_add_co_u32 v1, s12, v1, -1
	s_delay_alu instid0(VALU_DEP_1)
	v_cndmask_b32_e64 v5, 0, 1, s12
	v_not_b32_e32 v53, v2
	v_cmp_gt_i32_e64 s13, 0, v2
	v_not_b32_e32 v2, v3
	v_lshlrev_b32_e32 v7, 26, v0
	v_cmp_ne_u32_e64 s12, 0, v5
	v_ashrrev_i32_e32 v53, 31, v53
	v_lshlrev_b32_e32 v52, 25, v0
	v_ashrrev_i32_e32 v2, 31, v2
	v_lshlrev_b32_e32 v5, 24, v0
	v_xor_b32_e32 v1, s12, v1
	v_cmp_gt_i32_e64 s12, 0, v3
	v_not_b32_e32 v3, v4
	v_xor_b32_e32 v53, s13, v53
	v_cmp_gt_i32_e64 s13, 0, v4
	v_and_b32_e32 v1, exec_lo, v1
	v_not_b32_e32 v4, v6
	v_ashrrev_i32_e32 v3, 31, v3
	v_xor_b32_e32 v2, s12, v2
	v_cmp_gt_i32_e64 s12, 0, v6
	v_and_b32_e32 v1, v1, v53
	v_not_b32_e32 v6, v7
	v_ashrrev_i32_e32 v4, 31, v4
	v_xor_b32_e32 v3, s13, v3
	v_cmp_gt_i32_e64 s13, 0, v7
	v_and_b32_e32 v1, v1, v2
	;; [unrolled: 5-line block ×3, first 2 shown]
	v_not_b32_e32 v3, v5
	v_ashrrev_i32_e32 v2, 31, v2
	v_xor_b32_e32 v6, s13, v6
	v_lshlrev_b32_e32 v0, 1, v0
	v_and_b32_e32 v1, v1, v4
	v_cmp_gt_i32_e64 s13, 0, v5
	v_ashrrev_i32_e32 v3, 31, v3
	v_xor_b32_e32 v2, s12, v2
	v_add_lshl_u32 v4, v0, v37, 2
	v_and_b32_e32 v1, v1, v6
	s_delay_alu instid0(VALU_DEP_4) | instskip(SKIP_3) | instid1(VALU_DEP_2)
	v_xor_b32_e32 v0, s13, v3
	ds_load_b32 v52, v4 offset:8
	v_and_b32_e32 v1, v1, v2
	v_add_nc_u32_e32 v54, 8, v4
	; wave barrier
	v_and_b32_e32 v0, v1, v0
	s_delay_alu instid0(VALU_DEP_1) | instskip(SKIP_1) | instid1(VALU_DEP_2)
	v_mbcnt_lo_u32_b32 v53, v0, 0
	v_cmp_ne_u32_e64 s13, 0, v0
	v_cmp_eq_u32_e64 s12, 0, v53
	s_delay_alu instid0(VALU_DEP_1) | instskip(NEXT) | instid1(SALU_CYCLE_1)
	s_and_b32 s13, s12, s13
	s_and_saveexec_b32 s12, s13
	s_cbranch_execz .LBB342_18
; %bb.17:                               ;   in Loop: Header=BB342_4 Depth=2
	s_waitcnt lgkmcnt(0)
	v_bcnt_u32_b32 v0, v0, v52
	ds_store_b32 v54, v0
.LBB342_18:                             ;   in Loop: Header=BB342_4 Depth=2
	s_or_b32 exec_lo, exec_lo, s12
	v_lshrrev_b32_e32 v0, s28, v28
	v_lshrrev_b32_e32 v1, s25, v29
	; wave barrier
	s_delay_alu instid0(VALU_DEP_1) | instskip(NEXT) | instid1(VALU_DEP_1)
	v_and_b32_e32 v1, s26, v1
	v_dual_cndmask_b32 v1, 0, v1 :: v_dual_and_b32 v0, s29, v0
	s_delay_alu instid0(VALU_DEP_1) | instskip(NEXT) | instid1(VALU_DEP_1)
	v_lshlrev_b32_e32 v0, s27, v0
	v_cndmask_b32_e64 v0, 0, v0, s11
	s_delay_alu instid0(VALU_DEP_1) | instskip(NEXT) | instid1(VALU_DEP_1)
	v_or_b32_e32 v0, v1, v0
	v_and_b32_e32 v1, 1, v0
	v_lshlrev_b32_e32 v2, 30, v0
	v_lshlrev_b32_e32 v3, 29, v0
	;; [unrolled: 1-line block ×4, first 2 shown]
	v_add_co_u32 v1, s11, v1, -1
	s_delay_alu instid0(VALU_DEP_1)
	v_cndmask_b32_e64 v5, 0, 1, s11
	v_not_b32_e32 v56, v2
	v_cmp_gt_i32_e64 s11, 0, v2
	v_not_b32_e32 v2, v3
	v_lshlrev_b32_e32 v7, 26, v0
	v_cmp_ne_u32_e32 vcc_lo, 0, v5
	v_ashrrev_i32_e32 v56, 31, v56
	v_lshlrev_b32_e32 v55, 25, v0
	v_ashrrev_i32_e32 v2, 31, v2
	v_lshlrev_b32_e32 v5, 24, v0
	v_xor_b32_e32 v1, vcc_lo, v1
	v_cmp_gt_i32_e32 vcc_lo, 0, v3
	v_not_b32_e32 v3, v4
	v_xor_b32_e32 v56, s11, v56
	v_cmp_gt_i32_e64 s11, 0, v4
	v_and_b32_e32 v1, exec_lo, v1
	v_not_b32_e32 v4, v6
	v_ashrrev_i32_e32 v3, 31, v3
	v_xor_b32_e32 v2, vcc_lo, v2
	v_cmp_gt_i32_e32 vcc_lo, 0, v6
	v_and_b32_e32 v1, v1, v56
	v_not_b32_e32 v6, v7
	v_ashrrev_i32_e32 v4, 31, v4
	v_xor_b32_e32 v3, s11, v3
	v_cmp_gt_i32_e64 s11, 0, v7
	v_and_b32_e32 v1, v1, v2
	v_not_b32_e32 v2, v55
	v_ashrrev_i32_e32 v6, 31, v6
	v_xor_b32_e32 v4, vcc_lo, v4
	v_cmp_gt_i32_e32 vcc_lo, 0, v55
	v_and_b32_e32 v1, v1, v3
	v_not_b32_e32 v3, v5
	v_ashrrev_i32_e32 v2, 31, v2
	v_xor_b32_e32 v6, s11, v6
	v_lshlrev_b32_e32 v0, 1, v0
	v_and_b32_e32 v1, v1, v4
	v_cmp_gt_i32_e64 s11, 0, v5
	v_ashrrev_i32_e32 v3, 31, v3
	v_xor_b32_e32 v2, vcc_lo, v2
	v_add_lshl_u32 v4, v0, v37, 2
	v_and_b32_e32 v1, v1, v6
	s_delay_alu instid0(VALU_DEP_4) | instskip(SKIP_3) | instid1(VALU_DEP_2)
	v_xor_b32_e32 v0, s11, v3
	ds_load_b32 v55, v4 offset:8
	v_and_b32_e32 v1, v1, v2
	v_add_nc_u32_e32 v57, 8, v4
	; wave barrier
	v_and_b32_e32 v0, v1, v0
	s_delay_alu instid0(VALU_DEP_1) | instskip(SKIP_1) | instid1(VALU_DEP_2)
	v_mbcnt_lo_u32_b32 v56, v0, 0
	v_cmp_ne_u32_e64 s11, 0, v0
	v_cmp_eq_u32_e32 vcc_lo, 0, v56
	s_delay_alu instid0(VALU_DEP_2) | instskip(NEXT) | instid1(SALU_CYCLE_1)
	s_and_b32 s12, vcc_lo, s11
	s_and_saveexec_b32 s11, s12
	s_cbranch_execz .LBB342_20
; %bb.19:                               ;   in Loop: Header=BB342_4 Depth=2
	s_waitcnt lgkmcnt(0)
	v_bcnt_u32_b32 v0, v0, v55
	ds_store_b32 v57, v0
.LBB342_20:                             ;   in Loop: Header=BB342_4 Depth=2
	s_or_b32 exec_lo, exec_lo, s11
	; wave barrier
	s_waitcnt lgkmcnt(0)
	s_barrier
	buffer_gl0_inv
	ds_load_2addr_b64 v[4:7], v33 offset0:1 offset1:2
	ds_load_2addr_b64 v[0:3], v36 offset0:2 offset1:3
	s_waitcnt lgkmcnt(1)
	v_add_nc_u32_e32 v58, v5, v4
	s_delay_alu instid0(VALU_DEP_1) | instskip(SKIP_1) | instid1(VALU_DEP_1)
	v_add3_u32 v58, v58, v6, v7
	s_waitcnt lgkmcnt(0)
	v_add3_u32 v58, v58, v0, v1
	s_delay_alu instid0(VALU_DEP_1) | instskip(NEXT) | instid1(VALU_DEP_1)
	v_add3_u32 v3, v58, v2, v3
	v_mov_b32_dpp v58, v3 row_shr:1 row_mask:0xf bank_mask:0xf
	s_delay_alu instid0(VALU_DEP_1) | instskip(NEXT) | instid1(VALU_DEP_1)
	v_cndmask_b32_e64 v58, v58, 0, s0
	v_add_nc_u32_e32 v3, v58, v3
	s_delay_alu instid0(VALU_DEP_1) | instskip(NEXT) | instid1(VALU_DEP_1)
	v_mov_b32_dpp v58, v3 row_shr:2 row_mask:0xf bank_mask:0xf
	v_cndmask_b32_e64 v58, 0, v58, s1
	s_delay_alu instid0(VALU_DEP_1) | instskip(NEXT) | instid1(VALU_DEP_1)
	v_add_nc_u32_e32 v3, v3, v58
	v_mov_b32_dpp v58, v3 row_shr:4 row_mask:0xf bank_mask:0xf
	s_delay_alu instid0(VALU_DEP_1) | instskip(NEXT) | instid1(VALU_DEP_1)
	v_cndmask_b32_e64 v58, 0, v58, s2
	v_add_nc_u32_e32 v3, v3, v58
	s_delay_alu instid0(VALU_DEP_1) | instskip(NEXT) | instid1(VALU_DEP_1)
	v_mov_b32_dpp v58, v3 row_shr:8 row_mask:0xf bank_mask:0xf
	v_cndmask_b32_e64 v58, 0, v58, s3
	s_delay_alu instid0(VALU_DEP_1) | instskip(SKIP_3) | instid1(VALU_DEP_1)
	v_add_nc_u32_e32 v3, v3, v58
	ds_swizzle_b32 v58, v3 offset:swizzle(BROADCAST,32,15)
	s_waitcnt lgkmcnt(0)
	v_cndmask_b32_e64 v58, v58, 0, s4
	v_add_nc_u32_e32 v3, v3, v58
	s_and_saveexec_b32 s11, s5
	s_cbranch_execz .LBB342_22
; %bb.21:                               ;   in Loop: Header=BB342_4 Depth=2
	ds_store_b32 v39, v3
.LBB342_22:                             ;   in Loop: Header=BB342_4 Depth=2
	s_or_b32 exec_lo, exec_lo, s11
	s_waitcnt lgkmcnt(0)
	s_barrier
	buffer_gl0_inv
	s_and_saveexec_b32 s11, s6
	s_cbranch_execz .LBB342_24
; %bb.23:                               ;   in Loop: Header=BB342_4 Depth=2
	ds_load_b32 v58, v40
	s_waitcnt lgkmcnt(0)
	v_mov_b32_dpp v59, v58 row_shr:1 row_mask:0xf bank_mask:0xf
	s_delay_alu instid0(VALU_DEP_1) | instskip(NEXT) | instid1(VALU_DEP_1)
	v_cndmask_b32_e64 v59, v59, 0, s10
	v_add_nc_u32_e32 v58, v59, v58
	ds_store_b32 v40, v58
.LBB342_24:                             ;   in Loop: Header=BB342_4 Depth=2
	s_or_b32 exec_lo, exec_lo, s11
	v_mov_b32_e32 v58, 0
	s_waitcnt lgkmcnt(0)
	s_barrier
	buffer_gl0_inv
	s_and_saveexec_b32 s11, s7
	s_cbranch_execz .LBB342_26
; %bb.25:                               ;   in Loop: Header=BB342_4 Depth=2
	ds_load_b32 v58, v41
.LBB342_26:                             ;   in Loop: Header=BB342_4 Depth=2
	s_or_b32 exec_lo, exec_lo, s11
	s_waitcnt lgkmcnt(0)
	v_add_nc_u32_e32 v3, v58, v3
	v_lshlrev_b32_e32 v49, 3, v49
	s_cmp_gt_u32 s25, 55
	ds_bpermute_b32 v3, v38, v3
	s_waitcnt lgkmcnt(0)
	v_cndmask_b32_e64 v3, v3, v58, s8
	s_delay_alu instid0(VALU_DEP_1) | instskip(NEXT) | instid1(VALU_DEP_1)
	v_cndmask_b32_e64 v3, v3, 0, s9
	v_add_nc_u32_e32 v4, v3, v4
	s_delay_alu instid0(VALU_DEP_1) | instskip(NEXT) | instid1(VALU_DEP_1)
	v_add_nc_u32_e32 v5, v4, v5
	v_add_nc_u32_e32 v6, v5, v6
	s_delay_alu instid0(VALU_DEP_1) | instskip(SKIP_3) | instid1(VALU_DEP_4)
	v_add_nc_u32_e32 v58, v6, v7
	v_lshlrev_b32_e32 v7, 3, v12
	v_lshlrev_b32_e32 v12, 3, v13
	;; [unrolled: 1-line block ×3, first 2 shown]
	v_add_nc_u32_e32 v59, v58, v0
	s_delay_alu instid0(VALU_DEP_1) | instskip(NEXT) | instid1(VALU_DEP_1)
	v_add_nc_u32_e32 v0, v59, v1
	v_add_nc_u32_e32 v1, v0, v2
	v_lshlrev_b32_e32 v2, 3, v9
	v_lshlrev_b32_e32 v9, 3, v10
	ds_store_2addr_b64 v33, v[3:4], v[5:6] offset0:1 offset1:2
	ds_store_2addr_b64 v36, v[58:59], v[0:1] offset0:2 offset1:3
	s_waitcnt lgkmcnt(0)
	s_barrier
	buffer_gl0_inv
	ds_load_b32 v0, v8
	ds_load_b32 v1, v11
	;; [unrolled: 1-line block ×8, first 2 shown]
	v_lshlrev_b32_e32 v11, 3, v14
	v_lshlrev_b32_e32 v14, 3, v43
	;; [unrolled: 1-line block ×9, first 2 shown]
	s_waitcnt lgkmcnt(0)
	v_lshl_add_u32 v43, v0, 3, v2
	v_lshlrev_b32_e32 v0, 3, v1
	v_lshlrev_b32_e32 v1, 3, v3
	;; [unrolled: 1-line block ×7, first 2 shown]
	v_add3_u32 v44, v7, v9, v0
	v_add3_u32 v45, v11, v12, v1
	;; [unrolled: 1-line block ×7, first 2 shown]
	s_cbranch_scc0 .LBB342_3
; %bb.27:                               ;   in Loop: Header=BB342_2 Depth=1
                                        ; implicit-def: $sgpr25
                                        ; implicit-def: $vgpr0_vgpr1
                                        ; implicit-def: $vgpr4_vgpr5
                                        ; implicit-def: $vgpr8_vgpr9
                                        ; implicit-def: $vgpr12_vgpr13
                                        ; implicit-def: $sgpr24
                                        ; implicit-def: $sgpr23
	s_branch .LBB342_1
.LBB342_28:
	s_add_u32 s0, s18, s14
	s_addc_u32 s1, s19, s15
	s_clause 0x7
	global_store_b64 v32, v[13:14], s[0:1]
	global_store_b64 v32, v[15:16], s[0:1] offset:512
	global_store_b64 v32, v[9:10], s[0:1] offset:1024
	;; [unrolled: 1-line block ×7, first 2 shown]
	s_nop 0
	s_sendmsg sendmsg(MSG_DEALLOC_VGPRS)
	s_endpgm
	.section	.rodata,"a",@progbits
	.p2align	6, 0x0
	.amdhsa_kernel _Z16sort_keys_kernelI22helper_blocked_stripedN15benchmark_utils11custom_typeIiiEELj64ELj8ELj10EEvPKT0_PS4_
		.amdhsa_group_segment_fixed_size 4096
		.amdhsa_private_segment_fixed_size 0
		.amdhsa_kernarg_size 272
		.amdhsa_user_sgpr_count 15
		.amdhsa_user_sgpr_dispatch_ptr 0
		.amdhsa_user_sgpr_queue_ptr 0
		.amdhsa_user_sgpr_kernarg_segment_ptr 1
		.amdhsa_user_sgpr_dispatch_id 0
		.amdhsa_user_sgpr_private_segment_size 0
		.amdhsa_wavefront_size32 1
		.amdhsa_uses_dynamic_stack 0
		.amdhsa_enable_private_segment 0
		.amdhsa_system_sgpr_workgroup_id_x 1
		.amdhsa_system_sgpr_workgroup_id_y 0
		.amdhsa_system_sgpr_workgroup_id_z 0
		.amdhsa_system_sgpr_workgroup_info 0
		.amdhsa_system_vgpr_workitem_id 2
		.amdhsa_next_free_vgpr 60
		.amdhsa_next_free_sgpr 30
		.amdhsa_reserve_vcc 1
		.amdhsa_float_round_mode_32 0
		.amdhsa_float_round_mode_16_64 0
		.amdhsa_float_denorm_mode_32 3
		.amdhsa_float_denorm_mode_16_64 3
		.amdhsa_dx10_clamp 1
		.amdhsa_ieee_mode 1
		.amdhsa_fp16_overflow 0
		.amdhsa_workgroup_processor_mode 1
		.amdhsa_memory_ordered 1
		.amdhsa_forward_progress 0
		.amdhsa_shared_vgpr_count 0
		.amdhsa_exception_fp_ieee_invalid_op 0
		.amdhsa_exception_fp_denorm_src 0
		.amdhsa_exception_fp_ieee_div_zero 0
		.amdhsa_exception_fp_ieee_overflow 0
		.amdhsa_exception_fp_ieee_underflow 0
		.amdhsa_exception_fp_ieee_inexact 0
		.amdhsa_exception_int_div_zero 0
	.end_amdhsa_kernel
	.section	.text._Z16sort_keys_kernelI22helper_blocked_stripedN15benchmark_utils11custom_typeIiiEELj64ELj8ELj10EEvPKT0_PS4_,"axG",@progbits,_Z16sort_keys_kernelI22helper_blocked_stripedN15benchmark_utils11custom_typeIiiEELj64ELj8ELj10EEvPKT0_PS4_,comdat
.Lfunc_end342:
	.size	_Z16sort_keys_kernelI22helper_blocked_stripedN15benchmark_utils11custom_typeIiiEELj64ELj8ELj10EEvPKT0_PS4_, .Lfunc_end342-_Z16sort_keys_kernelI22helper_blocked_stripedN15benchmark_utils11custom_typeIiiEELj64ELj8ELj10EEvPKT0_PS4_
                                        ; -- End function
	.section	.AMDGPU.csdata,"",@progbits
; Kernel info:
; codeLenInByte = 5040
; NumSgprs: 32
; NumVgprs: 60
; ScratchSize: 0
; MemoryBound: 0
; FloatMode: 240
; IeeeMode: 1
; LDSByteSize: 4096 bytes/workgroup (compile time only)
; SGPRBlocks: 3
; VGPRBlocks: 7
; NumSGPRsForWavesPerEU: 32
; NumVGPRsForWavesPerEU: 60
; Occupancy: 16
; WaveLimiterHint : 1
; COMPUTE_PGM_RSRC2:SCRATCH_EN: 0
; COMPUTE_PGM_RSRC2:USER_SGPR: 15
; COMPUTE_PGM_RSRC2:TRAP_HANDLER: 0
; COMPUTE_PGM_RSRC2:TGID_X_EN: 1
; COMPUTE_PGM_RSRC2:TGID_Y_EN: 0
; COMPUTE_PGM_RSRC2:TGID_Z_EN: 0
; COMPUTE_PGM_RSRC2:TIDIG_COMP_CNT: 2
	.section	.text._Z17sort_pairs_kernelI22helper_blocked_stripedN15benchmark_utils11custom_typeIiiEELj64ELj8ELj10EEvPKT0_PS4_,"axG",@progbits,_Z17sort_pairs_kernelI22helper_blocked_stripedN15benchmark_utils11custom_typeIiiEELj64ELj8ELj10EEvPKT0_PS4_,comdat
	.protected	_Z17sort_pairs_kernelI22helper_blocked_stripedN15benchmark_utils11custom_typeIiiEELj64ELj8ELj10EEvPKT0_PS4_ ; -- Begin function _Z17sort_pairs_kernelI22helper_blocked_stripedN15benchmark_utils11custom_typeIiiEELj64ELj8ELj10EEvPKT0_PS4_
	.globl	_Z17sort_pairs_kernelI22helper_blocked_stripedN15benchmark_utils11custom_typeIiiEELj64ELj8ELj10EEvPKT0_PS4_
	.p2align	8
	.type	_Z17sort_pairs_kernelI22helper_blocked_stripedN15benchmark_utils11custom_typeIiiEELj64ELj8ELj10EEvPKT0_PS4_,@function
_Z17sort_pairs_kernelI22helper_blocked_stripedN15benchmark_utils11custom_typeIiiEELj64ELj8ELj10EEvPKT0_PS4_: ; @_Z17sort_pairs_kernelI22helper_blocked_stripedN15benchmark_utils11custom_typeIiiEELj64ELj8ELj10EEvPKT0_PS4_
; %bb.0:
	s_clause 0x1
	s_load_b128 s[16:19], s[0:1], 0x0
	s_load_b32 s10, s[0:1], 0x1c
	v_mbcnt_lo_u32_b32 v18, -1, 0
	s_mov_b32 s21, 0
	s_lshl_b32 s20, s15, 9
	v_bfe_u32 v19, v0, 10, 10
	s_lshl_b64 s[14:15], s[20:21], 3
	v_add_nc_u32_e32 v22, -1, v18
	v_and_b32_e32 v20, 15, v18
	v_and_b32_e32 v21, 16, v18
	;; [unrolled: 1-line block ×3, first 2 shown]
	s_mov_b32 s20, s21
	v_cmp_gt_i32_e32 vcc_lo, 0, v22
	v_and_b32_e32 v17, 0x3ff, v0
	v_bfe_u32 v0, v0, 20, 10
	v_cmp_lt_u32_e64 s2, 1, v20
	v_cmp_lt_u32_e64 s3, 3, v20
	;; [unrolled: 1-line block ×3, first 2 shown]
	v_lshlrev_b32_e32 v1, 6, v17
	v_cmp_eq_u32_e64 s5, 0, v21
	s_waitcnt lgkmcnt(0)
	s_add_u32 s0, s16, s14
	s_addc_u32 s1, s17, s15
	s_lshr_b32 s11, s10, 16
	s_clause 0x3
	global_load_b128 v[5:8], v1, s[0:1]
	global_load_b128 v[9:12], v1, s[0:1] offset:16
	global_load_b128 v[13:16], v1, s[0:1] offset:32
	;; [unrolled: 1-line block ×3, first 2 shown]
	v_cmp_eq_u32_e64 s1, 0, v20
	v_cndmask_b32_e32 v20, v22, v18, vcc_lo
	v_lshlrev_b32_e32 v64, 3, v17
	v_and_b32_e32 v24, 32, v17
	v_mad_u32_u24 v0, v0, s11, v19
	v_lshlrev_b32_e32 v65, 5, v17
	v_lshrrev_b32_e32 v21, 3, v17
	s_and_b32 s10, s10, 0xffff
	v_cmp_eq_u32_e64 s0, 0, v18
	v_cmp_eq_u32_e64 s9, 0, v23
	v_or_b32_e32 v22, v18, v24
	v_and_or_b32 v23, 0x100, v64, v18
	v_mad_u64_u32 v[18:19], null, v0, s10, v[17:18]
	v_lshlrev_b32_e32 v33, 2, v17
	v_or_b32_e32 v24, 31, v24
	v_and_b32_e32 v68, 4, v21
	v_mad_i32_i24 v69, 0xffffffe4, v17, v65
	v_cmp_gt_u32_e64 s6, 2, v17
	v_cmp_lt_u32_e64 s7, 31, v17
	v_cmp_eq_u32_e64 s8, 0, v17
	v_or_b32_e32 v66, 8, v65
	v_lshlrev_b32_e32 v67, 2, v20
	v_lshlrev_b32_e32 v70, 6, v22
	;; [unrolled: 1-line block ×3, first 2 shown]
	v_cmp_eq_u32_e64 s10, v24, v17
	v_add_nc_u32_e32 v72, -4, v68
	v_lshrrev_b32_e32 v73, 5, v18
	v_add_nc_u32_e32 v74, v69, v33
	s_mov_b32 s16, s21
	s_mov_b32 s17, s21
	;; [unrolled: 1-line block ×3, first 2 shown]
	s_waitcnt vmcnt(3)
	v_add_nc_u32_e32 v30, 1, v6
	v_add_nc_u32_e32 v29, 1, v5
	v_add_nc_u32_e32 v32, 1, v8
	v_add_nc_u32_e32 v31, 1, v7
	s_waitcnt vmcnt(2)
	v_add_nc_u32_e32 v26, 1, v10
	v_add_nc_u32_e32 v25, 1, v9
	v_add_nc_u32_e32 v28, 1, v12
	v_add_nc_u32_e32 v27, 1, v11
	;; [unrolled: 5-line block ×4, first 2 shown]
	s_branch .LBB343_2
.LBB343_1:                              ;   in Loop: Header=BB343_2 Depth=1
	s_barrier
	buffer_gl0_inv
	ds_store_b64 v75, v[44:45]
	ds_store_b64 v76, v[52:53]
	;; [unrolled: 1-line block ×8, first 2 shown]
	s_waitcnt lgkmcnt(0)
	s_barrier
	buffer_gl0_inv
	ds_load_2addr_stride64_b64 v[0:3], v74 offset1:1
	ds_load_2addr_stride64_b64 v[9:12], v74 offset0:2 offset1:3
	ds_load_2addr_stride64_b64 v[13:16], v74 offset0:4 offset1:5
	;; [unrolled: 1-line block ×3, first 2 shown]
	s_waitcnt lgkmcnt(0)
	s_barrier
	buffer_gl0_inv
	ds_store_b64 v75, v[34:35]
	ds_store_b64 v76, v[32:33]
	;; [unrolled: 1-line block ×8, first 2 shown]
	s_waitcnt lgkmcnt(0)
	s_barrier
	buffer_gl0_inv
	ds_load_2addr_stride64_b64 v[29:32], v74 offset1:1
	ds_load_2addr_stride64_b64 v[25:28], v74 offset0:2 offset1:3
	ds_load_2addr_stride64_b64 v[21:24], v74 offset0:4 offset1:5
	;; [unrolled: 1-line block ×3, first 2 shown]
	s_add_i32 s22, s22, 1
	s_delay_alu instid0(SALU_CYCLE_1)
	s_cmp_lg_u32 s22, 10
	v_xor_b32_e32 v5, 0x80000000, v0
	v_xor_b32_e32 v6, 0x80000000, v1
	;; [unrolled: 1-line block ×16, first 2 shown]
	s_cbranch_scc0 .LBB343_28
.LBB343_2:                              ; =>This Loop Header: Depth=1
                                        ;     Child Loop BB343_4 Depth 2
	v_xor_b32_e32 v6, 0x80000000, v6
	v_xor_b32_e32 v5, 0x80000000, v5
	;; [unrolled: 1-line block ×16, first 2 shown]
	ds_store_2addr_b64 v70, v[5:6], v[7:8] offset1:1
	ds_store_2addr_b64 v70, v[9:10], v[11:12] offset0:2 offset1:3
	ds_store_2addr_b64 v70, v[13:14], v[15:16] offset0:4 offset1:5
	;; [unrolled: 1-line block ×3, first 2 shown]
	; wave barrier
	ds_load_2addr_b64 v[0:3], v71 offset1:32
	ds_load_2addr_b64 v[4:7], v71 offset0:64 offset1:96
	ds_load_2addr_b64 v[8:11], v71 offset0:128 offset1:160
	ds_load_2addr_b64 v[12:15], v71 offset0:192 offset1:224
	; wave barrier
	s_waitcnt lgkmcnt(11)
	ds_store_2addr_b64 v70, v[29:30], v[31:32] offset1:1
	s_waitcnt lgkmcnt(11)
	ds_store_2addr_b64 v70, v[25:26], v[27:28] offset0:2 offset1:3
	s_waitcnt lgkmcnt(11)
	ds_store_2addr_b64 v70, v[21:22], v[23:24] offset0:4 offset1:5
	;; [unrolled: 2-line block ×3, first 2 shown]
	; wave barrier
	ds_load_2addr_b64 v[20:23], v71 offset1:32
	ds_load_2addr_b64 v[24:27], v71 offset0:64 offset1:96
	ds_load_2addr_b64 v[28:31], v71 offset0:128 offset1:160
	;; [unrolled: 1-line block ×3, first 2 shown]
	s_mov_b32 s23, 8
	s_mov_b32 s24, 32
	;; [unrolled: 1-line block ×3, first 2 shown]
	s_waitcnt lgkmcnt(0)
	s_barrier
	s_branch .LBB343_4
.LBB343_3:                              ;   in Loop: Header=BB343_4 Depth=2
	s_barrier
	buffer_gl0_inv
	ds_store_b64 v75, v[44:45]
	ds_store_b64 v76, v[52:53]
	ds_store_b64 v77, v[50:51]
	ds_store_b64 v78, v[58:59]
	ds_store_b64 v79, v[56:57]
	ds_store_b64 v80, v[54:55]
	ds_store_b64 v81, v[62:63]
	ds_store_b64 v82, v[60:61]
	s_waitcnt lgkmcnt(0)
	s_barrier
	buffer_gl0_inv
	ds_load_2addr_b64 v[0:3], v71 offset1:32
	ds_load_2addr_b64 v[4:7], v71 offset0:64 offset1:96
	ds_load_2addr_b64 v[8:11], v71 offset0:128 offset1:160
	;; [unrolled: 1-line block ×3, first 2 shown]
	s_waitcnt lgkmcnt(0)
	s_barrier
	buffer_gl0_inv
	ds_store_b64 v75, v[34:35]
	ds_store_b64 v76, v[32:33]
	;; [unrolled: 1-line block ×8, first 2 shown]
	s_waitcnt lgkmcnt(0)
	s_barrier
	buffer_gl0_inv
	ds_load_2addr_b64 v[20:23], v71 offset1:32
	ds_load_2addr_b64 v[24:27], v71 offset0:64 offset1:96
	ds_load_2addr_b64 v[28:31], v71 offset0:128 offset1:160
	;; [unrolled: 1-line block ×3, first 2 shown]
	s_add_i32 s24, s24, -8
	s_add_i32 s23, s23, 8
	s_add_i32 s25, s25, 8
	s_waitcnt lgkmcnt(0)
	s_barrier
	s_cbranch_execz .LBB343_1
.LBB343_4:                              ;   Parent Loop BB343_2 Depth=1
                                        ; =>  This Inner Loop Header: Depth=2
	s_min_i32 s12, s23, 32
	s_cmp_lt_u32 s25, 32
	v_dual_mov_b32 v45, v1 :: v_dual_mov_b32 v44, v0
	s_cselect_b32 vcc_lo, -1, 0
	s_cmp_gt_u32 s25, 24
	v_mov_b32_e32 v35, v21
	s_cselect_b32 s11, -1, 0
	s_sub_i32 s12, s12, 32
	v_lshrrev_b32_e32 v1, s25, v45
	s_add_i32 s13, s12, s24
	v_dual_mov_b32 v41, v27 :: v_dual_mov_b32 v40, v26
	s_lshl_b32 s13, -1, s13
	v_dual_mov_b32 v43, v25 :: v_dual_mov_b32 v42, v24
	s_not_b32 s13, s13
	s_cmp_lg_u32 s12, s25
	v_mov_b32_e32 v34, v20
	s_cselect_b32 s26, s13, -1
	s_max_i32 s27, s24, 0
	s_max_i32 s12, s25, 32
	v_and_b32_e32 v1, s26, v1
	s_sub_i32 s13, s12, s27
	s_sub_i32 s28, s12, 32
	;; [unrolled: 1-line block ×3, first 2 shown]
	v_lshrrev_b32_e32 v0, s28, v44
	s_min_i32 s12, s13, 32
	buffer_gl0_inv
	s_sub_i32 s12, s12, s28
	v_dual_mov_b32 v39, v29 :: v_dual_mov_b32 v38, v28
	s_lshl_b32 s13, -1, s12
	v_cndmask_b32_e32 v1, 0, v1, vcc_lo
	s_not_b32 s13, s13
	s_cmp_lg_u32 s12, 32
	v_mov_b32_e32 v33, v23
	s_cselect_b32 s29, s13, -1
	v_mov_b32_e32 v32, v22
	v_dual_mov_b32 v37, v31 :: v_dual_and_b32 v0, s29, v0
	v_dual_mov_b32 v36, v30 :: v_dual_mov_b32 v47, v17
	s_delay_alu instid0(VALU_DEP_2) | instskip(SKIP_3) | instid1(VALU_DEP_4)
	v_dual_mov_b32 v49, v19 :: v_dual_lshlrev_b32 v0, s27, v0
	v_mov_b32_e32 v53, v3
	v_dual_mov_b32 v51, v5 :: v_dual_mov_b32 v46, v16
	v_mov_b32_e32 v48, v18
	v_cndmask_b32_e64 v0, 0, v0, s11
	v_mov_b32_e32 v52, v2
	v_dual_mov_b32 v50, v4 :: v_dual_mov_b32 v59, v7
	v_mov_b32_e32 v58, v6
	s_delay_alu instid0(VALU_DEP_4) | instskip(SKIP_2) | instid1(VALU_DEP_3)
	v_or_b32_e32 v20, v1, v0
	v_dual_mov_b32 v57, v9 :: v_dual_mov_b32 v56, v8
	v_dual_mov_b32 v55, v11 :: v_dual_mov_b32 v54, v10
	v_and_b32_e32 v0, 1, v20
	v_lshlrev_b32_e32 v1, 30, v20
	v_lshlrev_b32_e32 v21, 29, v20
	;; [unrolled: 1-line block ×4, first 2 shown]
	v_add_co_u32 v0, s12, v0, -1
	s_delay_alu instid0(VALU_DEP_1)
	v_cndmask_b32_e64 v23, 0, 1, s12
	v_not_b32_e32 v27, v1
	v_cmp_gt_i32_e64 s13, 0, v1
	v_not_b32_e32 v1, v21
	v_lshlrev_b32_e32 v25, 26, v20
	v_cmp_ne_u32_e64 s12, 0, v23
	v_ashrrev_i32_e32 v27, 31, v27
	v_lshlrev_b32_e32 v26, 25, v20
	v_ashrrev_i32_e32 v1, 31, v1
	v_lshlrev_b32_e32 v23, 24, v20
	v_xor_b32_e32 v0, s12, v0
	v_cmp_gt_i32_e64 s12, 0, v21
	v_not_b32_e32 v21, v22
	v_xor_b32_e32 v27, s13, v27
	v_cmp_gt_i32_e64 s13, 0, v22
	v_and_b32_e32 v0, exec_lo, v0
	v_not_b32_e32 v22, v24
	v_ashrrev_i32_e32 v21, 31, v21
	v_xor_b32_e32 v1, s12, v1
	v_cmp_gt_i32_e64 s12, 0, v24
	v_and_b32_e32 v0, v0, v27
	v_not_b32_e32 v24, v25
	v_ashrrev_i32_e32 v22, 31, v22
	v_xor_b32_e32 v21, s13, v21
	v_cmp_gt_i32_e64 s13, 0, v25
	v_and_b32_e32 v0, v0, v1
	;; [unrolled: 5-line block ×4, first 2 shown]
	v_ashrrev_i32_e32 v16, 31, v21
	v_xor_b32_e32 v1, s12, v1
	v_mov_b32_e32 v63, v13
	s_delay_alu instid0(VALU_DEP_4) | instskip(NEXT) | instid1(VALU_DEP_4)
	v_dual_mov_b32 v61, v15 :: v_dual_and_b32 v0, v0, v24
	v_xor_b32_e32 v3, s13, v16
	v_mov_b32_e32 v62, v12
	v_mov_b32_e32 v60, v14
	s_delay_alu instid0(VALU_DEP_4) | instskip(SKIP_1) | instid1(VALU_DEP_2)
	v_dual_mov_b32 v1, s20 :: v_dual_and_b32 v0, v0, v1
	v_mov_b32_e32 v2, s21
	v_dual_mov_b32 v3, s16 :: v_dual_and_b32 v0, v0, v3
	v_mov_b32_e32 v4, s17
	ds_store_2addr_b64 v65, v[1:2], v[3:4] offset0:1 offset1:2
	ds_store_2addr_b64 v66, v[1:2], v[3:4] offset0:2 offset1:3
	v_mbcnt_lo_u32_b32 v9, v0, 0
	v_lshl_add_u32 v1, v20, 1, v73
	v_cmp_ne_u32_e64 s13, 0, v0
	s_waitcnt lgkmcnt(0)
	s_barrier
	v_cmp_eq_u32_e64 s12, 0, v9
	v_lshl_add_u32 v8, v1, 2, 8
	buffer_gl0_inv
	; wave barrier
	s_and_b32 s13, s12, s13
	s_delay_alu instid0(SALU_CYCLE_1)
	s_and_saveexec_b32 s12, s13
	s_cbranch_execz .LBB343_6
; %bb.5:                                ;   in Loop: Header=BB343_4 Depth=2
	v_bcnt_u32_b32 v0, v0, 0
	ds_store_b32 v8, v0
.LBB343_6:                              ;   in Loop: Header=BB343_4 Depth=2
	s_or_b32 exec_lo, exec_lo, s12
	v_lshrrev_b32_e32 v0, s28, v52
	v_lshrrev_b32_e32 v1, s25, v53
	; wave barrier
	s_delay_alu instid0(VALU_DEP_1) | instskip(NEXT) | instid1(VALU_DEP_1)
	v_and_b32_e32 v1, s26, v1
	v_dual_cndmask_b32 v1, 0, v1 :: v_dual_and_b32 v0, s29, v0
	s_delay_alu instid0(VALU_DEP_1) | instskip(NEXT) | instid1(VALU_DEP_1)
	v_lshlrev_b32_e32 v0, s27, v0
	v_cndmask_b32_e64 v0, 0, v0, s11
	s_delay_alu instid0(VALU_DEP_1) | instskip(NEXT) | instid1(VALU_DEP_1)
	v_or_b32_e32 v0, v1, v0
	v_and_b32_e32 v1, 1, v0
	v_lshlrev_b32_e32 v2, 30, v0
	v_lshlrev_b32_e32 v3, 29, v0
	;; [unrolled: 1-line block ×4, first 2 shown]
	v_add_co_u32 v1, s12, v1, -1
	s_delay_alu instid0(VALU_DEP_1)
	v_cndmask_b32_e64 v5, 0, 1, s12
	v_not_b32_e32 v11, v2
	v_cmp_gt_i32_e64 s13, 0, v2
	v_not_b32_e32 v2, v3
	v_lshlrev_b32_e32 v7, 26, v0
	v_cmp_ne_u32_e64 s12, 0, v5
	v_ashrrev_i32_e32 v11, 31, v11
	v_lshlrev_b32_e32 v10, 25, v0
	v_ashrrev_i32_e32 v2, 31, v2
	v_lshlrev_b32_e32 v5, 24, v0
	v_xor_b32_e32 v1, s12, v1
	v_cmp_gt_i32_e64 s12, 0, v3
	v_not_b32_e32 v3, v4
	v_xor_b32_e32 v11, s13, v11
	v_cmp_gt_i32_e64 s13, 0, v4
	v_and_b32_e32 v1, exec_lo, v1
	v_not_b32_e32 v4, v6
	v_ashrrev_i32_e32 v3, 31, v3
	v_xor_b32_e32 v2, s12, v2
	v_cmp_gt_i32_e64 s12, 0, v6
	v_and_b32_e32 v1, v1, v11
	v_not_b32_e32 v6, v7
	v_ashrrev_i32_e32 v4, 31, v4
	v_xor_b32_e32 v3, s13, v3
	v_cmp_gt_i32_e64 s13, 0, v7
	v_and_b32_e32 v1, v1, v2
	;; [unrolled: 5-line block ×3, first 2 shown]
	v_not_b32_e32 v3, v5
	v_ashrrev_i32_e32 v2, 31, v2
	v_xor_b32_e32 v6, s13, v6
	v_lshlrev_b32_e32 v0, 1, v0
	v_and_b32_e32 v1, v1, v4
	v_cmp_gt_i32_e64 s13, 0, v5
	v_ashrrev_i32_e32 v3, 31, v3
	v_xor_b32_e32 v2, s12, v2
	v_add_lshl_u32 v4, v0, v73, 2
	v_and_b32_e32 v1, v1, v6
	s_delay_alu instid0(VALU_DEP_4) | instskip(SKIP_3) | instid1(VALU_DEP_2)
	v_xor_b32_e32 v0, s13, v3
	ds_load_b32 v10, v4 offset:8
	v_and_b32_e32 v1, v1, v2
	v_add_nc_u32_e32 v11, 8, v4
	; wave barrier
	v_and_b32_e32 v0, v1, v0
	s_delay_alu instid0(VALU_DEP_1) | instskip(SKIP_1) | instid1(VALU_DEP_2)
	v_mbcnt_lo_u32_b32 v12, v0, 0
	v_cmp_ne_u32_e64 s13, 0, v0
	v_cmp_eq_u32_e64 s12, 0, v12
	s_delay_alu instid0(VALU_DEP_1) | instskip(NEXT) | instid1(SALU_CYCLE_1)
	s_and_b32 s13, s12, s13
	s_and_saveexec_b32 s12, s13
	s_cbranch_execz .LBB343_8
; %bb.7:                                ;   in Loop: Header=BB343_4 Depth=2
	s_waitcnt lgkmcnt(0)
	v_bcnt_u32_b32 v0, v0, v10
	ds_store_b32 v11, v0
.LBB343_8:                              ;   in Loop: Header=BB343_4 Depth=2
	s_or_b32 exec_lo, exec_lo, s12
	v_lshrrev_b32_e32 v0, s28, v50
	v_lshrrev_b32_e32 v1, s25, v51
	; wave barrier
	s_delay_alu instid0(VALU_DEP_1) | instskip(NEXT) | instid1(VALU_DEP_1)
	v_and_b32_e32 v1, s26, v1
	v_dual_cndmask_b32 v1, 0, v1 :: v_dual_and_b32 v0, s29, v0
	s_delay_alu instid0(VALU_DEP_1) | instskip(NEXT) | instid1(VALU_DEP_1)
	v_lshlrev_b32_e32 v0, s27, v0
	v_cndmask_b32_e64 v0, 0, v0, s11
	s_delay_alu instid0(VALU_DEP_1) | instskip(NEXT) | instid1(VALU_DEP_1)
	v_or_b32_e32 v0, v1, v0
	v_and_b32_e32 v1, 1, v0
	v_lshlrev_b32_e32 v2, 30, v0
	v_lshlrev_b32_e32 v3, 29, v0
	;; [unrolled: 1-line block ×4, first 2 shown]
	v_add_co_u32 v1, s12, v1, -1
	s_delay_alu instid0(VALU_DEP_1)
	v_cndmask_b32_e64 v5, 0, 1, s12
	v_not_b32_e32 v14, v2
	v_cmp_gt_i32_e64 s13, 0, v2
	v_not_b32_e32 v2, v3
	v_lshlrev_b32_e32 v7, 26, v0
	v_cmp_ne_u32_e64 s12, 0, v5
	v_ashrrev_i32_e32 v14, 31, v14
	v_lshlrev_b32_e32 v13, 25, v0
	v_ashrrev_i32_e32 v2, 31, v2
	v_lshlrev_b32_e32 v5, 24, v0
	v_xor_b32_e32 v1, s12, v1
	v_cmp_gt_i32_e64 s12, 0, v3
	v_not_b32_e32 v3, v4
	v_xor_b32_e32 v14, s13, v14
	v_cmp_gt_i32_e64 s13, 0, v4
	v_and_b32_e32 v1, exec_lo, v1
	v_not_b32_e32 v4, v6
	v_ashrrev_i32_e32 v3, 31, v3
	v_xor_b32_e32 v2, s12, v2
	v_cmp_gt_i32_e64 s12, 0, v6
	v_and_b32_e32 v1, v1, v14
	v_not_b32_e32 v6, v7
	v_ashrrev_i32_e32 v4, 31, v4
	v_xor_b32_e32 v3, s13, v3
	v_cmp_gt_i32_e64 s13, 0, v7
	v_and_b32_e32 v1, v1, v2
	;; [unrolled: 5-line block ×3, first 2 shown]
	v_not_b32_e32 v3, v5
	v_ashrrev_i32_e32 v2, 31, v2
	v_xor_b32_e32 v6, s13, v6
	v_lshlrev_b32_e32 v0, 1, v0
	v_and_b32_e32 v1, v1, v4
	v_cmp_gt_i32_e64 s13, 0, v5
	v_ashrrev_i32_e32 v3, 31, v3
	v_xor_b32_e32 v2, s12, v2
	v_add_lshl_u32 v4, v0, v73, 2
	v_and_b32_e32 v1, v1, v6
	s_delay_alu instid0(VALU_DEP_4) | instskip(SKIP_3) | instid1(VALU_DEP_2)
	v_xor_b32_e32 v0, s13, v3
	ds_load_b32 v13, v4 offset:8
	v_and_b32_e32 v1, v1, v2
	v_add_nc_u32_e32 v15, 8, v4
	; wave barrier
	v_and_b32_e32 v0, v1, v0
	s_delay_alu instid0(VALU_DEP_1) | instskip(SKIP_1) | instid1(VALU_DEP_2)
	v_mbcnt_lo_u32_b32 v14, v0, 0
	v_cmp_ne_u32_e64 s13, 0, v0
	v_cmp_eq_u32_e64 s12, 0, v14
	s_delay_alu instid0(VALU_DEP_1) | instskip(NEXT) | instid1(SALU_CYCLE_1)
	s_and_b32 s13, s12, s13
	s_and_saveexec_b32 s12, s13
	s_cbranch_execz .LBB343_10
; %bb.9:                                ;   in Loop: Header=BB343_4 Depth=2
	s_waitcnt lgkmcnt(0)
	v_bcnt_u32_b32 v0, v0, v13
	ds_store_b32 v15, v0
.LBB343_10:                             ;   in Loop: Header=BB343_4 Depth=2
	s_or_b32 exec_lo, exec_lo, s12
	v_lshrrev_b32_e32 v0, s28, v58
	v_lshrrev_b32_e32 v1, s25, v59
	; wave barrier
	s_delay_alu instid0(VALU_DEP_1) | instskip(NEXT) | instid1(VALU_DEP_1)
	v_and_b32_e32 v1, s26, v1
	v_dual_cndmask_b32 v1, 0, v1 :: v_dual_and_b32 v0, s29, v0
	s_delay_alu instid0(VALU_DEP_1) | instskip(NEXT) | instid1(VALU_DEP_1)
	v_lshlrev_b32_e32 v0, s27, v0
	v_cndmask_b32_e64 v0, 0, v0, s11
	s_delay_alu instid0(VALU_DEP_1) | instskip(NEXT) | instid1(VALU_DEP_1)
	v_or_b32_e32 v0, v1, v0
	v_and_b32_e32 v1, 1, v0
	v_lshlrev_b32_e32 v2, 30, v0
	v_lshlrev_b32_e32 v3, 29, v0
	;; [unrolled: 1-line block ×4, first 2 shown]
	v_add_co_u32 v1, s12, v1, -1
	s_delay_alu instid0(VALU_DEP_1)
	v_cndmask_b32_e64 v5, 0, 1, s12
	v_not_b32_e32 v17, v2
	v_cmp_gt_i32_e64 s13, 0, v2
	v_not_b32_e32 v2, v3
	v_lshlrev_b32_e32 v7, 26, v0
	v_cmp_ne_u32_e64 s12, 0, v5
	v_ashrrev_i32_e32 v17, 31, v17
	v_lshlrev_b32_e32 v16, 25, v0
	v_ashrrev_i32_e32 v2, 31, v2
	v_lshlrev_b32_e32 v5, 24, v0
	v_xor_b32_e32 v1, s12, v1
	v_cmp_gt_i32_e64 s12, 0, v3
	v_not_b32_e32 v3, v4
	v_xor_b32_e32 v17, s13, v17
	v_cmp_gt_i32_e64 s13, 0, v4
	v_and_b32_e32 v1, exec_lo, v1
	v_not_b32_e32 v4, v6
	v_ashrrev_i32_e32 v3, 31, v3
	v_xor_b32_e32 v2, s12, v2
	v_cmp_gt_i32_e64 s12, 0, v6
	v_and_b32_e32 v1, v1, v17
	v_not_b32_e32 v6, v7
	v_ashrrev_i32_e32 v4, 31, v4
	v_xor_b32_e32 v3, s13, v3
	v_cmp_gt_i32_e64 s13, 0, v7
	v_and_b32_e32 v1, v1, v2
	;; [unrolled: 5-line block ×3, first 2 shown]
	v_not_b32_e32 v3, v5
	v_ashrrev_i32_e32 v2, 31, v2
	v_xor_b32_e32 v6, s13, v6
	v_lshlrev_b32_e32 v0, 1, v0
	v_and_b32_e32 v1, v1, v4
	v_cmp_gt_i32_e64 s13, 0, v5
	v_ashrrev_i32_e32 v3, 31, v3
	v_xor_b32_e32 v2, s12, v2
	v_add_lshl_u32 v4, v0, v73, 2
	v_and_b32_e32 v1, v1, v6
	s_delay_alu instid0(VALU_DEP_4) | instskip(SKIP_3) | instid1(VALU_DEP_2)
	v_xor_b32_e32 v0, s13, v3
	ds_load_b32 v16, v4 offset:8
	v_and_b32_e32 v1, v1, v2
	v_add_nc_u32_e32 v18, 8, v4
	; wave barrier
	v_and_b32_e32 v0, v1, v0
	s_delay_alu instid0(VALU_DEP_1) | instskip(SKIP_1) | instid1(VALU_DEP_2)
	v_mbcnt_lo_u32_b32 v17, v0, 0
	v_cmp_ne_u32_e64 s13, 0, v0
	v_cmp_eq_u32_e64 s12, 0, v17
	s_delay_alu instid0(VALU_DEP_1) | instskip(NEXT) | instid1(SALU_CYCLE_1)
	s_and_b32 s13, s12, s13
	s_and_saveexec_b32 s12, s13
	s_cbranch_execz .LBB343_12
; %bb.11:                               ;   in Loop: Header=BB343_4 Depth=2
	s_waitcnt lgkmcnt(0)
	v_bcnt_u32_b32 v0, v0, v16
	ds_store_b32 v18, v0
.LBB343_12:                             ;   in Loop: Header=BB343_4 Depth=2
	s_or_b32 exec_lo, exec_lo, s12
	v_lshrrev_b32_e32 v0, s28, v56
	v_lshrrev_b32_e32 v1, s25, v57
	; wave barrier
	s_delay_alu instid0(VALU_DEP_1) | instskip(NEXT) | instid1(VALU_DEP_1)
	v_and_b32_e32 v1, s26, v1
	v_dual_cndmask_b32 v1, 0, v1 :: v_dual_and_b32 v0, s29, v0
	s_delay_alu instid0(VALU_DEP_1) | instskip(NEXT) | instid1(VALU_DEP_1)
	v_lshlrev_b32_e32 v0, s27, v0
	v_cndmask_b32_e64 v0, 0, v0, s11
	s_delay_alu instid0(VALU_DEP_1) | instskip(NEXT) | instid1(VALU_DEP_1)
	v_or_b32_e32 v0, v1, v0
	v_and_b32_e32 v1, 1, v0
	v_lshlrev_b32_e32 v2, 30, v0
	v_lshlrev_b32_e32 v3, 29, v0
	;; [unrolled: 1-line block ×4, first 2 shown]
	v_add_co_u32 v1, s12, v1, -1
	s_delay_alu instid0(VALU_DEP_1)
	v_cndmask_b32_e64 v5, 0, 1, s12
	v_not_b32_e32 v20, v2
	v_cmp_gt_i32_e64 s13, 0, v2
	v_not_b32_e32 v2, v3
	v_lshlrev_b32_e32 v7, 26, v0
	v_cmp_ne_u32_e64 s12, 0, v5
	v_ashrrev_i32_e32 v20, 31, v20
	v_lshlrev_b32_e32 v19, 25, v0
	v_ashrrev_i32_e32 v2, 31, v2
	v_lshlrev_b32_e32 v5, 24, v0
	v_xor_b32_e32 v1, s12, v1
	v_cmp_gt_i32_e64 s12, 0, v3
	v_not_b32_e32 v3, v4
	v_xor_b32_e32 v20, s13, v20
	v_cmp_gt_i32_e64 s13, 0, v4
	v_and_b32_e32 v1, exec_lo, v1
	v_not_b32_e32 v4, v6
	v_ashrrev_i32_e32 v3, 31, v3
	v_xor_b32_e32 v2, s12, v2
	v_cmp_gt_i32_e64 s12, 0, v6
	v_and_b32_e32 v1, v1, v20
	v_not_b32_e32 v6, v7
	v_ashrrev_i32_e32 v4, 31, v4
	v_xor_b32_e32 v3, s13, v3
	v_cmp_gt_i32_e64 s13, 0, v7
	v_and_b32_e32 v1, v1, v2
	;; [unrolled: 5-line block ×3, first 2 shown]
	v_not_b32_e32 v3, v5
	v_ashrrev_i32_e32 v2, 31, v2
	v_xor_b32_e32 v6, s13, v6
	v_lshlrev_b32_e32 v0, 1, v0
	v_and_b32_e32 v1, v1, v4
	v_cmp_gt_i32_e64 s13, 0, v5
	v_ashrrev_i32_e32 v3, 31, v3
	v_xor_b32_e32 v2, s12, v2
	v_add_lshl_u32 v4, v0, v73, 2
	v_and_b32_e32 v1, v1, v6
	s_delay_alu instid0(VALU_DEP_4) | instskip(SKIP_3) | instid1(VALU_DEP_2)
	v_xor_b32_e32 v0, s13, v3
	ds_load_b32 v19, v4 offset:8
	v_and_b32_e32 v1, v1, v2
	v_add_nc_u32_e32 v21, 8, v4
	; wave barrier
	v_and_b32_e32 v0, v1, v0
	s_delay_alu instid0(VALU_DEP_1) | instskip(SKIP_1) | instid1(VALU_DEP_2)
	v_mbcnt_lo_u32_b32 v20, v0, 0
	v_cmp_ne_u32_e64 s13, 0, v0
	v_cmp_eq_u32_e64 s12, 0, v20
	s_delay_alu instid0(VALU_DEP_1) | instskip(NEXT) | instid1(SALU_CYCLE_1)
	s_and_b32 s13, s12, s13
	s_and_saveexec_b32 s12, s13
	s_cbranch_execz .LBB343_14
; %bb.13:                               ;   in Loop: Header=BB343_4 Depth=2
	s_waitcnt lgkmcnt(0)
	v_bcnt_u32_b32 v0, v0, v19
	ds_store_b32 v21, v0
.LBB343_14:                             ;   in Loop: Header=BB343_4 Depth=2
	s_or_b32 exec_lo, exec_lo, s12
	v_lshrrev_b32_e32 v0, s28, v54
	v_lshrrev_b32_e32 v1, s25, v55
	; wave barrier
	s_delay_alu instid0(VALU_DEP_1) | instskip(NEXT) | instid1(VALU_DEP_1)
	v_and_b32_e32 v1, s26, v1
	v_dual_cndmask_b32 v1, 0, v1 :: v_dual_and_b32 v0, s29, v0
	s_delay_alu instid0(VALU_DEP_1) | instskip(NEXT) | instid1(VALU_DEP_1)
	v_lshlrev_b32_e32 v0, s27, v0
	v_cndmask_b32_e64 v0, 0, v0, s11
	s_delay_alu instid0(VALU_DEP_1) | instskip(NEXT) | instid1(VALU_DEP_1)
	v_or_b32_e32 v0, v1, v0
	v_and_b32_e32 v1, 1, v0
	v_lshlrev_b32_e32 v2, 30, v0
	v_lshlrev_b32_e32 v3, 29, v0
	;; [unrolled: 1-line block ×4, first 2 shown]
	v_add_co_u32 v1, s12, v1, -1
	s_delay_alu instid0(VALU_DEP_1)
	v_cndmask_b32_e64 v5, 0, 1, s12
	v_not_b32_e32 v23, v2
	v_cmp_gt_i32_e64 s13, 0, v2
	v_not_b32_e32 v2, v3
	v_lshlrev_b32_e32 v7, 26, v0
	v_cmp_ne_u32_e64 s12, 0, v5
	v_ashrrev_i32_e32 v23, 31, v23
	v_lshlrev_b32_e32 v22, 25, v0
	v_ashrrev_i32_e32 v2, 31, v2
	v_lshlrev_b32_e32 v5, 24, v0
	v_xor_b32_e32 v1, s12, v1
	v_cmp_gt_i32_e64 s12, 0, v3
	v_not_b32_e32 v3, v4
	v_xor_b32_e32 v23, s13, v23
	v_cmp_gt_i32_e64 s13, 0, v4
	v_and_b32_e32 v1, exec_lo, v1
	v_not_b32_e32 v4, v6
	v_ashrrev_i32_e32 v3, 31, v3
	v_xor_b32_e32 v2, s12, v2
	v_cmp_gt_i32_e64 s12, 0, v6
	v_and_b32_e32 v1, v1, v23
	v_not_b32_e32 v6, v7
	v_ashrrev_i32_e32 v4, 31, v4
	v_xor_b32_e32 v3, s13, v3
	v_cmp_gt_i32_e64 s13, 0, v7
	v_and_b32_e32 v1, v1, v2
	;; [unrolled: 5-line block ×3, first 2 shown]
	v_not_b32_e32 v3, v5
	v_ashrrev_i32_e32 v2, 31, v2
	v_xor_b32_e32 v6, s13, v6
	v_lshlrev_b32_e32 v0, 1, v0
	v_and_b32_e32 v1, v1, v4
	v_cmp_gt_i32_e64 s13, 0, v5
	v_ashrrev_i32_e32 v3, 31, v3
	v_xor_b32_e32 v2, s12, v2
	v_add_lshl_u32 v4, v0, v73, 2
	v_and_b32_e32 v1, v1, v6
	s_delay_alu instid0(VALU_DEP_4) | instskip(SKIP_3) | instid1(VALU_DEP_2)
	v_xor_b32_e32 v0, s13, v3
	ds_load_b32 v22, v4 offset:8
	v_and_b32_e32 v1, v1, v2
	v_add_nc_u32_e32 v24, 8, v4
	; wave barrier
	v_and_b32_e32 v0, v1, v0
	s_delay_alu instid0(VALU_DEP_1) | instskip(SKIP_1) | instid1(VALU_DEP_2)
	v_mbcnt_lo_u32_b32 v23, v0, 0
	v_cmp_ne_u32_e64 s13, 0, v0
	v_cmp_eq_u32_e64 s12, 0, v23
	s_delay_alu instid0(VALU_DEP_1) | instskip(NEXT) | instid1(SALU_CYCLE_1)
	s_and_b32 s13, s12, s13
	s_and_saveexec_b32 s12, s13
	s_cbranch_execz .LBB343_16
; %bb.15:                               ;   in Loop: Header=BB343_4 Depth=2
	s_waitcnt lgkmcnt(0)
	v_bcnt_u32_b32 v0, v0, v22
	ds_store_b32 v24, v0
.LBB343_16:                             ;   in Loop: Header=BB343_4 Depth=2
	s_or_b32 exec_lo, exec_lo, s12
	v_lshrrev_b32_e32 v0, s28, v62
	v_lshrrev_b32_e32 v1, s25, v63
	; wave barrier
	s_delay_alu instid0(VALU_DEP_1) | instskip(NEXT) | instid1(VALU_DEP_1)
	v_and_b32_e32 v1, s26, v1
	v_dual_cndmask_b32 v1, 0, v1 :: v_dual_and_b32 v0, s29, v0
	s_delay_alu instid0(VALU_DEP_1) | instskip(NEXT) | instid1(VALU_DEP_1)
	v_lshlrev_b32_e32 v0, s27, v0
	v_cndmask_b32_e64 v0, 0, v0, s11
	s_delay_alu instid0(VALU_DEP_1) | instskip(NEXT) | instid1(VALU_DEP_1)
	v_or_b32_e32 v0, v1, v0
	v_and_b32_e32 v1, 1, v0
	v_lshlrev_b32_e32 v2, 30, v0
	v_lshlrev_b32_e32 v3, 29, v0
	;; [unrolled: 1-line block ×4, first 2 shown]
	v_add_co_u32 v1, s12, v1, -1
	s_delay_alu instid0(VALU_DEP_1)
	v_cndmask_b32_e64 v5, 0, 1, s12
	v_not_b32_e32 v26, v2
	v_cmp_gt_i32_e64 s13, 0, v2
	v_not_b32_e32 v2, v3
	v_lshlrev_b32_e32 v7, 26, v0
	v_cmp_ne_u32_e64 s12, 0, v5
	v_ashrrev_i32_e32 v26, 31, v26
	v_lshlrev_b32_e32 v25, 25, v0
	v_ashrrev_i32_e32 v2, 31, v2
	v_lshlrev_b32_e32 v5, 24, v0
	v_xor_b32_e32 v1, s12, v1
	v_cmp_gt_i32_e64 s12, 0, v3
	v_not_b32_e32 v3, v4
	v_xor_b32_e32 v26, s13, v26
	v_cmp_gt_i32_e64 s13, 0, v4
	v_and_b32_e32 v1, exec_lo, v1
	v_not_b32_e32 v4, v6
	v_ashrrev_i32_e32 v3, 31, v3
	v_xor_b32_e32 v2, s12, v2
	v_cmp_gt_i32_e64 s12, 0, v6
	v_and_b32_e32 v1, v1, v26
	v_not_b32_e32 v6, v7
	v_ashrrev_i32_e32 v4, 31, v4
	v_xor_b32_e32 v3, s13, v3
	v_cmp_gt_i32_e64 s13, 0, v7
	v_and_b32_e32 v1, v1, v2
	;; [unrolled: 5-line block ×3, first 2 shown]
	v_not_b32_e32 v3, v5
	v_ashrrev_i32_e32 v2, 31, v2
	v_xor_b32_e32 v6, s13, v6
	v_lshlrev_b32_e32 v0, 1, v0
	v_and_b32_e32 v1, v1, v4
	v_cmp_gt_i32_e64 s13, 0, v5
	v_ashrrev_i32_e32 v3, 31, v3
	v_xor_b32_e32 v2, s12, v2
	v_add_lshl_u32 v4, v0, v73, 2
	v_and_b32_e32 v1, v1, v6
	s_delay_alu instid0(VALU_DEP_4) | instskip(SKIP_3) | instid1(VALU_DEP_2)
	v_xor_b32_e32 v0, s13, v3
	ds_load_b32 v25, v4 offset:8
	v_and_b32_e32 v1, v1, v2
	v_add_nc_u32_e32 v27, 8, v4
	; wave barrier
	v_and_b32_e32 v0, v1, v0
	s_delay_alu instid0(VALU_DEP_1) | instskip(SKIP_1) | instid1(VALU_DEP_2)
	v_mbcnt_lo_u32_b32 v26, v0, 0
	v_cmp_ne_u32_e64 s13, 0, v0
	v_cmp_eq_u32_e64 s12, 0, v26
	s_delay_alu instid0(VALU_DEP_1) | instskip(NEXT) | instid1(SALU_CYCLE_1)
	s_and_b32 s13, s12, s13
	s_and_saveexec_b32 s12, s13
	s_cbranch_execz .LBB343_18
; %bb.17:                               ;   in Loop: Header=BB343_4 Depth=2
	s_waitcnt lgkmcnt(0)
	v_bcnt_u32_b32 v0, v0, v25
	ds_store_b32 v27, v0
.LBB343_18:                             ;   in Loop: Header=BB343_4 Depth=2
	s_or_b32 exec_lo, exec_lo, s12
	v_lshrrev_b32_e32 v0, s28, v60
	v_lshrrev_b32_e32 v1, s25, v61
	; wave barrier
	s_delay_alu instid0(VALU_DEP_1) | instskip(NEXT) | instid1(VALU_DEP_1)
	v_and_b32_e32 v1, s26, v1
	v_dual_cndmask_b32 v1, 0, v1 :: v_dual_and_b32 v0, s29, v0
	s_delay_alu instid0(VALU_DEP_1) | instskip(NEXT) | instid1(VALU_DEP_1)
	v_lshlrev_b32_e32 v0, s27, v0
	v_cndmask_b32_e64 v0, 0, v0, s11
	s_delay_alu instid0(VALU_DEP_1) | instskip(NEXT) | instid1(VALU_DEP_1)
	v_or_b32_e32 v0, v1, v0
	v_and_b32_e32 v1, 1, v0
	v_lshlrev_b32_e32 v2, 30, v0
	v_lshlrev_b32_e32 v3, 29, v0
	;; [unrolled: 1-line block ×4, first 2 shown]
	v_add_co_u32 v1, s11, v1, -1
	s_delay_alu instid0(VALU_DEP_1)
	v_cndmask_b32_e64 v5, 0, 1, s11
	v_not_b32_e32 v29, v2
	v_cmp_gt_i32_e64 s11, 0, v2
	v_not_b32_e32 v2, v3
	v_lshlrev_b32_e32 v7, 26, v0
	v_cmp_ne_u32_e32 vcc_lo, 0, v5
	v_ashrrev_i32_e32 v29, 31, v29
	v_lshlrev_b32_e32 v28, 25, v0
	v_ashrrev_i32_e32 v2, 31, v2
	v_lshlrev_b32_e32 v5, 24, v0
	v_xor_b32_e32 v1, vcc_lo, v1
	v_cmp_gt_i32_e32 vcc_lo, 0, v3
	v_not_b32_e32 v3, v4
	v_xor_b32_e32 v29, s11, v29
	v_cmp_gt_i32_e64 s11, 0, v4
	v_and_b32_e32 v1, exec_lo, v1
	v_not_b32_e32 v4, v6
	v_ashrrev_i32_e32 v3, 31, v3
	v_xor_b32_e32 v2, vcc_lo, v2
	v_cmp_gt_i32_e32 vcc_lo, 0, v6
	v_and_b32_e32 v1, v1, v29
	v_not_b32_e32 v6, v7
	v_ashrrev_i32_e32 v4, 31, v4
	v_xor_b32_e32 v3, s11, v3
	v_cmp_gt_i32_e64 s11, 0, v7
	v_and_b32_e32 v1, v1, v2
	v_not_b32_e32 v2, v28
	v_ashrrev_i32_e32 v6, 31, v6
	v_xor_b32_e32 v4, vcc_lo, v4
	v_cmp_gt_i32_e32 vcc_lo, 0, v28
	v_and_b32_e32 v1, v1, v3
	v_not_b32_e32 v3, v5
	v_ashrrev_i32_e32 v2, 31, v2
	v_xor_b32_e32 v6, s11, v6
	v_lshlrev_b32_e32 v0, 1, v0
	v_and_b32_e32 v1, v1, v4
	v_cmp_gt_i32_e64 s11, 0, v5
	v_ashrrev_i32_e32 v3, 31, v3
	v_xor_b32_e32 v2, vcc_lo, v2
	v_add_lshl_u32 v4, v0, v73, 2
	v_and_b32_e32 v1, v1, v6
	s_delay_alu instid0(VALU_DEP_4) | instskip(SKIP_3) | instid1(VALU_DEP_2)
	v_xor_b32_e32 v0, s11, v3
	ds_load_b32 v28, v4 offset:8
	v_and_b32_e32 v1, v1, v2
	v_add_nc_u32_e32 v30, 8, v4
	; wave barrier
	v_and_b32_e32 v0, v1, v0
	s_delay_alu instid0(VALU_DEP_1) | instskip(SKIP_1) | instid1(VALU_DEP_2)
	v_mbcnt_lo_u32_b32 v29, v0, 0
	v_cmp_ne_u32_e64 s11, 0, v0
	v_cmp_eq_u32_e32 vcc_lo, 0, v29
	s_delay_alu instid0(VALU_DEP_2) | instskip(NEXT) | instid1(SALU_CYCLE_1)
	s_and_b32 s12, vcc_lo, s11
	s_and_saveexec_b32 s11, s12
	s_cbranch_execz .LBB343_20
; %bb.19:                               ;   in Loop: Header=BB343_4 Depth=2
	s_waitcnt lgkmcnt(0)
	v_bcnt_u32_b32 v0, v0, v28
	ds_store_b32 v30, v0
.LBB343_20:                             ;   in Loop: Header=BB343_4 Depth=2
	s_or_b32 exec_lo, exec_lo, s11
	; wave barrier
	s_waitcnt lgkmcnt(0)
	s_barrier
	buffer_gl0_inv
	ds_load_2addr_b64 v[4:7], v65 offset0:1 offset1:2
	ds_load_2addr_b64 v[0:3], v66 offset0:2 offset1:3
	s_waitcnt lgkmcnt(1)
	v_add_nc_u32_e32 v31, v5, v4
	s_delay_alu instid0(VALU_DEP_1) | instskip(SKIP_1) | instid1(VALU_DEP_1)
	v_add3_u32 v31, v31, v6, v7
	s_waitcnt lgkmcnt(0)
	v_add3_u32 v31, v31, v0, v1
	s_delay_alu instid0(VALU_DEP_1) | instskip(NEXT) | instid1(VALU_DEP_1)
	v_add3_u32 v3, v31, v2, v3
	v_mov_b32_dpp v31, v3 row_shr:1 row_mask:0xf bank_mask:0xf
	s_delay_alu instid0(VALU_DEP_1) | instskip(NEXT) | instid1(VALU_DEP_1)
	v_cndmask_b32_e64 v31, v31, 0, s1
	v_add_nc_u32_e32 v3, v31, v3
	s_delay_alu instid0(VALU_DEP_1) | instskip(NEXT) | instid1(VALU_DEP_1)
	v_mov_b32_dpp v31, v3 row_shr:2 row_mask:0xf bank_mask:0xf
	v_cndmask_b32_e64 v31, 0, v31, s2
	s_delay_alu instid0(VALU_DEP_1) | instskip(NEXT) | instid1(VALU_DEP_1)
	v_add_nc_u32_e32 v3, v3, v31
	v_mov_b32_dpp v31, v3 row_shr:4 row_mask:0xf bank_mask:0xf
	s_delay_alu instid0(VALU_DEP_1) | instskip(NEXT) | instid1(VALU_DEP_1)
	v_cndmask_b32_e64 v31, 0, v31, s3
	v_add_nc_u32_e32 v3, v3, v31
	s_delay_alu instid0(VALU_DEP_1) | instskip(NEXT) | instid1(VALU_DEP_1)
	v_mov_b32_dpp v31, v3 row_shr:8 row_mask:0xf bank_mask:0xf
	v_cndmask_b32_e64 v31, 0, v31, s4
	s_delay_alu instid0(VALU_DEP_1) | instskip(SKIP_3) | instid1(VALU_DEP_1)
	v_add_nc_u32_e32 v3, v3, v31
	ds_swizzle_b32 v31, v3 offset:swizzle(BROADCAST,32,15)
	s_waitcnt lgkmcnt(0)
	v_cndmask_b32_e64 v31, v31, 0, s5
	v_add_nc_u32_e32 v3, v3, v31
	s_and_saveexec_b32 s11, s10
	s_cbranch_execz .LBB343_22
; %bb.21:                               ;   in Loop: Header=BB343_4 Depth=2
	ds_store_b32 v68, v3
.LBB343_22:                             ;   in Loop: Header=BB343_4 Depth=2
	s_or_b32 exec_lo, exec_lo, s11
	s_waitcnt lgkmcnt(0)
	s_barrier
	buffer_gl0_inv
	s_and_saveexec_b32 s11, s6
	s_cbranch_execz .LBB343_24
; %bb.23:                               ;   in Loop: Header=BB343_4 Depth=2
	ds_load_b32 v31, v69
	s_waitcnt lgkmcnt(0)
	v_mov_b32_dpp v75, v31 row_shr:1 row_mask:0xf bank_mask:0xf
	s_delay_alu instid0(VALU_DEP_1) | instskip(NEXT) | instid1(VALU_DEP_1)
	v_cndmask_b32_e64 v75, v75, 0, s9
	v_add_nc_u32_e32 v31, v75, v31
	ds_store_b32 v69, v31
.LBB343_24:                             ;   in Loop: Header=BB343_4 Depth=2
	s_or_b32 exec_lo, exec_lo, s11
	v_mov_b32_e32 v31, 0
	s_waitcnt lgkmcnt(0)
	s_barrier
	buffer_gl0_inv
	s_and_saveexec_b32 s11, s7
	s_cbranch_execz .LBB343_26
; %bb.25:                               ;   in Loop: Header=BB343_4 Depth=2
	ds_load_b32 v31, v72
.LBB343_26:                             ;   in Loop: Header=BB343_4 Depth=2
	s_or_b32 exec_lo, exec_lo, s11
	s_waitcnt lgkmcnt(0)
	v_add_nc_u32_e32 v3, v31, v3
	s_cmp_gt_u32 s25, 55
	ds_bpermute_b32 v3, v67, v3
	s_waitcnt lgkmcnt(0)
	v_cndmask_b32_e64 v3, v3, v31, s0
	s_delay_alu instid0(VALU_DEP_1) | instskip(NEXT) | instid1(VALU_DEP_1)
	v_cndmask_b32_e64 v3, v3, 0, s8
	v_add_nc_u32_e32 v4, v3, v4
	s_delay_alu instid0(VALU_DEP_1) | instskip(NEXT) | instid1(VALU_DEP_1)
	v_add_nc_u32_e32 v5, v4, v5
	v_add_nc_u32_e32 v6, v5, v6
	s_delay_alu instid0(VALU_DEP_1)
	v_add_nc_u32_e32 v75, v6, v7
	v_lshlrev_b32_e32 v7, 3, v12
	v_lshlrev_b32_e32 v12, 3, v13
	;; [unrolled: 1-line block ×4, first 2 shown]
	v_add_nc_u32_e32 v76, v75, v0
	s_delay_alu instid0(VALU_DEP_1) | instskip(NEXT) | instid1(VALU_DEP_1)
	v_add_nc_u32_e32 v0, v76, v1
	v_add_nc_u32_e32 v1, v0, v2
	v_lshlrev_b32_e32 v2, 3, v9
	v_lshlrev_b32_e32 v9, 3, v10
	ds_store_2addr_b64 v65, v[3:4], v[5:6] offset0:1 offset1:2
	ds_store_2addr_b64 v66, v[75:76], v[0:1] offset0:2 offset1:3
	s_waitcnt lgkmcnt(0)
	s_barrier
	buffer_gl0_inv
	ds_load_b32 v0, v8
	ds_load_b32 v1, v11
	;; [unrolled: 1-line block ×8, first 2 shown]
	v_lshlrev_b32_e32 v11, 3, v14
	v_lshlrev_b32_e32 v14, 3, v16
	;; [unrolled: 1-line block ×9, first 2 shown]
	s_waitcnt lgkmcnt(0)
	v_lshl_add_u32 v75, v0, 3, v2
	v_lshlrev_b32_e32 v0, 3, v1
	v_lshlrev_b32_e32 v1, 3, v3
	;; [unrolled: 1-line block ×7, first 2 shown]
	v_add3_u32 v76, v7, v9, v0
	v_add3_u32 v77, v11, v12, v1
	;; [unrolled: 1-line block ×7, first 2 shown]
	s_cbranch_scc0 .LBB343_3
; %bb.27:                               ;   in Loop: Header=BB343_2 Depth=1
                                        ; implicit-def: $sgpr25
                                        ; implicit-def: $vgpr20_vgpr21
                                        ; implicit-def: $vgpr24_vgpr25
                                        ; implicit-def: $vgpr28_vgpr29
                                        ; implicit-def: $vgpr16_vgpr17
                                        ; implicit-def: $vgpr0_vgpr1
                                        ; implicit-def: $vgpr4_vgpr5
                                        ; implicit-def: $vgpr8_vgpr9
                                        ; implicit-def: $vgpr12_vgpr13
                                        ; implicit-def: $sgpr24
                                        ; implicit-def: $sgpr23
	s_branch .LBB343_1
.LBB343_28:
	s_waitcnt lgkmcnt(3)
	v_add_nc_u32_e32 v5, v5, v29
	v_add_nc_u32_e32 v6, v6, v30
	;; [unrolled: 1-line block ×4, first 2 shown]
	s_waitcnt lgkmcnt(2)
	v_add_nc_u32_e32 v9, v9, v25
	v_add_nc_u32_e32 v10, v10, v26
	s_add_u32 s0, s18, s14
	v_add_nc_u32_e32 v11, v11, v27
	v_add_nc_u32_e32 v12, v12, v28
	s_addc_u32 s1, s19, s15
	s_waitcnt lgkmcnt(1)
	v_add_nc_u32_e32 v13, v13, v21
	v_add_nc_u32_e32 v14, v14, v22
	;; [unrolled: 1-line block ×4, first 2 shown]
	s_waitcnt lgkmcnt(0)
	v_add_nc_u32_e32 v0, v1, v17
	v_add_nc_u32_e32 v1, v2, v18
	;; [unrolled: 1-line block ×4, first 2 shown]
	s_clause 0x7
	global_store_b64 v64, v[5:6], s[0:1]
	global_store_b64 v64, v[7:8], s[0:1] offset:512
	global_store_b64 v64, v[9:10], s[0:1] offset:1024
	;; [unrolled: 1-line block ×7, first 2 shown]
	s_nop 0
	s_sendmsg sendmsg(MSG_DEALLOC_VGPRS)
	s_endpgm
	.section	.rodata,"a",@progbits
	.p2align	6, 0x0
	.amdhsa_kernel _Z17sort_pairs_kernelI22helper_blocked_stripedN15benchmark_utils11custom_typeIiiEELj64ELj8ELj10EEvPKT0_PS4_
		.amdhsa_group_segment_fixed_size 4096
		.amdhsa_private_segment_fixed_size 0
		.amdhsa_kernarg_size 272
		.amdhsa_user_sgpr_count 15
		.amdhsa_user_sgpr_dispatch_ptr 0
		.amdhsa_user_sgpr_queue_ptr 0
		.amdhsa_user_sgpr_kernarg_segment_ptr 1
		.amdhsa_user_sgpr_dispatch_id 0
		.amdhsa_user_sgpr_private_segment_size 0
		.amdhsa_wavefront_size32 1
		.amdhsa_uses_dynamic_stack 0
		.amdhsa_enable_private_segment 0
		.amdhsa_system_sgpr_workgroup_id_x 1
		.amdhsa_system_sgpr_workgroup_id_y 0
		.amdhsa_system_sgpr_workgroup_id_z 0
		.amdhsa_system_sgpr_workgroup_info 0
		.amdhsa_system_vgpr_workitem_id 2
		.amdhsa_next_free_vgpr 83
		.amdhsa_next_free_sgpr 30
		.amdhsa_reserve_vcc 1
		.amdhsa_float_round_mode_32 0
		.amdhsa_float_round_mode_16_64 0
		.amdhsa_float_denorm_mode_32 3
		.amdhsa_float_denorm_mode_16_64 3
		.amdhsa_dx10_clamp 1
		.amdhsa_ieee_mode 1
		.amdhsa_fp16_overflow 0
		.amdhsa_workgroup_processor_mode 1
		.amdhsa_memory_ordered 1
		.amdhsa_forward_progress 0
		.amdhsa_shared_vgpr_count 0
		.amdhsa_exception_fp_ieee_invalid_op 0
		.amdhsa_exception_fp_denorm_src 0
		.amdhsa_exception_fp_ieee_div_zero 0
		.amdhsa_exception_fp_ieee_overflow 0
		.amdhsa_exception_fp_ieee_underflow 0
		.amdhsa_exception_fp_ieee_inexact 0
		.amdhsa_exception_int_div_zero 0
	.end_amdhsa_kernel
	.section	.text._Z17sort_pairs_kernelI22helper_blocked_stripedN15benchmark_utils11custom_typeIiiEELj64ELj8ELj10EEvPKT0_PS4_,"axG",@progbits,_Z17sort_pairs_kernelI22helper_blocked_stripedN15benchmark_utils11custom_typeIiiEELj64ELj8ELj10EEvPKT0_PS4_,comdat
.Lfunc_end343:
	.size	_Z17sort_pairs_kernelI22helper_blocked_stripedN15benchmark_utils11custom_typeIiiEELj64ELj8ELj10EEvPKT0_PS4_, .Lfunc_end343-_Z17sort_pairs_kernelI22helper_blocked_stripedN15benchmark_utils11custom_typeIiiEELj64ELj8ELj10EEvPKT0_PS4_
                                        ; -- End function
	.section	.AMDGPU.csdata,"",@progbits
; Kernel info:
; codeLenInByte = 5532
; NumSgprs: 32
; NumVgprs: 83
; ScratchSize: 0
; MemoryBound: 0
; FloatMode: 240
; IeeeMode: 1
; LDSByteSize: 4096 bytes/workgroup (compile time only)
; SGPRBlocks: 3
; VGPRBlocks: 10
; NumSGPRsForWavesPerEU: 32
; NumVGPRsForWavesPerEU: 83
; Occupancy: 16
; WaveLimiterHint : 1
; COMPUTE_PGM_RSRC2:SCRATCH_EN: 0
; COMPUTE_PGM_RSRC2:USER_SGPR: 15
; COMPUTE_PGM_RSRC2:TRAP_HANDLER: 0
; COMPUTE_PGM_RSRC2:TGID_X_EN: 1
; COMPUTE_PGM_RSRC2:TGID_Y_EN: 0
; COMPUTE_PGM_RSRC2:TGID_Z_EN: 0
; COMPUTE_PGM_RSRC2:TIDIG_COMP_CNT: 2
	.section	.text._Z16sort_keys_kernelI22helper_blocked_stripedN15benchmark_utils11custom_typeIiiEELj128ELj1ELj10EEvPKT0_PS4_,"axG",@progbits,_Z16sort_keys_kernelI22helper_blocked_stripedN15benchmark_utils11custom_typeIiiEELj128ELj1ELj10EEvPKT0_PS4_,comdat
	.protected	_Z16sort_keys_kernelI22helper_blocked_stripedN15benchmark_utils11custom_typeIiiEELj128ELj1ELj10EEvPKT0_PS4_ ; -- Begin function _Z16sort_keys_kernelI22helper_blocked_stripedN15benchmark_utils11custom_typeIiiEELj128ELj1ELj10EEvPKT0_PS4_
	.globl	_Z16sort_keys_kernelI22helper_blocked_stripedN15benchmark_utils11custom_typeIiiEELj128ELj1ELj10EEvPKT0_PS4_
	.p2align	8
	.type	_Z16sort_keys_kernelI22helper_blocked_stripedN15benchmark_utils11custom_typeIiiEELj128ELj1ELj10EEvPKT0_PS4_,@function
_Z16sort_keys_kernelI22helper_blocked_stripedN15benchmark_utils11custom_typeIiiEELj128ELj1ELj10EEvPKT0_PS4_: ; @_Z16sort_keys_kernelI22helper_blocked_stripedN15benchmark_utils11custom_typeIiiEELj128ELj1ELj10EEvPKT0_PS4_
; %bb.0:
	s_clause 0x1
	s_load_b128 s[16:19], s[0:1], 0x0
	s_load_b32 s10, s[0:1], 0x1c
	s_mov_b32 s21, 0
	s_lshl_b32 s20, s15, 7
	v_mbcnt_lo_u32_b32 v5, -1, 0
	s_lshl_b64 s[14:15], s[20:21], 3
	v_bfe_u32 v3, v0, 10, 10
	s_mov_b32 s20, s21
	s_mov_b32 s22, 10
	v_and_b32_e32 v6, 16, v5
	v_add_nc_u32_e32 v7, -1, v5
	v_dual_mov_b32 v11, s20 :: v_dual_and_b32 v4, 15, v5
	v_dual_mov_b32 v12, s21 :: v_dual_and_b32 v13, 3, v5
	s_delay_alu instid0(VALU_DEP_4) | instskip(NEXT) | instid1(VALU_DEP_4)
	v_cmp_eq_u32_e64 s4, 0, v6
	v_cmp_gt_i32_e64 s7, 0, v7
	s_delay_alu instid0(VALU_DEP_4)
	v_cmp_lt_u32_e64 s2, 3, v4
	v_cmp_lt_u32_e64 s3, 7, v4
	v_cmp_eq_u32_e64 s8, 0, v13
	s_waitcnt lgkmcnt(0)
	s_add_u32 s0, s16, s14
	s_addc_u32 s1, s17, s15
	s_mov_b32 s16, s21
	s_mov_b32 s17, s21
	v_dual_mov_b32 v9, s16 :: v_dual_and_b32 v8, 0x3ff, v0
	v_mov_b32_e32 v10, s17
	v_bfe_u32 v0, v0, 20, 10
	s_lshr_b32 s11, s10, 16
	s_delay_alu instid0(VALU_DEP_3)
	v_lshlrev_b32_e32 v1, 3, v8
	v_lshlrev_b32_e32 v15, 5, v8
	v_and_b32_e32 v6, 0x60, v8
	v_mad_u32_u24 v0, v0, s11, v3
	v_lshrrev_b32_e32 v14, 3, v8
	global_load_b64 v[1:2], v1, s[0:1]
	s_and_b32 s10, s10, 0xffff
	v_cmp_eq_u32_e64 s0, 0, v4
	v_cmp_lt_u32_e64 s1, 1, v4
	v_mad_u64_u32 v[3:4], null, v0, s10, v[8:9]
	v_cndmask_b32_e64 v7, v7, v5, s7
	v_cmp_lt_u32_e64 s9, 1, v13
	v_lshlrev_b32_e32 v23, 2, v8
	v_or_b32_e32 v13, 31, v6
	v_and_b32_e32 v17, 12, v14
	v_or_b32_e32 v0, v5, v6
	v_mad_i32_i24 v19, 0xffffffe4, v8, v15
	v_cmp_eq_u32_e32 vcc_lo, 0, v5
	v_cmp_gt_u32_e64 s5, 4, v8
	v_cmp_lt_u32_e64 s6, 31, v8
	v_cmp_eq_u32_e64 s7, 0, v8
	v_or_b32_e32 v16, 16, v15
	v_lshlrev_b32_e32 v18, 2, v7
	v_cmp_eq_u32_e64 s10, v13, v8
	v_add_nc_u32_e32 v20, -4, v17
	v_lshlrev_b32_e32 v21, 3, v0
	v_lshrrev_b32_e32 v22, 5, v3
	v_add_nc_u32_e32 v23, v19, v23
	s_waitcnt vmcnt(0)
	v_xor_b32_e32 v13, 0x80000000, v1
	v_xor_b32_e32 v14, 0x80000000, v2
	s_branch .LBB344_2
.LBB344_1:                              ;   in Loop: Header=BB344_2 Depth=1
	s_or_b32 exec_lo, exec_lo, s11
	s_waitcnt lgkmcnt(0)
	v_add_nc_u32_e32 v3, v26, v3
	s_add_i32 s22, s22, -1
	s_delay_alu instid0(SALU_CYCLE_1) | instskip(SKIP_3) | instid1(VALU_DEP_1)
	s_cmp_eq_u32 s22, 0
	ds_bpermute_b32 v3, v18, v3
	s_waitcnt lgkmcnt(0)
	v_cndmask_b32_e32 v3, v3, v26, vcc_lo
	v_cndmask_b32_e64 v3, v3, 0, s7
	s_delay_alu instid0(VALU_DEP_1) | instskip(NEXT) | instid1(VALU_DEP_1)
	v_add_nc_u32_e32 v4, v3, v4
	v_add_nc_u32_e32 v5, v4, v5
	s_delay_alu instid0(VALU_DEP_1) | instskip(NEXT) | instid1(VALU_DEP_1)
	v_add_nc_u32_e32 v6, v5, v6
	v_add_nc_u32_e32 v26, v6, v7
	;; [unrolled: 3-line block ×3, first 2 shown]
	s_delay_alu instid0(VALU_DEP_1)
	v_add_nc_u32_e32 v1, v0, v2
	ds_store_2addr_b64 v15, v[3:4], v[5:6] offset0:2 offset1:3
	ds_store_2addr_b64 v16, v[26:27], v[0:1] offset0:2 offset1:3
	s_waitcnt lgkmcnt(0)
	s_barrier
	buffer_gl0_inv
	ds_load_b32 v0, v25
	v_lshlrev_b32_e32 v1, 3, v24
	s_waitcnt lgkmcnt(0)
	s_barrier
	buffer_gl0_inv
	v_lshl_add_u32 v0, v0, 3, v1
	ds_store_b64 v0, v[13:14]
	s_waitcnt lgkmcnt(0)
	s_barrier
	buffer_gl0_inv
	ds_load_b64 v[13:14], v23
	s_cbranch_scc1 .LBB344_66
.LBB344_2:                              ; =>This Inner Loop Header: Depth=1
	s_waitcnt lgkmcnt(0)
	s_delay_alu instid0(VALU_DEP_1)
	v_and_b32_e32 v0, 1, v14
	v_lshlrev_b32_e32 v1, 30, v14
	v_lshlrev_b32_e32 v2, 29, v14
	;; [unrolled: 1-line block ×4, first 2 shown]
	v_add_co_u32 v0, s11, v0, -1
	s_delay_alu instid0(VALU_DEP_1)
	v_cndmask_b32_e64 v3, 0, 1, s11
	v_not_b32_e32 v7, v1
	v_cmp_gt_i32_e64 s12, 0, v1
	v_not_b32_e32 v1, v2
	v_lshlrev_b32_e32 v6, 26, v14
	v_cmp_ne_u32_e64 s11, 0, v3
	v_ashrrev_i32_e32 v7, 31, v7
	v_lshlrev_b32_e32 v3, 25, v14
	v_ashrrev_i32_e32 v1, 31, v1
	v_cmp_gt_i32_e64 s13, 0, v5
	v_xor_b32_e32 v0, s11, v0
	v_cmp_gt_i32_e64 s11, 0, v2
	v_not_b32_e32 v2, v4
	v_xor_b32_e32 v7, s12, v7
	v_cmp_gt_i32_e64 s12, 0, v4
	v_and_b32_e32 v0, exec_lo, v0
	v_xor_b32_e32 v1, s11, v1
	v_ashrrev_i32_e32 v2, 31, v2
	v_not_b32_e32 v4, v5
	v_not_b32_e32 v5, v6
	v_and_b32_e32 v0, v0, v7
	v_cmp_gt_i32_e64 s11, 0, v6
	v_xor_b32_e32 v2, s12, v2
	v_not_b32_e32 v6, v3
	ds_store_2addr_b64 v15, v[11:12], v[9:10] offset0:2 offset1:3
	ds_store_2addr_b64 v16, v[11:12], v[9:10] offset0:2 offset1:3
	v_and_b32_e32 v0, v0, v1
	v_ashrrev_i32_e32 v1, 31, v4
	v_ashrrev_i32_e32 v4, 31, v5
	v_lshlrev_b32_e32 v5, 24, v14
	s_waitcnt lgkmcnt(0)
	v_and_b32_e32 v0, v0, v2
	v_xor_b32_e32 v1, s13, v1
	v_xor_b32_e32 v2, s11, v4
	v_cmp_gt_i32_e64 s11, 0, v3
	v_not_b32_e32 v3, v5
	v_ashrrev_i32_e32 v4, 31, v6
	v_and_b32_e32 v0, v0, v1
	v_cmp_gt_i32_e64 s12, 0, v5
	s_barrier
	v_ashrrev_i32_e32 v1, 31, v3
	v_xor_b32_e32 v3, s11, v4
	v_and_b32_e32 v0, v0, v2
	buffer_gl0_inv
	v_xor_b32_e32 v1, s12, v1
	; wave barrier
	v_and_b32_e32 v0, v0, v3
	s_delay_alu instid0(VALU_DEP_1) | instskip(SKIP_1) | instid1(VALU_DEP_2)
	v_and_b32_e32 v0, v0, v1
	v_and_b32_e32 v1, 0xff, v14
	v_mbcnt_lo_u32_b32 v24, v0, 0
	s_delay_alu instid0(VALU_DEP_2) | instskip(SKIP_1) | instid1(VALU_DEP_3)
	v_lshl_add_u32 v1, v1, 2, v22
	v_cmp_ne_u32_e64 s12, 0, v0
	v_cmp_eq_u32_e64 s11, 0, v24
	s_delay_alu instid0(VALU_DEP_3) | instskip(NEXT) | instid1(VALU_DEP_2)
	v_lshl_add_u32 v25, v1, 2, 16
	s_and_b32 s12, s12, s11
	s_delay_alu instid0(SALU_CYCLE_1)
	s_and_saveexec_b32 s11, s12
	s_cbranch_execz .LBB344_4
; %bb.3:                                ;   in Loop: Header=BB344_2 Depth=1
	v_bcnt_u32_b32 v0, v0, 0
	ds_store_b32 v25, v0
.LBB344_4:                              ;   in Loop: Header=BB344_2 Depth=1
	s_or_b32 exec_lo, exec_lo, s11
	; wave barrier
	s_waitcnt lgkmcnt(0)
	s_barrier
	buffer_gl0_inv
	ds_load_2addr_b64 v[4:7], v15 offset0:2 offset1:3
	ds_load_2addr_b64 v[0:3], v16 offset0:2 offset1:3
	s_waitcnt lgkmcnt(1)
	v_add_nc_u32_e32 v26, v5, v4
	s_delay_alu instid0(VALU_DEP_1) | instskip(SKIP_1) | instid1(VALU_DEP_1)
	v_add3_u32 v26, v26, v6, v7
	s_waitcnt lgkmcnt(0)
	v_add3_u32 v26, v26, v0, v1
	s_delay_alu instid0(VALU_DEP_1) | instskip(NEXT) | instid1(VALU_DEP_1)
	v_add3_u32 v3, v26, v2, v3
	v_mov_b32_dpp v26, v3 row_shr:1 row_mask:0xf bank_mask:0xf
	s_delay_alu instid0(VALU_DEP_1) | instskip(NEXT) | instid1(VALU_DEP_1)
	v_cndmask_b32_e64 v26, v26, 0, s0
	v_add_nc_u32_e32 v3, v26, v3
	s_delay_alu instid0(VALU_DEP_1) | instskip(NEXT) | instid1(VALU_DEP_1)
	v_mov_b32_dpp v26, v3 row_shr:2 row_mask:0xf bank_mask:0xf
	v_cndmask_b32_e64 v26, 0, v26, s1
	s_delay_alu instid0(VALU_DEP_1) | instskip(NEXT) | instid1(VALU_DEP_1)
	v_add_nc_u32_e32 v3, v3, v26
	v_mov_b32_dpp v26, v3 row_shr:4 row_mask:0xf bank_mask:0xf
	s_delay_alu instid0(VALU_DEP_1) | instskip(NEXT) | instid1(VALU_DEP_1)
	v_cndmask_b32_e64 v26, 0, v26, s2
	v_add_nc_u32_e32 v3, v3, v26
	s_delay_alu instid0(VALU_DEP_1) | instskip(NEXT) | instid1(VALU_DEP_1)
	v_mov_b32_dpp v26, v3 row_shr:8 row_mask:0xf bank_mask:0xf
	v_cndmask_b32_e64 v26, 0, v26, s3
	s_delay_alu instid0(VALU_DEP_1) | instskip(SKIP_3) | instid1(VALU_DEP_1)
	v_add_nc_u32_e32 v3, v3, v26
	ds_swizzle_b32 v26, v3 offset:swizzle(BROADCAST,32,15)
	s_waitcnt lgkmcnt(0)
	v_cndmask_b32_e64 v26, v26, 0, s4
	v_add_nc_u32_e32 v3, v3, v26
	s_and_saveexec_b32 s11, s10
	s_cbranch_execz .LBB344_6
; %bb.5:                                ;   in Loop: Header=BB344_2 Depth=1
	ds_store_b32 v17, v3
.LBB344_6:                              ;   in Loop: Header=BB344_2 Depth=1
	s_or_b32 exec_lo, exec_lo, s11
	s_waitcnt lgkmcnt(0)
	s_barrier
	buffer_gl0_inv
	s_and_saveexec_b32 s11, s5
	s_cbranch_execz .LBB344_8
; %bb.7:                                ;   in Loop: Header=BB344_2 Depth=1
	ds_load_b32 v26, v19
	s_waitcnt lgkmcnt(0)
	v_mov_b32_dpp v27, v26 row_shr:1 row_mask:0xf bank_mask:0xf
	s_delay_alu instid0(VALU_DEP_1) | instskip(NEXT) | instid1(VALU_DEP_1)
	v_cndmask_b32_e64 v27, v27, 0, s8
	v_add_nc_u32_e32 v26, v27, v26
	s_delay_alu instid0(VALU_DEP_1) | instskip(NEXT) | instid1(VALU_DEP_1)
	v_mov_b32_dpp v27, v26 row_shr:2 row_mask:0xf bank_mask:0xf
	v_cndmask_b32_e64 v27, 0, v27, s9
	s_delay_alu instid0(VALU_DEP_1)
	v_add_nc_u32_e32 v26, v26, v27
	ds_store_b32 v19, v26
.LBB344_8:                              ;   in Loop: Header=BB344_2 Depth=1
	s_or_b32 exec_lo, exec_lo, s11
	v_mov_b32_e32 v26, 0
	s_waitcnt lgkmcnt(0)
	s_barrier
	buffer_gl0_inv
	s_and_saveexec_b32 s11, s6
	s_cbranch_execz .LBB344_10
; %bb.9:                                ;   in Loop: Header=BB344_2 Depth=1
	ds_load_b32 v26, v20
.LBB344_10:                             ;   in Loop: Header=BB344_2 Depth=1
	s_or_b32 exec_lo, exec_lo, s11
	s_waitcnt lgkmcnt(0)
	v_add_nc_u32_e32 v3, v26, v3
	ds_bpermute_b32 v3, v18, v3
	s_waitcnt lgkmcnt(0)
	v_cndmask_b32_e32 v3, v3, v26, vcc_lo
	s_delay_alu instid0(VALU_DEP_1) | instskip(NEXT) | instid1(VALU_DEP_1)
	v_cndmask_b32_e64 v3, v3, 0, s7
	v_add_nc_u32_e32 v4, v3, v4
	s_delay_alu instid0(VALU_DEP_1) | instskip(NEXT) | instid1(VALU_DEP_1)
	v_add_nc_u32_e32 v5, v4, v5
	v_add_nc_u32_e32 v6, v5, v6
	s_delay_alu instid0(VALU_DEP_1) | instskip(NEXT) | instid1(VALU_DEP_1)
	v_add_nc_u32_e32 v26, v6, v7
	;; [unrolled: 3-line block ×3, first 2 shown]
	v_add_nc_u32_e32 v1, v0, v2
	ds_store_2addr_b64 v15, v[3:4], v[5:6] offset0:2 offset1:3
	ds_store_2addr_b64 v16, v[26:27], v[0:1] offset0:2 offset1:3
	s_waitcnt lgkmcnt(0)
	s_barrier
	buffer_gl0_inv
	ds_load_b32 v0, v25
	v_lshlrev_b32_e32 v1, 3, v24
	s_waitcnt lgkmcnt(0)
	s_barrier
	buffer_gl0_inv
	v_lshl_add_u32 v0, v0, 3, v1
	ds_store_b64 v0, v[13:14]
	s_waitcnt lgkmcnt(0)
	s_barrier
	buffer_gl0_inv
	ds_load_b64 v[13:14], v21
	s_waitcnt lgkmcnt(0)
	s_barrier
	buffer_gl0_inv
	ds_store_2addr_b64 v15, v[11:12], v[9:10] offset0:2 offset1:3
	ds_store_2addr_b64 v16, v[11:12], v[9:10] offset0:2 offset1:3
	s_waitcnt lgkmcnt(0)
	s_barrier
	buffer_gl0_inv
	; wave barrier
	v_bfe_u32 v0, v14, 8, 1
	v_lshrrev_b32_e32 v1, 8, v14
	s_delay_alu instid0(VALU_DEP_2) | instskip(NEXT) | instid1(VALU_DEP_1)
	v_add_co_u32 v0, s11, v0, -1
	v_cndmask_b32_e64 v2, 0, 1, s11
	s_delay_alu instid0(VALU_DEP_3)
	v_lshlrev_b32_e32 v3, 30, v1
	v_lshlrev_b32_e32 v4, 29, v1
	v_lshlrev_b32_e32 v5, 28, v1
	v_lshlrev_b32_e32 v6, 27, v1
	v_cmp_ne_u32_e64 s11, 0, v2
	v_not_b32_e32 v2, v3
	v_cmp_gt_i32_e64 s12, 0, v3
	v_not_b32_e32 v3, v4
	v_lshlrev_b32_e32 v7, 26, v1
	v_xor_b32_e32 v0, s11, v0
	v_ashrrev_i32_e32 v2, 31, v2
	v_cmp_gt_i32_e64 s11, 0, v4
	v_not_b32_e32 v4, v5
	v_ashrrev_i32_e32 v3, 31, v3
	v_and_b32_e32 v0, exec_lo, v0
	v_xor_b32_e32 v2, s12, v2
	v_cmp_gt_i32_e64 s12, 0, v5
	v_not_b32_e32 v5, v6
	v_ashrrev_i32_e32 v4, 31, v4
	v_xor_b32_e32 v3, s11, v3
	v_and_b32_e32 v0, v0, v2
	v_lshlrev_b32_e32 v24, 25, v1
	v_cmp_gt_i32_e64 s11, 0, v6
	v_not_b32_e32 v2, v7
	v_ashrrev_i32_e32 v5, 31, v5
	v_xor_b32_e32 v4, s12, v4
	v_and_b32_e32 v0, v0, v3
	v_lshlrev_b32_e32 v1, 24, v1
	v_cmp_gt_i32_e64 s12, 0, v7
	v_not_b32_e32 v3, v24
	v_ashrrev_i32_e32 v2, 31, v2
	v_xor_b32_e32 v5, s11, v5
	v_and_b32_e32 v0, v0, v4
	v_cmp_gt_i32_e64 s11, 0, v24
	v_not_b32_e32 v4, v1
	v_ashrrev_i32_e32 v3, 31, v3
	v_xor_b32_e32 v2, s12, v2
	v_and_b32_e32 v0, v0, v5
	v_cmp_gt_i32_e64 s12, 0, v1
	v_ashrrev_i32_e32 v1, 31, v4
	v_xor_b32_e32 v3, s11, v3
	s_delay_alu instid0(VALU_DEP_4) | instskip(SKIP_1) | instid1(VALU_DEP_4)
	v_and_b32_e32 v0, v0, v2
	v_lshrrev_b32_e32 v2, 6, v14
	v_xor_b32_e32 v1, s12, v1
	s_delay_alu instid0(VALU_DEP_3) | instskip(NEXT) | instid1(VALU_DEP_1)
	v_and_b32_e32 v0, v0, v3
	v_and_b32_e32 v0, v0, v1
	s_delay_alu instid0(VALU_DEP_4) | instskip(NEXT) | instid1(VALU_DEP_2)
	v_and_b32_e32 v1, 0x3fc, v2
	v_mbcnt_lo_u32_b32 v24, v0, 0
	s_delay_alu instid0(VALU_DEP_2) | instskip(SKIP_1) | instid1(VALU_DEP_3)
	v_add_nc_u32_e32 v1, v1, v22
	v_cmp_ne_u32_e64 s12, 0, v0
	v_cmp_eq_u32_e64 s11, 0, v24
	s_delay_alu instid0(VALU_DEP_3) | instskip(NEXT) | instid1(VALU_DEP_2)
	v_lshl_add_u32 v25, v1, 2, 16
	s_and_b32 s12, s12, s11
	s_delay_alu instid0(SALU_CYCLE_1)
	s_and_saveexec_b32 s11, s12
	s_cbranch_execz .LBB344_12
; %bb.11:                               ;   in Loop: Header=BB344_2 Depth=1
	v_bcnt_u32_b32 v0, v0, 0
	ds_store_b32 v25, v0
.LBB344_12:                             ;   in Loop: Header=BB344_2 Depth=1
	s_or_b32 exec_lo, exec_lo, s11
	; wave barrier
	s_waitcnt lgkmcnt(0)
	s_barrier
	buffer_gl0_inv
	ds_load_2addr_b64 v[4:7], v15 offset0:2 offset1:3
	ds_load_2addr_b64 v[0:3], v16 offset0:2 offset1:3
	s_waitcnt lgkmcnt(1)
	v_add_nc_u32_e32 v26, v5, v4
	s_delay_alu instid0(VALU_DEP_1) | instskip(SKIP_1) | instid1(VALU_DEP_1)
	v_add3_u32 v26, v26, v6, v7
	s_waitcnt lgkmcnt(0)
	v_add3_u32 v26, v26, v0, v1
	s_delay_alu instid0(VALU_DEP_1) | instskip(NEXT) | instid1(VALU_DEP_1)
	v_add3_u32 v3, v26, v2, v3
	v_mov_b32_dpp v26, v3 row_shr:1 row_mask:0xf bank_mask:0xf
	s_delay_alu instid0(VALU_DEP_1) | instskip(NEXT) | instid1(VALU_DEP_1)
	v_cndmask_b32_e64 v26, v26, 0, s0
	v_add_nc_u32_e32 v3, v26, v3
	s_delay_alu instid0(VALU_DEP_1) | instskip(NEXT) | instid1(VALU_DEP_1)
	v_mov_b32_dpp v26, v3 row_shr:2 row_mask:0xf bank_mask:0xf
	v_cndmask_b32_e64 v26, 0, v26, s1
	s_delay_alu instid0(VALU_DEP_1) | instskip(NEXT) | instid1(VALU_DEP_1)
	v_add_nc_u32_e32 v3, v3, v26
	v_mov_b32_dpp v26, v3 row_shr:4 row_mask:0xf bank_mask:0xf
	s_delay_alu instid0(VALU_DEP_1) | instskip(NEXT) | instid1(VALU_DEP_1)
	v_cndmask_b32_e64 v26, 0, v26, s2
	v_add_nc_u32_e32 v3, v3, v26
	s_delay_alu instid0(VALU_DEP_1) | instskip(NEXT) | instid1(VALU_DEP_1)
	v_mov_b32_dpp v26, v3 row_shr:8 row_mask:0xf bank_mask:0xf
	v_cndmask_b32_e64 v26, 0, v26, s3
	s_delay_alu instid0(VALU_DEP_1) | instskip(SKIP_3) | instid1(VALU_DEP_1)
	v_add_nc_u32_e32 v3, v3, v26
	ds_swizzle_b32 v26, v3 offset:swizzle(BROADCAST,32,15)
	s_waitcnt lgkmcnt(0)
	v_cndmask_b32_e64 v26, v26, 0, s4
	v_add_nc_u32_e32 v3, v3, v26
	s_and_saveexec_b32 s11, s10
	s_cbranch_execz .LBB344_14
; %bb.13:                               ;   in Loop: Header=BB344_2 Depth=1
	ds_store_b32 v17, v3
.LBB344_14:                             ;   in Loop: Header=BB344_2 Depth=1
	s_or_b32 exec_lo, exec_lo, s11
	s_waitcnt lgkmcnt(0)
	s_barrier
	buffer_gl0_inv
	s_and_saveexec_b32 s11, s5
	s_cbranch_execz .LBB344_16
; %bb.15:                               ;   in Loop: Header=BB344_2 Depth=1
	ds_load_b32 v26, v19
	s_waitcnt lgkmcnt(0)
	v_mov_b32_dpp v27, v26 row_shr:1 row_mask:0xf bank_mask:0xf
	s_delay_alu instid0(VALU_DEP_1) | instskip(NEXT) | instid1(VALU_DEP_1)
	v_cndmask_b32_e64 v27, v27, 0, s8
	v_add_nc_u32_e32 v26, v27, v26
	s_delay_alu instid0(VALU_DEP_1) | instskip(NEXT) | instid1(VALU_DEP_1)
	v_mov_b32_dpp v27, v26 row_shr:2 row_mask:0xf bank_mask:0xf
	v_cndmask_b32_e64 v27, 0, v27, s9
	s_delay_alu instid0(VALU_DEP_1)
	v_add_nc_u32_e32 v26, v26, v27
	ds_store_b32 v19, v26
.LBB344_16:                             ;   in Loop: Header=BB344_2 Depth=1
	s_or_b32 exec_lo, exec_lo, s11
	v_mov_b32_e32 v26, 0
	s_waitcnt lgkmcnt(0)
	s_barrier
	buffer_gl0_inv
	s_and_saveexec_b32 s11, s6
	s_cbranch_execz .LBB344_18
; %bb.17:                               ;   in Loop: Header=BB344_2 Depth=1
	ds_load_b32 v26, v20
.LBB344_18:                             ;   in Loop: Header=BB344_2 Depth=1
	s_or_b32 exec_lo, exec_lo, s11
	s_waitcnt lgkmcnt(0)
	v_add_nc_u32_e32 v3, v26, v3
	ds_bpermute_b32 v3, v18, v3
	s_waitcnt lgkmcnt(0)
	v_cndmask_b32_e32 v3, v3, v26, vcc_lo
	s_delay_alu instid0(VALU_DEP_1) | instskip(NEXT) | instid1(VALU_DEP_1)
	v_cndmask_b32_e64 v3, v3, 0, s7
	v_add_nc_u32_e32 v4, v3, v4
	s_delay_alu instid0(VALU_DEP_1) | instskip(NEXT) | instid1(VALU_DEP_1)
	v_add_nc_u32_e32 v5, v4, v5
	v_add_nc_u32_e32 v6, v5, v6
	s_delay_alu instid0(VALU_DEP_1) | instskip(NEXT) | instid1(VALU_DEP_1)
	v_add_nc_u32_e32 v26, v6, v7
	;; [unrolled: 3-line block ×3, first 2 shown]
	v_add_nc_u32_e32 v1, v0, v2
	ds_store_2addr_b64 v15, v[3:4], v[5:6] offset0:2 offset1:3
	ds_store_2addr_b64 v16, v[26:27], v[0:1] offset0:2 offset1:3
	s_waitcnt lgkmcnt(0)
	s_barrier
	buffer_gl0_inv
	ds_load_b32 v0, v25
	v_lshlrev_b32_e32 v1, 3, v24
	s_waitcnt lgkmcnt(0)
	s_barrier
	buffer_gl0_inv
	v_lshl_add_u32 v0, v0, 3, v1
	ds_store_b64 v0, v[13:14]
	s_waitcnt lgkmcnt(0)
	s_barrier
	buffer_gl0_inv
	ds_load_b64 v[13:14], v21
	s_waitcnt lgkmcnt(0)
	s_barrier
	buffer_gl0_inv
	v_bfe_u32 v0, v14, 16, 1
	v_lshrrev_b32_e32 v1, 16, v14
	s_delay_alu instid0(VALU_DEP_2) | instskip(NEXT) | instid1(VALU_DEP_1)
	v_add_co_u32 v0, s11, v0, -1
	v_cndmask_b32_e64 v2, 0, 1, s11
	s_delay_alu instid0(VALU_DEP_3)
	v_lshlrev_b32_e32 v3, 30, v1
	v_lshlrev_b32_e32 v4, 29, v1
	;; [unrolled: 1-line block ×4, first 2 shown]
	v_cmp_ne_u32_e64 s11, 0, v2
	v_not_b32_e32 v2, v3
	v_cmp_gt_i32_e64 s12, 0, v3
	v_not_b32_e32 v3, v4
	v_lshlrev_b32_e32 v7, 26, v1
	v_xor_b32_e32 v0, s11, v0
	v_ashrrev_i32_e32 v2, 31, v2
	v_cmp_gt_i32_e64 s11, 0, v4
	v_not_b32_e32 v4, v5
	v_ashrrev_i32_e32 v3, 31, v3
	v_and_b32_e32 v0, exec_lo, v0
	v_xor_b32_e32 v2, s12, v2
	v_cmp_gt_i32_e64 s12, 0, v5
	v_not_b32_e32 v5, v6
	v_ashrrev_i32_e32 v4, 31, v4
	v_xor_b32_e32 v3, s11, v3
	v_and_b32_e32 v0, v0, v2
	v_lshlrev_b32_e32 v24, 25, v1
	v_cmp_gt_i32_e64 s11, 0, v6
	v_not_b32_e32 v2, v7
	v_ashrrev_i32_e32 v5, 31, v5
	v_xor_b32_e32 v4, s12, v4
	v_and_b32_e32 v0, v0, v3
	v_lshlrev_b32_e32 v1, 24, v1
	v_cmp_gt_i32_e64 s12, 0, v7
	v_not_b32_e32 v3, v24
	v_ashrrev_i32_e32 v2, 31, v2
	v_xor_b32_e32 v5, s11, v5
	v_and_b32_e32 v0, v0, v4
	v_cmp_gt_i32_e64 s11, 0, v24
	v_not_b32_e32 v4, v1
	v_ashrrev_i32_e32 v3, 31, v3
	v_xor_b32_e32 v2, s12, v2
	v_and_b32_e32 v0, v0, v5
	v_cmp_gt_i32_e64 s12, 0, v1
	v_ashrrev_i32_e32 v1, 31, v4
	v_xor_b32_e32 v3, s11, v3
	v_lshrrev_b32_e32 v6, 14, v14
	v_and_b32_e32 v0, v0, v2
	s_delay_alu instid0(VALU_DEP_4) | instskip(SKIP_1) | instid1(VALU_DEP_3)
	v_xor_b32_e32 v5, s12, v1
	v_dual_mov_b32 v1, s20 :: v_dual_mov_b32 v2, s21
	v_dual_mov_b32 v3, s16 :: v_dual_and_b32 v0, v0, v3
	v_mov_b32_e32 v4, s17
	ds_store_2addr_b64 v15, v[1:2], v[3:4] offset0:2 offset1:3
	ds_store_2addr_b64 v16, v[1:2], v[3:4] offset0:2 offset1:3
	v_and_b32_e32 v0, v0, v5
	v_and_b32_e32 v5, 0x3fc, v6
	s_waitcnt lgkmcnt(0)
	s_barrier
	buffer_gl0_inv
	v_mbcnt_lo_u32_b32 v24, v0, 0
	v_add_nc_u32_e32 v1, v5, v22
	v_cmp_ne_u32_e64 s12, 0, v0
	; wave barrier
	s_delay_alu instid0(VALU_DEP_3) | instskip(NEXT) | instid1(VALU_DEP_3)
	v_cmp_eq_u32_e64 s11, 0, v24
	v_lshl_add_u32 v25, v1, 2, 16
	s_delay_alu instid0(VALU_DEP_2) | instskip(NEXT) | instid1(SALU_CYCLE_1)
	s_and_b32 s12, s12, s11
	s_and_saveexec_b32 s11, s12
	s_cbranch_execz .LBB344_20
; %bb.19:                               ;   in Loop: Header=BB344_2 Depth=1
	v_bcnt_u32_b32 v0, v0, 0
	ds_store_b32 v25, v0
.LBB344_20:                             ;   in Loop: Header=BB344_2 Depth=1
	s_or_b32 exec_lo, exec_lo, s11
	; wave barrier
	s_waitcnt lgkmcnt(0)
	s_barrier
	buffer_gl0_inv
	ds_load_2addr_b64 v[4:7], v15 offset0:2 offset1:3
	ds_load_2addr_b64 v[0:3], v16 offset0:2 offset1:3
	s_waitcnt lgkmcnt(1)
	v_add_nc_u32_e32 v26, v5, v4
	s_delay_alu instid0(VALU_DEP_1) | instskip(SKIP_1) | instid1(VALU_DEP_1)
	v_add3_u32 v26, v26, v6, v7
	s_waitcnt lgkmcnt(0)
	v_add3_u32 v26, v26, v0, v1
	s_delay_alu instid0(VALU_DEP_1) | instskip(NEXT) | instid1(VALU_DEP_1)
	v_add3_u32 v3, v26, v2, v3
	v_mov_b32_dpp v26, v3 row_shr:1 row_mask:0xf bank_mask:0xf
	s_delay_alu instid0(VALU_DEP_1) | instskip(NEXT) | instid1(VALU_DEP_1)
	v_cndmask_b32_e64 v26, v26, 0, s0
	v_add_nc_u32_e32 v3, v26, v3
	s_delay_alu instid0(VALU_DEP_1) | instskip(NEXT) | instid1(VALU_DEP_1)
	v_mov_b32_dpp v26, v3 row_shr:2 row_mask:0xf bank_mask:0xf
	v_cndmask_b32_e64 v26, 0, v26, s1
	s_delay_alu instid0(VALU_DEP_1) | instskip(NEXT) | instid1(VALU_DEP_1)
	v_add_nc_u32_e32 v3, v3, v26
	v_mov_b32_dpp v26, v3 row_shr:4 row_mask:0xf bank_mask:0xf
	s_delay_alu instid0(VALU_DEP_1) | instskip(NEXT) | instid1(VALU_DEP_1)
	v_cndmask_b32_e64 v26, 0, v26, s2
	v_add_nc_u32_e32 v3, v3, v26
	s_delay_alu instid0(VALU_DEP_1) | instskip(NEXT) | instid1(VALU_DEP_1)
	v_mov_b32_dpp v26, v3 row_shr:8 row_mask:0xf bank_mask:0xf
	v_cndmask_b32_e64 v26, 0, v26, s3
	s_delay_alu instid0(VALU_DEP_1) | instskip(SKIP_3) | instid1(VALU_DEP_1)
	v_add_nc_u32_e32 v3, v3, v26
	ds_swizzle_b32 v26, v3 offset:swizzle(BROADCAST,32,15)
	s_waitcnt lgkmcnt(0)
	v_cndmask_b32_e64 v26, v26, 0, s4
	v_add_nc_u32_e32 v3, v3, v26
	s_and_saveexec_b32 s11, s10
	s_cbranch_execz .LBB344_22
; %bb.21:                               ;   in Loop: Header=BB344_2 Depth=1
	ds_store_b32 v17, v3
.LBB344_22:                             ;   in Loop: Header=BB344_2 Depth=1
	s_or_b32 exec_lo, exec_lo, s11
	s_waitcnt lgkmcnt(0)
	s_barrier
	buffer_gl0_inv
	s_and_saveexec_b32 s11, s5
	s_cbranch_execz .LBB344_24
; %bb.23:                               ;   in Loop: Header=BB344_2 Depth=1
	ds_load_b32 v26, v19
	s_waitcnt lgkmcnt(0)
	v_mov_b32_dpp v27, v26 row_shr:1 row_mask:0xf bank_mask:0xf
	s_delay_alu instid0(VALU_DEP_1) | instskip(NEXT) | instid1(VALU_DEP_1)
	v_cndmask_b32_e64 v27, v27, 0, s8
	v_add_nc_u32_e32 v26, v27, v26
	s_delay_alu instid0(VALU_DEP_1) | instskip(NEXT) | instid1(VALU_DEP_1)
	v_mov_b32_dpp v27, v26 row_shr:2 row_mask:0xf bank_mask:0xf
	v_cndmask_b32_e64 v27, 0, v27, s9
	s_delay_alu instid0(VALU_DEP_1)
	v_add_nc_u32_e32 v26, v26, v27
	ds_store_b32 v19, v26
.LBB344_24:                             ;   in Loop: Header=BB344_2 Depth=1
	s_or_b32 exec_lo, exec_lo, s11
	v_mov_b32_e32 v26, 0
	s_waitcnt lgkmcnt(0)
	s_barrier
	buffer_gl0_inv
	s_and_saveexec_b32 s11, s6
	s_cbranch_execz .LBB344_26
; %bb.25:                               ;   in Loop: Header=BB344_2 Depth=1
	ds_load_b32 v26, v20
.LBB344_26:                             ;   in Loop: Header=BB344_2 Depth=1
	s_or_b32 exec_lo, exec_lo, s11
	s_waitcnt lgkmcnt(0)
	v_add_nc_u32_e32 v3, v26, v3
	ds_bpermute_b32 v3, v18, v3
	s_waitcnt lgkmcnt(0)
	v_cndmask_b32_e32 v3, v3, v26, vcc_lo
	s_delay_alu instid0(VALU_DEP_1) | instskip(NEXT) | instid1(VALU_DEP_1)
	v_cndmask_b32_e64 v3, v3, 0, s7
	v_add_nc_u32_e32 v4, v3, v4
	s_delay_alu instid0(VALU_DEP_1) | instskip(NEXT) | instid1(VALU_DEP_1)
	v_add_nc_u32_e32 v5, v4, v5
	v_add_nc_u32_e32 v6, v5, v6
	s_delay_alu instid0(VALU_DEP_1) | instskip(NEXT) | instid1(VALU_DEP_1)
	v_add_nc_u32_e32 v26, v6, v7
	;; [unrolled: 3-line block ×3, first 2 shown]
	v_add_nc_u32_e32 v1, v0, v2
	ds_store_2addr_b64 v15, v[3:4], v[5:6] offset0:2 offset1:3
	ds_store_2addr_b64 v16, v[26:27], v[0:1] offset0:2 offset1:3
	s_waitcnt lgkmcnt(0)
	s_barrier
	buffer_gl0_inv
	ds_load_b32 v0, v25
	v_lshlrev_b32_e32 v1, 3, v24
	s_waitcnt lgkmcnt(0)
	s_barrier
	buffer_gl0_inv
	v_lshl_add_u32 v0, v0, 3, v1
	ds_store_b64 v0, v[13:14]
	s_waitcnt lgkmcnt(0)
	s_barrier
	buffer_gl0_inv
	ds_load_b64 v[13:14], v21
	s_waitcnt lgkmcnt(0)
	s_barrier
	buffer_gl0_inv
	v_bfe_u32 v0, v14, 24, 1
	v_lshrrev_b32_e32 v5, 24, v14
	s_delay_alu instid0(VALU_DEP_2) | instskip(NEXT) | instid1(VALU_DEP_1)
	v_add_co_u32 v0, s11, v0, -1
	v_cndmask_b32_e64 v1, 0, 1, s11
	s_delay_alu instid0(VALU_DEP_3)
	v_lshlrev_b32_e32 v2, 30, v5
	v_lshlrev_b32_e32 v3, 29, v5
	;; [unrolled: 1-line block ×4, first 2 shown]
	v_cmp_ne_u32_e64 s11, 0, v1
	v_not_b32_e32 v1, v2
	v_cmp_gt_i32_e64 s12, 0, v2
	v_not_b32_e32 v2, v3
	v_lshlrev_b32_e32 v7, 26, v5
	v_xor_b32_e32 v0, s11, v0
	v_ashrrev_i32_e32 v1, 31, v1
	v_cmp_gt_i32_e64 s11, 0, v3
	v_not_b32_e32 v3, v4
	v_ashrrev_i32_e32 v2, 31, v2
	v_and_b32_e32 v0, exec_lo, v0
	v_xor_b32_e32 v1, s12, v1
	v_cmp_gt_i32_e64 s12, 0, v4
	v_not_b32_e32 v4, v6
	v_ashrrev_i32_e32 v3, 31, v3
	v_xor_b32_e32 v2, s11, v2
	v_and_b32_e32 v0, v0, v1
	v_lshlrev_b32_e32 v24, 25, v5
	v_cmp_gt_i32_e64 s11, 0, v6
	v_not_b32_e32 v1, v7
	v_ashrrev_i32_e32 v4, 31, v4
	v_xor_b32_e32 v3, s12, v3
	v_and_b32_e32 v0, v0, v2
	v_cmp_gt_i32_e64 s12, 0, v7
	v_not_b32_e32 v2, v24
	v_ashrrev_i32_e32 v1, 31, v1
	v_xor_b32_e32 v4, s11, v4
	v_and_b32_e32 v0, v0, v3
	v_not_b32_e32 v3, v14
	v_cmp_gt_i32_e64 s11, 0, v24
	v_ashrrev_i32_e32 v2, 31, v2
	v_xor_b32_e32 v1, s12, v1
	v_and_b32_e32 v0, v0, v4
	v_cmp_gt_i32_e64 s12, 0, v14
	v_ashrrev_i32_e32 v3, 31, v3
	v_xor_b32_e32 v2, s11, v2
	s_delay_alu instid0(VALU_DEP_4) | instskip(NEXT) | instid1(VALU_DEP_3)
	v_and_b32_e32 v0, v0, v1
	v_xor_b32_e32 v3, s12, v3
	s_delay_alu instid0(VALU_DEP_2) | instskip(SKIP_1) | instid1(VALU_DEP_2)
	v_dual_mov_b32 v1, s20 :: v_dual_and_b32 v0, v0, v2
	v_mov_b32_e32 v2, s21
	v_dual_mov_b32 v3, s16 :: v_dual_and_b32 v0, v0, v3
	v_mov_b32_e32 v4, s17
	ds_store_2addr_b64 v15, v[1:2], v[3:4] offset0:2 offset1:3
	ds_store_2addr_b64 v16, v[1:2], v[3:4] offset0:2 offset1:3
	v_mbcnt_lo_u32_b32 v24, v0, 0
	v_lshl_add_u32 v1, v5, 2, v22
	v_cmp_ne_u32_e64 s12, 0, v0
	s_waitcnt lgkmcnt(0)
	s_barrier
	v_cmp_eq_u32_e64 s11, 0, v24
	v_lshl_add_u32 v25, v1, 2, 16
	buffer_gl0_inv
	; wave barrier
	s_and_b32 s12, s12, s11
	s_delay_alu instid0(SALU_CYCLE_1)
	s_and_saveexec_b32 s11, s12
	s_cbranch_execz .LBB344_28
; %bb.27:                               ;   in Loop: Header=BB344_2 Depth=1
	v_bcnt_u32_b32 v0, v0, 0
	ds_store_b32 v25, v0
.LBB344_28:                             ;   in Loop: Header=BB344_2 Depth=1
	s_or_b32 exec_lo, exec_lo, s11
	; wave barrier
	s_waitcnt lgkmcnt(0)
	s_barrier
	buffer_gl0_inv
	ds_load_2addr_b64 v[4:7], v15 offset0:2 offset1:3
	ds_load_2addr_b64 v[0:3], v16 offset0:2 offset1:3
	s_waitcnt lgkmcnt(1)
	v_add_nc_u32_e32 v26, v5, v4
	s_delay_alu instid0(VALU_DEP_1) | instskip(SKIP_1) | instid1(VALU_DEP_1)
	v_add3_u32 v26, v26, v6, v7
	s_waitcnt lgkmcnt(0)
	v_add3_u32 v26, v26, v0, v1
	s_delay_alu instid0(VALU_DEP_1) | instskip(NEXT) | instid1(VALU_DEP_1)
	v_add3_u32 v3, v26, v2, v3
	v_mov_b32_dpp v26, v3 row_shr:1 row_mask:0xf bank_mask:0xf
	s_delay_alu instid0(VALU_DEP_1) | instskip(NEXT) | instid1(VALU_DEP_1)
	v_cndmask_b32_e64 v26, v26, 0, s0
	v_add_nc_u32_e32 v3, v26, v3
	s_delay_alu instid0(VALU_DEP_1) | instskip(NEXT) | instid1(VALU_DEP_1)
	v_mov_b32_dpp v26, v3 row_shr:2 row_mask:0xf bank_mask:0xf
	v_cndmask_b32_e64 v26, 0, v26, s1
	s_delay_alu instid0(VALU_DEP_1) | instskip(NEXT) | instid1(VALU_DEP_1)
	v_add_nc_u32_e32 v3, v3, v26
	v_mov_b32_dpp v26, v3 row_shr:4 row_mask:0xf bank_mask:0xf
	s_delay_alu instid0(VALU_DEP_1) | instskip(NEXT) | instid1(VALU_DEP_1)
	v_cndmask_b32_e64 v26, 0, v26, s2
	v_add_nc_u32_e32 v3, v3, v26
	s_delay_alu instid0(VALU_DEP_1) | instskip(NEXT) | instid1(VALU_DEP_1)
	v_mov_b32_dpp v26, v3 row_shr:8 row_mask:0xf bank_mask:0xf
	v_cndmask_b32_e64 v26, 0, v26, s3
	s_delay_alu instid0(VALU_DEP_1) | instskip(SKIP_3) | instid1(VALU_DEP_1)
	v_add_nc_u32_e32 v3, v3, v26
	ds_swizzle_b32 v26, v3 offset:swizzle(BROADCAST,32,15)
	s_waitcnt lgkmcnt(0)
	v_cndmask_b32_e64 v26, v26, 0, s4
	v_add_nc_u32_e32 v3, v3, v26
	s_and_saveexec_b32 s11, s10
	s_cbranch_execz .LBB344_30
; %bb.29:                               ;   in Loop: Header=BB344_2 Depth=1
	ds_store_b32 v17, v3
.LBB344_30:                             ;   in Loop: Header=BB344_2 Depth=1
	s_or_b32 exec_lo, exec_lo, s11
	s_waitcnt lgkmcnt(0)
	s_barrier
	buffer_gl0_inv
	s_and_saveexec_b32 s11, s5
	s_cbranch_execz .LBB344_32
; %bb.31:                               ;   in Loop: Header=BB344_2 Depth=1
	ds_load_b32 v26, v19
	s_waitcnt lgkmcnt(0)
	v_mov_b32_dpp v27, v26 row_shr:1 row_mask:0xf bank_mask:0xf
	s_delay_alu instid0(VALU_DEP_1) | instskip(NEXT) | instid1(VALU_DEP_1)
	v_cndmask_b32_e64 v27, v27, 0, s8
	v_add_nc_u32_e32 v26, v27, v26
	s_delay_alu instid0(VALU_DEP_1) | instskip(NEXT) | instid1(VALU_DEP_1)
	v_mov_b32_dpp v27, v26 row_shr:2 row_mask:0xf bank_mask:0xf
	v_cndmask_b32_e64 v27, 0, v27, s9
	s_delay_alu instid0(VALU_DEP_1)
	v_add_nc_u32_e32 v26, v26, v27
	ds_store_b32 v19, v26
.LBB344_32:                             ;   in Loop: Header=BB344_2 Depth=1
	s_or_b32 exec_lo, exec_lo, s11
	v_mov_b32_e32 v26, 0
	s_waitcnt lgkmcnt(0)
	s_barrier
	buffer_gl0_inv
	s_and_saveexec_b32 s11, s6
	s_cbranch_execz .LBB344_34
; %bb.33:                               ;   in Loop: Header=BB344_2 Depth=1
	ds_load_b32 v26, v20
.LBB344_34:                             ;   in Loop: Header=BB344_2 Depth=1
	s_or_b32 exec_lo, exec_lo, s11
	s_waitcnt lgkmcnt(0)
	v_add_nc_u32_e32 v3, v26, v3
	ds_bpermute_b32 v3, v18, v3
	s_waitcnt lgkmcnt(0)
	v_cndmask_b32_e32 v3, v3, v26, vcc_lo
	s_delay_alu instid0(VALU_DEP_1) | instskip(NEXT) | instid1(VALU_DEP_1)
	v_cndmask_b32_e64 v3, v3, 0, s7
	v_add_nc_u32_e32 v4, v3, v4
	s_delay_alu instid0(VALU_DEP_1) | instskip(NEXT) | instid1(VALU_DEP_1)
	v_add_nc_u32_e32 v5, v4, v5
	v_add_nc_u32_e32 v6, v5, v6
	s_delay_alu instid0(VALU_DEP_1) | instskip(NEXT) | instid1(VALU_DEP_1)
	v_add_nc_u32_e32 v26, v6, v7
	;; [unrolled: 3-line block ×3, first 2 shown]
	v_add_nc_u32_e32 v1, v0, v2
	ds_store_2addr_b64 v15, v[3:4], v[5:6] offset0:2 offset1:3
	ds_store_2addr_b64 v16, v[26:27], v[0:1] offset0:2 offset1:3
	s_waitcnt lgkmcnt(0)
	s_barrier
	buffer_gl0_inv
	ds_load_b32 v0, v25
	v_lshlrev_b32_e32 v1, 3, v24
	s_waitcnt lgkmcnt(0)
	s_barrier
	buffer_gl0_inv
	v_lshl_add_u32 v0, v0, 3, v1
	ds_store_b64 v0, v[13:14]
	s_waitcnt lgkmcnt(0)
	s_barrier
	buffer_gl0_inv
	ds_load_b64 v[13:14], v21
	s_waitcnt lgkmcnt(0)
	s_barrier
	buffer_gl0_inv
	v_and_b32_e32 v0, 1, v13
	v_lshlrev_b32_e32 v1, 30, v13
	v_lshlrev_b32_e32 v2, 29, v13
	;; [unrolled: 1-line block ×4, first 2 shown]
	v_add_co_u32 v0, s11, v0, -1
	s_delay_alu instid0(VALU_DEP_1)
	v_cndmask_b32_e64 v4, 0, 1, s11
	v_not_b32_e32 v24, v1
	v_cmp_gt_i32_e64 s12, 0, v1
	v_not_b32_e32 v1, v2
	v_lshlrev_b32_e32 v6, 26, v13
	v_cmp_ne_u32_e64 s11, 0, v4
	v_ashrrev_i32_e32 v24, 31, v24
	v_lshlrev_b32_e32 v7, 25, v13
	v_ashrrev_i32_e32 v1, 31, v1
	v_lshlrev_b32_e32 v4, 24, v13
	v_xor_b32_e32 v0, s11, v0
	v_cmp_gt_i32_e64 s11, 0, v2
	v_not_b32_e32 v2, v3
	v_xor_b32_e32 v24, s12, v24
	v_cmp_gt_i32_e64 s12, 0, v3
	v_and_b32_e32 v0, exec_lo, v0
	v_not_b32_e32 v3, v5
	v_ashrrev_i32_e32 v2, 31, v2
	v_xor_b32_e32 v1, s11, v1
	v_cmp_gt_i32_e64 s11, 0, v5
	v_and_b32_e32 v0, v0, v24
	v_not_b32_e32 v5, v6
	v_ashrrev_i32_e32 v3, 31, v3
	v_xor_b32_e32 v2, s12, v2
	v_cmp_gt_i32_e64 s12, 0, v6
	v_and_b32_e32 v0, v0, v1
	;; [unrolled: 5-line block ×3, first 2 shown]
	v_not_b32_e32 v2, v4
	v_ashrrev_i32_e32 v1, 31, v1
	v_xor_b32_e32 v5, s12, v5
	v_cmp_gt_i32_e64 s12, 0, v4
	v_dual_mov_b32 v3, s16 :: v_dual_and_b32 v0, v0, v3
	v_ashrrev_i32_e32 v2, 31, v2
	v_xor_b32_e32 v1, s11, v1
	v_mov_b32_e32 v4, s17
	s_delay_alu instid0(VALU_DEP_4) | instskip(NEXT) | instid1(VALU_DEP_4)
	v_and_b32_e32 v0, v0, v5
	v_xor_b32_e32 v5, s12, v2
	s_delay_alu instid0(VALU_DEP_2)
	v_dual_mov_b32 v1, s20 :: v_dual_and_b32 v0, v0, v1
	v_mov_b32_e32 v2, s21
	ds_store_2addr_b64 v15, v[1:2], v[3:4] offset0:2 offset1:3
	ds_store_2addr_b64 v16, v[1:2], v[3:4] offset0:2 offset1:3
	v_and_b32_e32 v0, v0, v5
	v_and_b32_e32 v5, 0xff, v13
	s_waitcnt lgkmcnt(0)
	s_barrier
	buffer_gl0_inv
	v_mbcnt_lo_u32_b32 v24, v0, 0
	v_lshl_add_u32 v1, v5, 2, v22
	v_cmp_ne_u32_e64 s12, 0, v0
	; wave barrier
	s_delay_alu instid0(VALU_DEP_3) | instskip(NEXT) | instid1(VALU_DEP_3)
	v_cmp_eq_u32_e64 s11, 0, v24
	v_lshl_add_u32 v25, v1, 2, 16
	s_delay_alu instid0(VALU_DEP_2) | instskip(NEXT) | instid1(SALU_CYCLE_1)
	s_and_b32 s12, s12, s11
	s_and_saveexec_b32 s11, s12
	s_cbranch_execz .LBB344_36
; %bb.35:                               ;   in Loop: Header=BB344_2 Depth=1
	v_bcnt_u32_b32 v0, v0, 0
	ds_store_b32 v25, v0
.LBB344_36:                             ;   in Loop: Header=BB344_2 Depth=1
	s_or_b32 exec_lo, exec_lo, s11
	; wave barrier
	s_waitcnt lgkmcnt(0)
	s_barrier
	buffer_gl0_inv
	ds_load_2addr_b64 v[4:7], v15 offset0:2 offset1:3
	ds_load_2addr_b64 v[0:3], v16 offset0:2 offset1:3
	s_waitcnt lgkmcnt(1)
	v_add_nc_u32_e32 v26, v5, v4
	s_delay_alu instid0(VALU_DEP_1) | instskip(SKIP_1) | instid1(VALU_DEP_1)
	v_add3_u32 v26, v26, v6, v7
	s_waitcnt lgkmcnt(0)
	v_add3_u32 v26, v26, v0, v1
	s_delay_alu instid0(VALU_DEP_1) | instskip(NEXT) | instid1(VALU_DEP_1)
	v_add3_u32 v3, v26, v2, v3
	v_mov_b32_dpp v26, v3 row_shr:1 row_mask:0xf bank_mask:0xf
	s_delay_alu instid0(VALU_DEP_1) | instskip(NEXT) | instid1(VALU_DEP_1)
	v_cndmask_b32_e64 v26, v26, 0, s0
	v_add_nc_u32_e32 v3, v26, v3
	s_delay_alu instid0(VALU_DEP_1) | instskip(NEXT) | instid1(VALU_DEP_1)
	v_mov_b32_dpp v26, v3 row_shr:2 row_mask:0xf bank_mask:0xf
	v_cndmask_b32_e64 v26, 0, v26, s1
	s_delay_alu instid0(VALU_DEP_1) | instskip(NEXT) | instid1(VALU_DEP_1)
	v_add_nc_u32_e32 v3, v3, v26
	v_mov_b32_dpp v26, v3 row_shr:4 row_mask:0xf bank_mask:0xf
	s_delay_alu instid0(VALU_DEP_1) | instskip(NEXT) | instid1(VALU_DEP_1)
	v_cndmask_b32_e64 v26, 0, v26, s2
	v_add_nc_u32_e32 v3, v3, v26
	s_delay_alu instid0(VALU_DEP_1) | instskip(NEXT) | instid1(VALU_DEP_1)
	v_mov_b32_dpp v26, v3 row_shr:8 row_mask:0xf bank_mask:0xf
	v_cndmask_b32_e64 v26, 0, v26, s3
	s_delay_alu instid0(VALU_DEP_1) | instskip(SKIP_3) | instid1(VALU_DEP_1)
	v_add_nc_u32_e32 v3, v3, v26
	ds_swizzle_b32 v26, v3 offset:swizzle(BROADCAST,32,15)
	s_waitcnt lgkmcnt(0)
	v_cndmask_b32_e64 v26, v26, 0, s4
	v_add_nc_u32_e32 v3, v3, v26
	s_and_saveexec_b32 s11, s10
	s_cbranch_execz .LBB344_38
; %bb.37:                               ;   in Loop: Header=BB344_2 Depth=1
	ds_store_b32 v17, v3
.LBB344_38:                             ;   in Loop: Header=BB344_2 Depth=1
	s_or_b32 exec_lo, exec_lo, s11
	s_waitcnt lgkmcnt(0)
	s_barrier
	buffer_gl0_inv
	s_and_saveexec_b32 s11, s5
	s_cbranch_execz .LBB344_40
; %bb.39:                               ;   in Loop: Header=BB344_2 Depth=1
	ds_load_b32 v26, v19
	s_waitcnt lgkmcnt(0)
	v_mov_b32_dpp v27, v26 row_shr:1 row_mask:0xf bank_mask:0xf
	s_delay_alu instid0(VALU_DEP_1) | instskip(NEXT) | instid1(VALU_DEP_1)
	v_cndmask_b32_e64 v27, v27, 0, s8
	v_add_nc_u32_e32 v26, v27, v26
	s_delay_alu instid0(VALU_DEP_1) | instskip(NEXT) | instid1(VALU_DEP_1)
	v_mov_b32_dpp v27, v26 row_shr:2 row_mask:0xf bank_mask:0xf
	v_cndmask_b32_e64 v27, 0, v27, s9
	s_delay_alu instid0(VALU_DEP_1)
	v_add_nc_u32_e32 v26, v26, v27
	ds_store_b32 v19, v26
.LBB344_40:                             ;   in Loop: Header=BB344_2 Depth=1
	s_or_b32 exec_lo, exec_lo, s11
	v_mov_b32_e32 v26, 0
	s_waitcnt lgkmcnt(0)
	s_barrier
	buffer_gl0_inv
	s_and_saveexec_b32 s11, s6
	s_cbranch_execz .LBB344_42
; %bb.41:                               ;   in Loop: Header=BB344_2 Depth=1
	ds_load_b32 v26, v20
.LBB344_42:                             ;   in Loop: Header=BB344_2 Depth=1
	s_or_b32 exec_lo, exec_lo, s11
	s_waitcnt lgkmcnt(0)
	v_add_nc_u32_e32 v3, v26, v3
	ds_bpermute_b32 v3, v18, v3
	s_waitcnt lgkmcnt(0)
	v_cndmask_b32_e32 v3, v3, v26, vcc_lo
	s_delay_alu instid0(VALU_DEP_1) | instskip(NEXT) | instid1(VALU_DEP_1)
	v_cndmask_b32_e64 v3, v3, 0, s7
	v_add_nc_u32_e32 v4, v3, v4
	s_delay_alu instid0(VALU_DEP_1) | instskip(NEXT) | instid1(VALU_DEP_1)
	v_add_nc_u32_e32 v5, v4, v5
	v_add_nc_u32_e32 v6, v5, v6
	s_delay_alu instid0(VALU_DEP_1) | instskip(NEXT) | instid1(VALU_DEP_1)
	v_add_nc_u32_e32 v26, v6, v7
	;; [unrolled: 3-line block ×3, first 2 shown]
	v_add_nc_u32_e32 v1, v0, v2
	ds_store_2addr_b64 v15, v[3:4], v[5:6] offset0:2 offset1:3
	ds_store_2addr_b64 v16, v[26:27], v[0:1] offset0:2 offset1:3
	s_waitcnt lgkmcnt(0)
	s_barrier
	buffer_gl0_inv
	ds_load_b32 v0, v25
	v_lshlrev_b32_e32 v1, 3, v24
	s_waitcnt lgkmcnt(0)
	s_barrier
	buffer_gl0_inv
	v_lshl_add_u32 v0, v0, 3, v1
	ds_store_b64 v0, v[13:14]
	s_waitcnt lgkmcnt(0)
	s_barrier
	buffer_gl0_inv
	ds_load_b64 v[13:14], v21
	s_waitcnt lgkmcnt(0)
	s_barrier
	buffer_gl0_inv
	v_bfe_u32 v0, v13, 8, 1
	v_lshrrev_b32_e32 v1, 8, v13
	s_delay_alu instid0(VALU_DEP_2) | instskip(NEXT) | instid1(VALU_DEP_1)
	v_add_co_u32 v0, s11, v0, -1
	v_cndmask_b32_e64 v2, 0, 1, s11
	s_delay_alu instid0(VALU_DEP_3)
	v_lshlrev_b32_e32 v3, 30, v1
	v_lshlrev_b32_e32 v4, 29, v1
	;; [unrolled: 1-line block ×4, first 2 shown]
	v_cmp_ne_u32_e64 s11, 0, v2
	v_not_b32_e32 v2, v3
	v_cmp_gt_i32_e64 s12, 0, v3
	v_not_b32_e32 v3, v4
	v_lshlrev_b32_e32 v7, 26, v1
	v_xor_b32_e32 v0, s11, v0
	v_ashrrev_i32_e32 v2, 31, v2
	v_cmp_gt_i32_e64 s11, 0, v4
	v_not_b32_e32 v4, v5
	v_ashrrev_i32_e32 v3, 31, v3
	v_and_b32_e32 v0, exec_lo, v0
	v_xor_b32_e32 v2, s12, v2
	v_cmp_gt_i32_e64 s12, 0, v5
	v_not_b32_e32 v5, v6
	v_ashrrev_i32_e32 v4, 31, v4
	v_xor_b32_e32 v3, s11, v3
	v_and_b32_e32 v0, v0, v2
	v_lshlrev_b32_e32 v24, 25, v1
	v_cmp_gt_i32_e64 s11, 0, v6
	v_not_b32_e32 v2, v7
	v_ashrrev_i32_e32 v5, 31, v5
	v_xor_b32_e32 v4, s12, v4
	v_and_b32_e32 v0, v0, v3
	v_lshlrev_b32_e32 v1, 24, v1
	v_cmp_gt_i32_e64 s12, 0, v7
	v_not_b32_e32 v3, v24
	v_ashrrev_i32_e32 v2, 31, v2
	v_xor_b32_e32 v5, s11, v5
	v_and_b32_e32 v0, v0, v4
	v_cmp_gt_i32_e64 s11, 0, v24
	v_not_b32_e32 v4, v1
	v_ashrrev_i32_e32 v3, 31, v3
	v_xor_b32_e32 v2, s12, v2
	v_and_b32_e32 v0, v0, v5
	v_cmp_gt_i32_e64 s12, 0, v1
	v_ashrrev_i32_e32 v1, 31, v4
	v_xor_b32_e32 v3, s11, v3
	v_lshrrev_b32_e32 v6, 6, v13
	v_and_b32_e32 v0, v0, v2
	s_delay_alu instid0(VALU_DEP_4) | instskip(SKIP_1) | instid1(VALU_DEP_3)
	v_xor_b32_e32 v5, s12, v1
	v_dual_mov_b32 v1, s20 :: v_dual_mov_b32 v2, s21
	v_dual_mov_b32 v3, s16 :: v_dual_and_b32 v0, v0, v3
	v_mov_b32_e32 v4, s17
	ds_store_2addr_b64 v15, v[1:2], v[3:4] offset0:2 offset1:3
	ds_store_2addr_b64 v16, v[1:2], v[3:4] offset0:2 offset1:3
	v_and_b32_e32 v0, v0, v5
	v_and_b32_e32 v5, 0x3fc, v6
	s_waitcnt lgkmcnt(0)
	s_barrier
	buffer_gl0_inv
	v_mbcnt_lo_u32_b32 v24, v0, 0
	v_add_nc_u32_e32 v1, v5, v22
	v_cmp_ne_u32_e64 s12, 0, v0
	; wave barrier
	s_delay_alu instid0(VALU_DEP_3) | instskip(NEXT) | instid1(VALU_DEP_3)
	v_cmp_eq_u32_e64 s11, 0, v24
	v_lshl_add_u32 v25, v1, 2, 16
	s_delay_alu instid0(VALU_DEP_2) | instskip(NEXT) | instid1(SALU_CYCLE_1)
	s_and_b32 s12, s12, s11
	s_and_saveexec_b32 s11, s12
	s_cbranch_execz .LBB344_44
; %bb.43:                               ;   in Loop: Header=BB344_2 Depth=1
	v_bcnt_u32_b32 v0, v0, 0
	ds_store_b32 v25, v0
.LBB344_44:                             ;   in Loop: Header=BB344_2 Depth=1
	s_or_b32 exec_lo, exec_lo, s11
	; wave barrier
	s_waitcnt lgkmcnt(0)
	s_barrier
	buffer_gl0_inv
	ds_load_2addr_b64 v[4:7], v15 offset0:2 offset1:3
	ds_load_2addr_b64 v[0:3], v16 offset0:2 offset1:3
	s_waitcnt lgkmcnt(1)
	v_add_nc_u32_e32 v26, v5, v4
	s_delay_alu instid0(VALU_DEP_1) | instskip(SKIP_1) | instid1(VALU_DEP_1)
	v_add3_u32 v26, v26, v6, v7
	s_waitcnt lgkmcnt(0)
	v_add3_u32 v26, v26, v0, v1
	s_delay_alu instid0(VALU_DEP_1) | instskip(NEXT) | instid1(VALU_DEP_1)
	v_add3_u32 v3, v26, v2, v3
	v_mov_b32_dpp v26, v3 row_shr:1 row_mask:0xf bank_mask:0xf
	s_delay_alu instid0(VALU_DEP_1) | instskip(NEXT) | instid1(VALU_DEP_1)
	v_cndmask_b32_e64 v26, v26, 0, s0
	v_add_nc_u32_e32 v3, v26, v3
	s_delay_alu instid0(VALU_DEP_1) | instskip(NEXT) | instid1(VALU_DEP_1)
	v_mov_b32_dpp v26, v3 row_shr:2 row_mask:0xf bank_mask:0xf
	v_cndmask_b32_e64 v26, 0, v26, s1
	s_delay_alu instid0(VALU_DEP_1) | instskip(NEXT) | instid1(VALU_DEP_1)
	v_add_nc_u32_e32 v3, v3, v26
	v_mov_b32_dpp v26, v3 row_shr:4 row_mask:0xf bank_mask:0xf
	s_delay_alu instid0(VALU_DEP_1) | instskip(NEXT) | instid1(VALU_DEP_1)
	v_cndmask_b32_e64 v26, 0, v26, s2
	v_add_nc_u32_e32 v3, v3, v26
	s_delay_alu instid0(VALU_DEP_1) | instskip(NEXT) | instid1(VALU_DEP_1)
	v_mov_b32_dpp v26, v3 row_shr:8 row_mask:0xf bank_mask:0xf
	v_cndmask_b32_e64 v26, 0, v26, s3
	s_delay_alu instid0(VALU_DEP_1) | instskip(SKIP_3) | instid1(VALU_DEP_1)
	v_add_nc_u32_e32 v3, v3, v26
	ds_swizzle_b32 v26, v3 offset:swizzle(BROADCAST,32,15)
	s_waitcnt lgkmcnt(0)
	v_cndmask_b32_e64 v26, v26, 0, s4
	v_add_nc_u32_e32 v3, v3, v26
	s_and_saveexec_b32 s11, s10
	s_cbranch_execz .LBB344_46
; %bb.45:                               ;   in Loop: Header=BB344_2 Depth=1
	ds_store_b32 v17, v3
.LBB344_46:                             ;   in Loop: Header=BB344_2 Depth=1
	s_or_b32 exec_lo, exec_lo, s11
	s_waitcnt lgkmcnt(0)
	s_barrier
	buffer_gl0_inv
	s_and_saveexec_b32 s11, s5
	s_cbranch_execz .LBB344_48
; %bb.47:                               ;   in Loop: Header=BB344_2 Depth=1
	ds_load_b32 v26, v19
	s_waitcnt lgkmcnt(0)
	v_mov_b32_dpp v27, v26 row_shr:1 row_mask:0xf bank_mask:0xf
	s_delay_alu instid0(VALU_DEP_1) | instskip(NEXT) | instid1(VALU_DEP_1)
	v_cndmask_b32_e64 v27, v27, 0, s8
	v_add_nc_u32_e32 v26, v27, v26
	s_delay_alu instid0(VALU_DEP_1) | instskip(NEXT) | instid1(VALU_DEP_1)
	v_mov_b32_dpp v27, v26 row_shr:2 row_mask:0xf bank_mask:0xf
	v_cndmask_b32_e64 v27, 0, v27, s9
	s_delay_alu instid0(VALU_DEP_1)
	v_add_nc_u32_e32 v26, v26, v27
	ds_store_b32 v19, v26
.LBB344_48:                             ;   in Loop: Header=BB344_2 Depth=1
	s_or_b32 exec_lo, exec_lo, s11
	v_mov_b32_e32 v26, 0
	s_waitcnt lgkmcnt(0)
	s_barrier
	buffer_gl0_inv
	s_and_saveexec_b32 s11, s6
	s_cbranch_execz .LBB344_50
; %bb.49:                               ;   in Loop: Header=BB344_2 Depth=1
	ds_load_b32 v26, v20
.LBB344_50:                             ;   in Loop: Header=BB344_2 Depth=1
	s_or_b32 exec_lo, exec_lo, s11
	s_waitcnt lgkmcnt(0)
	v_add_nc_u32_e32 v3, v26, v3
	ds_bpermute_b32 v3, v18, v3
	s_waitcnt lgkmcnt(0)
	v_cndmask_b32_e32 v3, v3, v26, vcc_lo
	s_delay_alu instid0(VALU_DEP_1) | instskip(NEXT) | instid1(VALU_DEP_1)
	v_cndmask_b32_e64 v3, v3, 0, s7
	v_add_nc_u32_e32 v4, v3, v4
	s_delay_alu instid0(VALU_DEP_1) | instskip(NEXT) | instid1(VALU_DEP_1)
	v_add_nc_u32_e32 v5, v4, v5
	v_add_nc_u32_e32 v6, v5, v6
	s_delay_alu instid0(VALU_DEP_1) | instskip(NEXT) | instid1(VALU_DEP_1)
	v_add_nc_u32_e32 v26, v6, v7
	;; [unrolled: 3-line block ×3, first 2 shown]
	v_add_nc_u32_e32 v1, v0, v2
	ds_store_2addr_b64 v15, v[3:4], v[5:6] offset0:2 offset1:3
	ds_store_2addr_b64 v16, v[26:27], v[0:1] offset0:2 offset1:3
	s_waitcnt lgkmcnt(0)
	s_barrier
	buffer_gl0_inv
	ds_load_b32 v0, v25
	v_lshlrev_b32_e32 v1, 3, v24
	s_waitcnt lgkmcnt(0)
	s_barrier
	buffer_gl0_inv
	v_lshl_add_u32 v0, v0, 3, v1
	ds_store_b64 v0, v[13:14]
	s_waitcnt lgkmcnt(0)
	s_barrier
	buffer_gl0_inv
	ds_load_b64 v[13:14], v21
	s_waitcnt lgkmcnt(0)
	s_barrier
	buffer_gl0_inv
	v_bfe_u32 v0, v13, 16, 1
	v_lshrrev_b32_e32 v1, 16, v13
	s_delay_alu instid0(VALU_DEP_2) | instskip(NEXT) | instid1(VALU_DEP_1)
	v_add_co_u32 v0, s11, v0, -1
	v_cndmask_b32_e64 v2, 0, 1, s11
	s_delay_alu instid0(VALU_DEP_3)
	v_lshlrev_b32_e32 v3, 30, v1
	v_lshlrev_b32_e32 v4, 29, v1
	;; [unrolled: 1-line block ×4, first 2 shown]
	v_cmp_ne_u32_e64 s11, 0, v2
	v_not_b32_e32 v2, v3
	v_cmp_gt_i32_e64 s12, 0, v3
	v_not_b32_e32 v3, v4
	v_lshlrev_b32_e32 v7, 26, v1
	v_xor_b32_e32 v0, s11, v0
	v_ashrrev_i32_e32 v2, 31, v2
	v_cmp_gt_i32_e64 s11, 0, v4
	v_not_b32_e32 v4, v5
	v_ashrrev_i32_e32 v3, 31, v3
	v_and_b32_e32 v0, exec_lo, v0
	v_xor_b32_e32 v2, s12, v2
	v_cmp_gt_i32_e64 s12, 0, v5
	v_not_b32_e32 v5, v6
	v_ashrrev_i32_e32 v4, 31, v4
	v_xor_b32_e32 v3, s11, v3
	v_and_b32_e32 v0, v0, v2
	v_lshlrev_b32_e32 v24, 25, v1
	v_cmp_gt_i32_e64 s11, 0, v6
	v_not_b32_e32 v2, v7
	v_ashrrev_i32_e32 v5, 31, v5
	v_xor_b32_e32 v4, s12, v4
	v_and_b32_e32 v0, v0, v3
	v_lshlrev_b32_e32 v1, 24, v1
	v_cmp_gt_i32_e64 s12, 0, v7
	v_not_b32_e32 v3, v24
	v_ashrrev_i32_e32 v2, 31, v2
	v_xor_b32_e32 v5, s11, v5
	v_and_b32_e32 v0, v0, v4
	v_cmp_gt_i32_e64 s11, 0, v24
	v_not_b32_e32 v4, v1
	v_ashrrev_i32_e32 v3, 31, v3
	v_xor_b32_e32 v2, s12, v2
	v_and_b32_e32 v0, v0, v5
	v_cmp_gt_i32_e64 s12, 0, v1
	v_ashrrev_i32_e32 v1, 31, v4
	v_xor_b32_e32 v3, s11, v3
	v_lshrrev_b32_e32 v6, 14, v13
	v_and_b32_e32 v0, v0, v2
	s_delay_alu instid0(VALU_DEP_4) | instskip(SKIP_1) | instid1(VALU_DEP_3)
	v_xor_b32_e32 v5, s12, v1
	v_dual_mov_b32 v1, s20 :: v_dual_mov_b32 v2, s21
	v_dual_mov_b32 v3, s16 :: v_dual_and_b32 v0, v0, v3
	v_mov_b32_e32 v4, s17
	ds_store_2addr_b64 v15, v[1:2], v[3:4] offset0:2 offset1:3
	ds_store_2addr_b64 v16, v[1:2], v[3:4] offset0:2 offset1:3
	v_and_b32_e32 v0, v0, v5
	v_and_b32_e32 v5, 0x3fc, v6
	s_waitcnt lgkmcnt(0)
	s_barrier
	buffer_gl0_inv
	v_mbcnt_lo_u32_b32 v24, v0, 0
	v_add_nc_u32_e32 v1, v5, v22
	v_cmp_ne_u32_e64 s12, 0, v0
	; wave barrier
	s_delay_alu instid0(VALU_DEP_3) | instskip(NEXT) | instid1(VALU_DEP_3)
	v_cmp_eq_u32_e64 s11, 0, v24
	v_lshl_add_u32 v25, v1, 2, 16
	s_delay_alu instid0(VALU_DEP_2) | instskip(NEXT) | instid1(SALU_CYCLE_1)
	s_and_b32 s12, s12, s11
	s_and_saveexec_b32 s11, s12
	s_cbranch_execz .LBB344_52
; %bb.51:                               ;   in Loop: Header=BB344_2 Depth=1
	v_bcnt_u32_b32 v0, v0, 0
	ds_store_b32 v25, v0
.LBB344_52:                             ;   in Loop: Header=BB344_2 Depth=1
	s_or_b32 exec_lo, exec_lo, s11
	; wave barrier
	s_waitcnt lgkmcnt(0)
	s_barrier
	buffer_gl0_inv
	ds_load_2addr_b64 v[4:7], v15 offset0:2 offset1:3
	ds_load_2addr_b64 v[0:3], v16 offset0:2 offset1:3
	s_waitcnt lgkmcnt(1)
	v_add_nc_u32_e32 v26, v5, v4
	s_delay_alu instid0(VALU_DEP_1) | instskip(SKIP_1) | instid1(VALU_DEP_1)
	v_add3_u32 v26, v26, v6, v7
	s_waitcnt lgkmcnt(0)
	v_add3_u32 v26, v26, v0, v1
	s_delay_alu instid0(VALU_DEP_1) | instskip(NEXT) | instid1(VALU_DEP_1)
	v_add3_u32 v3, v26, v2, v3
	v_mov_b32_dpp v26, v3 row_shr:1 row_mask:0xf bank_mask:0xf
	s_delay_alu instid0(VALU_DEP_1) | instskip(NEXT) | instid1(VALU_DEP_1)
	v_cndmask_b32_e64 v26, v26, 0, s0
	v_add_nc_u32_e32 v3, v26, v3
	s_delay_alu instid0(VALU_DEP_1) | instskip(NEXT) | instid1(VALU_DEP_1)
	v_mov_b32_dpp v26, v3 row_shr:2 row_mask:0xf bank_mask:0xf
	v_cndmask_b32_e64 v26, 0, v26, s1
	s_delay_alu instid0(VALU_DEP_1) | instskip(NEXT) | instid1(VALU_DEP_1)
	v_add_nc_u32_e32 v3, v3, v26
	v_mov_b32_dpp v26, v3 row_shr:4 row_mask:0xf bank_mask:0xf
	s_delay_alu instid0(VALU_DEP_1) | instskip(NEXT) | instid1(VALU_DEP_1)
	v_cndmask_b32_e64 v26, 0, v26, s2
	v_add_nc_u32_e32 v3, v3, v26
	s_delay_alu instid0(VALU_DEP_1) | instskip(NEXT) | instid1(VALU_DEP_1)
	v_mov_b32_dpp v26, v3 row_shr:8 row_mask:0xf bank_mask:0xf
	v_cndmask_b32_e64 v26, 0, v26, s3
	s_delay_alu instid0(VALU_DEP_1) | instskip(SKIP_3) | instid1(VALU_DEP_1)
	v_add_nc_u32_e32 v3, v3, v26
	ds_swizzle_b32 v26, v3 offset:swizzle(BROADCAST,32,15)
	s_waitcnt lgkmcnt(0)
	v_cndmask_b32_e64 v26, v26, 0, s4
	v_add_nc_u32_e32 v3, v3, v26
	s_and_saveexec_b32 s11, s10
	s_cbranch_execz .LBB344_54
; %bb.53:                               ;   in Loop: Header=BB344_2 Depth=1
	ds_store_b32 v17, v3
.LBB344_54:                             ;   in Loop: Header=BB344_2 Depth=1
	s_or_b32 exec_lo, exec_lo, s11
	s_waitcnt lgkmcnt(0)
	s_barrier
	buffer_gl0_inv
	s_and_saveexec_b32 s11, s5
	s_cbranch_execz .LBB344_56
; %bb.55:                               ;   in Loop: Header=BB344_2 Depth=1
	ds_load_b32 v26, v19
	s_waitcnt lgkmcnt(0)
	v_mov_b32_dpp v27, v26 row_shr:1 row_mask:0xf bank_mask:0xf
	s_delay_alu instid0(VALU_DEP_1) | instskip(NEXT) | instid1(VALU_DEP_1)
	v_cndmask_b32_e64 v27, v27, 0, s8
	v_add_nc_u32_e32 v26, v27, v26
	s_delay_alu instid0(VALU_DEP_1) | instskip(NEXT) | instid1(VALU_DEP_1)
	v_mov_b32_dpp v27, v26 row_shr:2 row_mask:0xf bank_mask:0xf
	v_cndmask_b32_e64 v27, 0, v27, s9
	s_delay_alu instid0(VALU_DEP_1)
	v_add_nc_u32_e32 v26, v26, v27
	ds_store_b32 v19, v26
.LBB344_56:                             ;   in Loop: Header=BB344_2 Depth=1
	s_or_b32 exec_lo, exec_lo, s11
	v_mov_b32_e32 v26, 0
	s_waitcnt lgkmcnt(0)
	s_barrier
	buffer_gl0_inv
	s_and_saveexec_b32 s11, s6
	s_cbranch_execz .LBB344_58
; %bb.57:                               ;   in Loop: Header=BB344_2 Depth=1
	ds_load_b32 v26, v20
.LBB344_58:                             ;   in Loop: Header=BB344_2 Depth=1
	s_or_b32 exec_lo, exec_lo, s11
	s_waitcnt lgkmcnt(0)
	v_add_nc_u32_e32 v3, v26, v3
	ds_bpermute_b32 v3, v18, v3
	s_waitcnt lgkmcnt(0)
	v_cndmask_b32_e32 v3, v3, v26, vcc_lo
	s_delay_alu instid0(VALU_DEP_1) | instskip(NEXT) | instid1(VALU_DEP_1)
	v_cndmask_b32_e64 v3, v3, 0, s7
	v_add_nc_u32_e32 v4, v3, v4
	s_delay_alu instid0(VALU_DEP_1) | instskip(NEXT) | instid1(VALU_DEP_1)
	v_add_nc_u32_e32 v5, v4, v5
	v_add_nc_u32_e32 v6, v5, v6
	s_delay_alu instid0(VALU_DEP_1) | instskip(NEXT) | instid1(VALU_DEP_1)
	v_add_nc_u32_e32 v26, v6, v7
	v_add_nc_u32_e32 v27, v26, v0
	s_delay_alu instid0(VALU_DEP_1) | instskip(NEXT) | instid1(VALU_DEP_1)
	v_add_nc_u32_e32 v0, v27, v1
	v_add_nc_u32_e32 v1, v0, v2
	ds_store_2addr_b64 v15, v[3:4], v[5:6] offset0:2 offset1:3
	ds_store_2addr_b64 v16, v[26:27], v[0:1] offset0:2 offset1:3
	s_waitcnt lgkmcnt(0)
	s_barrier
	buffer_gl0_inv
	ds_load_b32 v0, v25
	v_lshlrev_b32_e32 v1, 3, v24
	s_waitcnt lgkmcnt(0)
	s_barrier
	buffer_gl0_inv
	v_lshl_add_u32 v0, v0, 3, v1
	ds_store_b64 v0, v[13:14]
	s_waitcnt lgkmcnt(0)
	s_barrier
	buffer_gl0_inv
	ds_load_b64 v[13:14], v21
	s_waitcnt lgkmcnt(0)
	s_barrier
	buffer_gl0_inv
	v_bfe_u32 v0, v13, 24, 1
	v_lshrrev_b32_e32 v5, 24, v13
	s_delay_alu instid0(VALU_DEP_2) | instskip(NEXT) | instid1(VALU_DEP_1)
	v_add_co_u32 v0, s11, v0, -1
	v_cndmask_b32_e64 v1, 0, 1, s11
	s_delay_alu instid0(VALU_DEP_3)
	v_lshlrev_b32_e32 v2, 30, v5
	v_lshlrev_b32_e32 v3, 29, v5
	;; [unrolled: 1-line block ×4, first 2 shown]
	v_cmp_ne_u32_e64 s11, 0, v1
	v_not_b32_e32 v1, v2
	v_cmp_gt_i32_e64 s12, 0, v2
	v_not_b32_e32 v2, v3
	v_lshlrev_b32_e32 v7, 26, v5
	v_xor_b32_e32 v0, s11, v0
	v_ashrrev_i32_e32 v1, 31, v1
	v_cmp_gt_i32_e64 s11, 0, v3
	v_not_b32_e32 v3, v4
	v_ashrrev_i32_e32 v2, 31, v2
	v_and_b32_e32 v0, exec_lo, v0
	v_xor_b32_e32 v1, s12, v1
	v_cmp_gt_i32_e64 s12, 0, v4
	v_not_b32_e32 v4, v6
	v_ashrrev_i32_e32 v3, 31, v3
	v_xor_b32_e32 v2, s11, v2
	v_and_b32_e32 v0, v0, v1
	v_lshlrev_b32_e32 v24, 25, v5
	v_cmp_gt_i32_e64 s11, 0, v6
	v_not_b32_e32 v1, v7
	v_ashrrev_i32_e32 v4, 31, v4
	v_xor_b32_e32 v3, s12, v3
	v_and_b32_e32 v0, v0, v2
	v_cmp_gt_i32_e64 s12, 0, v7
	v_not_b32_e32 v2, v24
	v_ashrrev_i32_e32 v1, 31, v1
	v_xor_b32_e32 v4, s11, v4
	v_and_b32_e32 v0, v0, v3
	v_not_b32_e32 v3, v13
	v_cmp_gt_i32_e64 s11, 0, v24
	v_ashrrev_i32_e32 v2, 31, v2
	v_xor_b32_e32 v1, s12, v1
	v_and_b32_e32 v0, v0, v4
	v_cmp_gt_i32_e64 s12, 0, v13
	v_ashrrev_i32_e32 v3, 31, v3
	v_xor_b32_e32 v2, s11, v2
	s_delay_alu instid0(VALU_DEP_4) | instskip(NEXT) | instid1(VALU_DEP_3)
	v_and_b32_e32 v0, v0, v1
	v_xor_b32_e32 v3, s12, v3
	s_delay_alu instid0(VALU_DEP_2) | instskip(SKIP_1) | instid1(VALU_DEP_2)
	v_dual_mov_b32 v1, s20 :: v_dual_and_b32 v0, v0, v2
	v_mov_b32_e32 v2, s21
	v_dual_mov_b32 v3, s16 :: v_dual_and_b32 v0, v0, v3
	v_mov_b32_e32 v4, s17
	ds_store_2addr_b64 v15, v[1:2], v[3:4] offset0:2 offset1:3
	ds_store_2addr_b64 v16, v[1:2], v[3:4] offset0:2 offset1:3
	v_mbcnt_lo_u32_b32 v24, v0, 0
	v_lshl_add_u32 v1, v5, 2, v22
	v_cmp_ne_u32_e64 s12, 0, v0
	s_waitcnt lgkmcnt(0)
	s_barrier
	v_cmp_eq_u32_e64 s11, 0, v24
	v_lshl_add_u32 v25, v1, 2, 16
	buffer_gl0_inv
	; wave barrier
	s_and_b32 s12, s12, s11
	s_delay_alu instid0(SALU_CYCLE_1)
	s_and_saveexec_b32 s11, s12
	s_cbranch_execz .LBB344_60
; %bb.59:                               ;   in Loop: Header=BB344_2 Depth=1
	v_bcnt_u32_b32 v0, v0, 0
	ds_store_b32 v25, v0
.LBB344_60:                             ;   in Loop: Header=BB344_2 Depth=1
	s_or_b32 exec_lo, exec_lo, s11
	; wave barrier
	s_waitcnt lgkmcnt(0)
	s_barrier
	buffer_gl0_inv
	ds_load_2addr_b64 v[4:7], v15 offset0:2 offset1:3
	ds_load_2addr_b64 v[0:3], v16 offset0:2 offset1:3
	s_waitcnt lgkmcnt(1)
	v_add_nc_u32_e32 v26, v5, v4
	s_delay_alu instid0(VALU_DEP_1) | instskip(SKIP_1) | instid1(VALU_DEP_1)
	v_add3_u32 v26, v26, v6, v7
	s_waitcnt lgkmcnt(0)
	v_add3_u32 v26, v26, v0, v1
	s_delay_alu instid0(VALU_DEP_1) | instskip(NEXT) | instid1(VALU_DEP_1)
	v_add3_u32 v3, v26, v2, v3
	v_mov_b32_dpp v26, v3 row_shr:1 row_mask:0xf bank_mask:0xf
	s_delay_alu instid0(VALU_DEP_1) | instskip(NEXT) | instid1(VALU_DEP_1)
	v_cndmask_b32_e64 v26, v26, 0, s0
	v_add_nc_u32_e32 v3, v26, v3
	s_delay_alu instid0(VALU_DEP_1) | instskip(NEXT) | instid1(VALU_DEP_1)
	v_mov_b32_dpp v26, v3 row_shr:2 row_mask:0xf bank_mask:0xf
	v_cndmask_b32_e64 v26, 0, v26, s1
	s_delay_alu instid0(VALU_DEP_1) | instskip(NEXT) | instid1(VALU_DEP_1)
	v_add_nc_u32_e32 v3, v3, v26
	v_mov_b32_dpp v26, v3 row_shr:4 row_mask:0xf bank_mask:0xf
	s_delay_alu instid0(VALU_DEP_1) | instskip(NEXT) | instid1(VALU_DEP_1)
	v_cndmask_b32_e64 v26, 0, v26, s2
	v_add_nc_u32_e32 v3, v3, v26
	s_delay_alu instid0(VALU_DEP_1) | instskip(NEXT) | instid1(VALU_DEP_1)
	v_mov_b32_dpp v26, v3 row_shr:8 row_mask:0xf bank_mask:0xf
	v_cndmask_b32_e64 v26, 0, v26, s3
	s_delay_alu instid0(VALU_DEP_1) | instskip(SKIP_3) | instid1(VALU_DEP_1)
	v_add_nc_u32_e32 v3, v3, v26
	ds_swizzle_b32 v26, v3 offset:swizzle(BROADCAST,32,15)
	s_waitcnt lgkmcnt(0)
	v_cndmask_b32_e64 v26, v26, 0, s4
	v_add_nc_u32_e32 v3, v3, v26
	s_and_saveexec_b32 s11, s10
	s_cbranch_execz .LBB344_62
; %bb.61:                               ;   in Loop: Header=BB344_2 Depth=1
	ds_store_b32 v17, v3
.LBB344_62:                             ;   in Loop: Header=BB344_2 Depth=1
	s_or_b32 exec_lo, exec_lo, s11
	s_waitcnt lgkmcnt(0)
	s_barrier
	buffer_gl0_inv
	s_and_saveexec_b32 s11, s5
	s_cbranch_execz .LBB344_64
; %bb.63:                               ;   in Loop: Header=BB344_2 Depth=1
	ds_load_b32 v26, v19
	s_waitcnt lgkmcnt(0)
	v_mov_b32_dpp v27, v26 row_shr:1 row_mask:0xf bank_mask:0xf
	s_delay_alu instid0(VALU_DEP_1) | instskip(NEXT) | instid1(VALU_DEP_1)
	v_cndmask_b32_e64 v27, v27, 0, s8
	v_add_nc_u32_e32 v26, v27, v26
	s_delay_alu instid0(VALU_DEP_1) | instskip(NEXT) | instid1(VALU_DEP_1)
	v_mov_b32_dpp v27, v26 row_shr:2 row_mask:0xf bank_mask:0xf
	v_cndmask_b32_e64 v27, 0, v27, s9
	s_delay_alu instid0(VALU_DEP_1)
	v_add_nc_u32_e32 v26, v26, v27
	ds_store_b32 v19, v26
.LBB344_64:                             ;   in Loop: Header=BB344_2 Depth=1
	s_or_b32 exec_lo, exec_lo, s11
	v_mov_b32_e32 v26, 0
	s_waitcnt lgkmcnt(0)
	s_barrier
	buffer_gl0_inv
	s_and_saveexec_b32 s11, s6
	s_cbranch_execz .LBB344_1
; %bb.65:                               ;   in Loop: Header=BB344_2 Depth=1
	ds_load_b32 v26, v20
	s_branch .LBB344_1
.LBB344_66:
	s_waitcnt lgkmcnt(0)
	v_xor_b32_e32 v1, 0x80000000, v14
	v_xor_b32_e32 v0, 0x80000000, v13
	v_lshlrev_b32_e32 v2, 3, v8
	s_add_u32 s0, s18, s14
	s_addc_u32 s1, s19, s15
	global_store_b64 v2, v[0:1], s[0:1]
	s_nop 0
	s_sendmsg sendmsg(MSG_DEALLOC_VGPRS)
	s_endpgm
	.section	.rodata,"a",@progbits
	.p2align	6, 0x0
	.amdhsa_kernel _Z16sort_keys_kernelI22helper_blocked_stripedN15benchmark_utils11custom_typeIiiEELj128ELj1ELj10EEvPKT0_PS4_
		.amdhsa_group_segment_fixed_size 4112
		.amdhsa_private_segment_fixed_size 0
		.amdhsa_kernarg_size 272
		.amdhsa_user_sgpr_count 15
		.amdhsa_user_sgpr_dispatch_ptr 0
		.amdhsa_user_sgpr_queue_ptr 0
		.amdhsa_user_sgpr_kernarg_segment_ptr 1
		.amdhsa_user_sgpr_dispatch_id 0
		.amdhsa_user_sgpr_private_segment_size 0
		.amdhsa_wavefront_size32 1
		.amdhsa_uses_dynamic_stack 0
		.amdhsa_enable_private_segment 0
		.amdhsa_system_sgpr_workgroup_id_x 1
		.amdhsa_system_sgpr_workgroup_id_y 0
		.amdhsa_system_sgpr_workgroup_id_z 0
		.amdhsa_system_sgpr_workgroup_info 0
		.amdhsa_system_vgpr_workitem_id 2
		.amdhsa_next_free_vgpr 28
		.amdhsa_next_free_sgpr 23
		.amdhsa_reserve_vcc 1
		.amdhsa_float_round_mode_32 0
		.amdhsa_float_round_mode_16_64 0
		.amdhsa_float_denorm_mode_32 3
		.amdhsa_float_denorm_mode_16_64 3
		.amdhsa_dx10_clamp 1
		.amdhsa_ieee_mode 1
		.amdhsa_fp16_overflow 0
		.amdhsa_workgroup_processor_mode 1
		.amdhsa_memory_ordered 1
		.amdhsa_forward_progress 0
		.amdhsa_shared_vgpr_count 0
		.amdhsa_exception_fp_ieee_invalid_op 0
		.amdhsa_exception_fp_denorm_src 0
		.amdhsa_exception_fp_ieee_div_zero 0
		.amdhsa_exception_fp_ieee_overflow 0
		.amdhsa_exception_fp_ieee_underflow 0
		.amdhsa_exception_fp_ieee_inexact 0
		.amdhsa_exception_int_div_zero 0
	.end_amdhsa_kernel
	.section	.text._Z16sort_keys_kernelI22helper_blocked_stripedN15benchmark_utils11custom_typeIiiEELj128ELj1ELj10EEvPKT0_PS4_,"axG",@progbits,_Z16sort_keys_kernelI22helper_blocked_stripedN15benchmark_utils11custom_typeIiiEELj128ELj1ELj10EEvPKT0_PS4_,comdat
.Lfunc_end344:
	.size	_Z16sort_keys_kernelI22helper_blocked_stripedN15benchmark_utils11custom_typeIiiEELj128ELj1ELj10EEvPKT0_PS4_, .Lfunc_end344-_Z16sort_keys_kernelI22helper_blocked_stripedN15benchmark_utils11custom_typeIiiEELj128ELj1ELj10EEvPKT0_PS4_
                                        ; -- End function
	.section	.AMDGPU.csdata,"",@progbits
; Kernel info:
; codeLenInByte = 7932
; NumSgprs: 25
; NumVgprs: 28
; ScratchSize: 0
; MemoryBound: 0
; FloatMode: 240
; IeeeMode: 1
; LDSByteSize: 4112 bytes/workgroup (compile time only)
; SGPRBlocks: 3
; VGPRBlocks: 3
; NumSGPRsForWavesPerEU: 25
; NumVGPRsForWavesPerEU: 28
; Occupancy: 16
; WaveLimiterHint : 0
; COMPUTE_PGM_RSRC2:SCRATCH_EN: 0
; COMPUTE_PGM_RSRC2:USER_SGPR: 15
; COMPUTE_PGM_RSRC2:TRAP_HANDLER: 0
; COMPUTE_PGM_RSRC2:TGID_X_EN: 1
; COMPUTE_PGM_RSRC2:TGID_Y_EN: 0
; COMPUTE_PGM_RSRC2:TGID_Z_EN: 0
; COMPUTE_PGM_RSRC2:TIDIG_COMP_CNT: 2
	.section	.text._Z17sort_pairs_kernelI22helper_blocked_stripedN15benchmark_utils11custom_typeIiiEELj128ELj1ELj10EEvPKT0_PS4_,"axG",@progbits,_Z17sort_pairs_kernelI22helper_blocked_stripedN15benchmark_utils11custom_typeIiiEELj128ELj1ELj10EEvPKT0_PS4_,comdat
	.protected	_Z17sort_pairs_kernelI22helper_blocked_stripedN15benchmark_utils11custom_typeIiiEELj128ELj1ELj10EEvPKT0_PS4_ ; -- Begin function _Z17sort_pairs_kernelI22helper_blocked_stripedN15benchmark_utils11custom_typeIiiEELj128ELj1ELj10EEvPKT0_PS4_
	.globl	_Z17sort_pairs_kernelI22helper_blocked_stripedN15benchmark_utils11custom_typeIiiEELj128ELj1ELj10EEvPKT0_PS4_
	.p2align	8
	.type	_Z17sort_pairs_kernelI22helper_blocked_stripedN15benchmark_utils11custom_typeIiiEELj128ELj1ELj10EEvPKT0_PS4_,@function
_Z17sort_pairs_kernelI22helper_blocked_stripedN15benchmark_utils11custom_typeIiiEELj128ELj1ELj10EEvPKT0_PS4_: ; @_Z17sort_pairs_kernelI22helper_blocked_stripedN15benchmark_utils11custom_typeIiiEELj128ELj1ELj10EEvPKT0_PS4_
; %bb.0:
	s_clause 0x1
	s_load_b128 s[16:19], s[0:1], 0x0
	s_load_b32 s10, s[0:1], 0x1c
	s_mov_b32 s21, 0
	s_lshl_b32 s20, s15, 7
	v_mbcnt_lo_u32_b32 v5, -1, 0
	s_lshl_b64 s[14:15], s[20:21], 3
	v_bfe_u32 v3, v0, 10, 10
	s_mov_b32 s20, s21
	s_mov_b32 s22, 10
	v_and_b32_e32 v6, 16, v5
	v_add_nc_u32_e32 v7, -1, v5
	v_dual_mov_b32 v11, s20 :: v_dual_and_b32 v4, 15, v5
	v_dual_mov_b32 v12, s21 :: v_dual_and_b32 v13, 3, v5
	s_delay_alu instid0(VALU_DEP_4) | instskip(NEXT) | instid1(VALU_DEP_4)
	v_cmp_eq_u32_e64 s4, 0, v6
	v_cmp_gt_i32_e64 s7, 0, v7
	s_delay_alu instid0(VALU_DEP_4)
	v_cmp_lt_u32_e64 s2, 3, v4
	v_cmp_lt_u32_e64 s3, 7, v4
	v_cmp_eq_u32_e64 s8, 0, v13
	s_waitcnt lgkmcnt(0)
	s_add_u32 s0, s16, s14
	s_addc_u32 s1, s17, s15
	s_mov_b32 s16, s21
	s_mov_b32 s17, s21
	v_dual_mov_b32 v9, s16 :: v_dual_and_b32 v8, 0x3ff, v0
	v_mov_b32_e32 v10, s17
	v_bfe_u32 v0, v0, 20, 10
	s_lshr_b32 s11, s10, 16
	s_delay_alu instid0(VALU_DEP_3)
	v_lshlrev_b32_e32 v1, 3, v8
	v_lshlrev_b32_e32 v19, 5, v8
	v_and_b32_e32 v6, 0x60, v8
	v_mad_u32_u24 v0, v0, s11, v3
	v_lshrrev_b32_e32 v14, 3, v8
	global_load_b64 v[1:2], v1, s[0:1]
	s_and_b32 s10, s10, 0xffff
	v_cmp_eq_u32_e64 s0, 0, v4
	v_cmp_lt_u32_e64 s1, 1, v4
	v_mad_u64_u32 v[3:4], null, v0, s10, v[8:9]
	v_cndmask_b32_e64 v7, v7, v5, s7
	v_cmp_lt_u32_e64 s9, 1, v13
	v_lshlrev_b32_e32 v17, 2, v8
	v_or_b32_e32 v13, 31, v6
	v_and_b32_e32 v21, 12, v14
	v_or_b32_e32 v0, v5, v6
	v_mad_i32_i24 v23, 0xffffffe4, v8, v19
	v_cmp_eq_u32_e32 vcc_lo, 0, v5
	v_cmp_gt_u32_e64 s5, 4, v8
	v_cmp_lt_u32_e64 s6, 31, v8
	v_cmp_eq_u32_e64 s7, 0, v8
	v_or_b32_e32 v20, 16, v19
	v_lshlrev_b32_e32 v22, 2, v7
	v_cmp_eq_u32_e64 s10, v13, v8
	v_add_nc_u32_e32 v24, -4, v21
	v_lshlrev_b32_e32 v25, 3, v0
	v_lshrrev_b32_e32 v26, 5, v3
	v_add_nc_u32_e32 v27, v23, v17
	s_waitcnt vmcnt(0)
	v_add_nc_u32_e32 v13, 1, v1
	v_add_nc_u32_e32 v14, 1, v2
	v_xor_b32_e32 v15, 0x80000000, v1
	v_xor_b32_e32 v16, 0x80000000, v2
	s_branch .LBB345_2
.LBB345_1:                              ;   in Loop: Header=BB345_2 Depth=1
	s_or_b32 exec_lo, exec_lo, s11
	s_waitcnt lgkmcnt(0)
	v_add_nc_u32_e32 v3, v28, v3
	s_add_i32 s22, s22, -1
	s_delay_alu instid0(SALU_CYCLE_1) | instskip(SKIP_3) | instid1(VALU_DEP_1)
	s_cmp_lg_u32 s22, 0
	ds_bpermute_b32 v3, v22, v3
	s_waitcnt lgkmcnt(0)
	v_cndmask_b32_e32 v3, v3, v28, vcc_lo
	v_cndmask_b32_e64 v3, v3, 0, s7
	s_delay_alu instid0(VALU_DEP_1) | instskip(NEXT) | instid1(VALU_DEP_1)
	v_add_nc_u32_e32 v4, v3, v4
	v_add_nc_u32_e32 v5, v4, v5
	s_delay_alu instid0(VALU_DEP_1) | instskip(NEXT) | instid1(VALU_DEP_1)
	v_add_nc_u32_e32 v6, v5, v6
	v_add_nc_u32_e32 v28, v6, v7
	;; [unrolled: 3-line block ×3, first 2 shown]
	s_delay_alu instid0(VALU_DEP_1)
	v_add_nc_u32_e32 v1, v0, v2
	ds_store_2addr_b64 v19, v[3:4], v[5:6] offset0:2 offset1:3
	ds_store_2addr_b64 v20, v[28:29], v[0:1] offset0:2 offset1:3
	s_waitcnt lgkmcnt(0)
	s_barrier
	buffer_gl0_inv
	ds_load_b32 v0, v16
	v_lshlrev_b32_e32 v1, 3, v15
	s_waitcnt lgkmcnt(0)
	s_barrier
	buffer_gl0_inv
	v_lshl_add_u32 v0, v0, 3, v1
	ds_store_b64 v0, v[13:14]
	s_waitcnt lgkmcnt(0)
	s_barrier
	buffer_gl0_inv
	ds_load_b64 v[15:16], v27
	s_waitcnt lgkmcnt(0)
	s_barrier
	buffer_gl0_inv
	ds_store_b64 v0, v[17:18]
	s_waitcnt lgkmcnt(0)
	s_barrier
	buffer_gl0_inv
	ds_load_b64 v[13:14], v27
	s_cbranch_scc0 .LBB345_66
.LBB345_2:                              ; =>This Inner Loop Header: Depth=1
	s_delay_alu instid0(VALU_DEP_1)
	v_and_b32_e32 v0, 1, v16
	v_lshlrev_b32_e32 v1, 30, v16
	v_lshlrev_b32_e32 v2, 29, v16
	;; [unrolled: 1-line block ×4, first 2 shown]
	v_add_co_u32 v0, s11, v0, -1
	s_delay_alu instid0(VALU_DEP_1)
	v_cndmask_b32_e64 v3, 0, 1, s11
	v_not_b32_e32 v7, v1
	v_cmp_gt_i32_e64 s12, 0, v1
	v_not_b32_e32 v1, v2
	v_lshlrev_b32_e32 v6, 26, v16
	v_cmp_ne_u32_e64 s11, 0, v3
	v_ashrrev_i32_e32 v7, 31, v7
	v_lshlrev_b32_e32 v3, 25, v16
	v_ashrrev_i32_e32 v1, 31, v1
	v_cmp_gt_i32_e64 s13, 0, v5
	v_xor_b32_e32 v0, s11, v0
	v_cmp_gt_i32_e64 s11, 0, v2
	v_not_b32_e32 v2, v4
	v_xor_b32_e32 v7, s12, v7
	v_cmp_gt_i32_e64 s12, 0, v4
	v_and_b32_e32 v0, exec_lo, v0
	v_xor_b32_e32 v1, s11, v1
	v_ashrrev_i32_e32 v2, 31, v2
	v_not_b32_e32 v4, v5
	v_not_b32_e32 v5, v6
	v_and_b32_e32 v0, v0, v7
	v_cmp_gt_i32_e64 s11, 0, v6
	v_xor_b32_e32 v2, s12, v2
	v_not_b32_e32 v6, v3
	ds_store_2addr_b64 v19, v[11:12], v[9:10] offset0:2 offset1:3
	ds_store_2addr_b64 v20, v[11:12], v[9:10] offset0:2 offset1:3
	v_and_b32_e32 v0, v0, v1
	v_ashrrev_i32_e32 v1, 31, v4
	v_ashrrev_i32_e32 v4, 31, v5
	v_lshlrev_b32_e32 v5, 24, v16
	s_waitcnt lgkmcnt(0)
	v_and_b32_e32 v0, v0, v2
	v_xor_b32_e32 v1, s13, v1
	v_xor_b32_e32 v2, s11, v4
	v_cmp_gt_i32_e64 s11, 0, v3
	v_not_b32_e32 v3, v5
	v_ashrrev_i32_e32 v4, 31, v6
	v_and_b32_e32 v0, v0, v1
	v_cmp_gt_i32_e64 s12, 0, v5
	s_barrier
	v_ashrrev_i32_e32 v1, 31, v3
	v_xor_b32_e32 v3, s11, v4
	v_and_b32_e32 v0, v0, v2
	buffer_gl0_inv
	v_xor_b32_e32 v1, s12, v1
	; wave barrier
	v_and_b32_e32 v0, v0, v3
	s_delay_alu instid0(VALU_DEP_1) | instskip(SKIP_1) | instid1(VALU_DEP_2)
	v_and_b32_e32 v0, v0, v1
	v_and_b32_e32 v1, 0xff, v16
	v_mbcnt_lo_u32_b32 v17, v0, 0
	s_delay_alu instid0(VALU_DEP_2) | instskip(SKIP_1) | instid1(VALU_DEP_3)
	v_lshl_add_u32 v1, v1, 2, v26
	v_cmp_ne_u32_e64 s12, 0, v0
	v_cmp_eq_u32_e64 s11, 0, v17
	s_delay_alu instid0(VALU_DEP_3) | instskip(NEXT) | instid1(VALU_DEP_2)
	v_lshl_add_u32 v18, v1, 2, 16
	s_and_b32 s12, s12, s11
	s_delay_alu instid0(SALU_CYCLE_1)
	s_and_saveexec_b32 s11, s12
	s_cbranch_execz .LBB345_4
; %bb.3:                                ;   in Loop: Header=BB345_2 Depth=1
	v_bcnt_u32_b32 v0, v0, 0
	ds_store_b32 v18, v0
.LBB345_4:                              ;   in Loop: Header=BB345_2 Depth=1
	s_or_b32 exec_lo, exec_lo, s11
	; wave barrier
	s_waitcnt lgkmcnt(0)
	s_barrier
	buffer_gl0_inv
	ds_load_2addr_b64 v[4:7], v19 offset0:2 offset1:3
	ds_load_2addr_b64 v[0:3], v20 offset0:2 offset1:3
	s_waitcnt lgkmcnt(1)
	v_add_nc_u32_e32 v28, v5, v4
	s_delay_alu instid0(VALU_DEP_1) | instskip(SKIP_1) | instid1(VALU_DEP_1)
	v_add3_u32 v28, v28, v6, v7
	s_waitcnt lgkmcnt(0)
	v_add3_u32 v28, v28, v0, v1
	s_delay_alu instid0(VALU_DEP_1) | instskip(NEXT) | instid1(VALU_DEP_1)
	v_add3_u32 v3, v28, v2, v3
	v_mov_b32_dpp v28, v3 row_shr:1 row_mask:0xf bank_mask:0xf
	s_delay_alu instid0(VALU_DEP_1) | instskip(NEXT) | instid1(VALU_DEP_1)
	v_cndmask_b32_e64 v28, v28, 0, s0
	v_add_nc_u32_e32 v3, v28, v3
	s_delay_alu instid0(VALU_DEP_1) | instskip(NEXT) | instid1(VALU_DEP_1)
	v_mov_b32_dpp v28, v3 row_shr:2 row_mask:0xf bank_mask:0xf
	v_cndmask_b32_e64 v28, 0, v28, s1
	s_delay_alu instid0(VALU_DEP_1) | instskip(NEXT) | instid1(VALU_DEP_1)
	v_add_nc_u32_e32 v3, v3, v28
	v_mov_b32_dpp v28, v3 row_shr:4 row_mask:0xf bank_mask:0xf
	s_delay_alu instid0(VALU_DEP_1) | instskip(NEXT) | instid1(VALU_DEP_1)
	v_cndmask_b32_e64 v28, 0, v28, s2
	v_add_nc_u32_e32 v3, v3, v28
	s_delay_alu instid0(VALU_DEP_1) | instskip(NEXT) | instid1(VALU_DEP_1)
	v_mov_b32_dpp v28, v3 row_shr:8 row_mask:0xf bank_mask:0xf
	v_cndmask_b32_e64 v28, 0, v28, s3
	s_delay_alu instid0(VALU_DEP_1) | instskip(SKIP_3) | instid1(VALU_DEP_1)
	v_add_nc_u32_e32 v3, v3, v28
	ds_swizzle_b32 v28, v3 offset:swizzle(BROADCAST,32,15)
	s_waitcnt lgkmcnt(0)
	v_cndmask_b32_e64 v28, v28, 0, s4
	v_add_nc_u32_e32 v3, v3, v28
	s_and_saveexec_b32 s11, s10
	s_cbranch_execz .LBB345_6
; %bb.5:                                ;   in Loop: Header=BB345_2 Depth=1
	ds_store_b32 v21, v3
.LBB345_6:                              ;   in Loop: Header=BB345_2 Depth=1
	s_or_b32 exec_lo, exec_lo, s11
	s_waitcnt lgkmcnt(0)
	s_barrier
	buffer_gl0_inv
	s_and_saveexec_b32 s11, s5
	s_cbranch_execz .LBB345_8
; %bb.7:                                ;   in Loop: Header=BB345_2 Depth=1
	ds_load_b32 v28, v23
	s_waitcnt lgkmcnt(0)
	v_mov_b32_dpp v29, v28 row_shr:1 row_mask:0xf bank_mask:0xf
	s_delay_alu instid0(VALU_DEP_1) | instskip(NEXT) | instid1(VALU_DEP_1)
	v_cndmask_b32_e64 v29, v29, 0, s8
	v_add_nc_u32_e32 v28, v29, v28
	s_delay_alu instid0(VALU_DEP_1) | instskip(NEXT) | instid1(VALU_DEP_1)
	v_mov_b32_dpp v29, v28 row_shr:2 row_mask:0xf bank_mask:0xf
	v_cndmask_b32_e64 v29, 0, v29, s9
	s_delay_alu instid0(VALU_DEP_1)
	v_add_nc_u32_e32 v28, v28, v29
	ds_store_b32 v23, v28
.LBB345_8:                              ;   in Loop: Header=BB345_2 Depth=1
	s_or_b32 exec_lo, exec_lo, s11
	v_mov_b32_e32 v28, 0
	s_waitcnt lgkmcnt(0)
	s_barrier
	buffer_gl0_inv
	s_and_saveexec_b32 s11, s6
	s_cbranch_execz .LBB345_10
; %bb.9:                                ;   in Loop: Header=BB345_2 Depth=1
	ds_load_b32 v28, v24
.LBB345_10:                             ;   in Loop: Header=BB345_2 Depth=1
	s_or_b32 exec_lo, exec_lo, s11
	s_waitcnt lgkmcnt(0)
	v_add_nc_u32_e32 v3, v28, v3
	ds_bpermute_b32 v3, v22, v3
	s_waitcnt lgkmcnt(0)
	v_cndmask_b32_e32 v3, v3, v28, vcc_lo
	s_delay_alu instid0(VALU_DEP_1) | instskip(NEXT) | instid1(VALU_DEP_1)
	v_cndmask_b32_e64 v3, v3, 0, s7
	v_add_nc_u32_e32 v4, v3, v4
	s_delay_alu instid0(VALU_DEP_1) | instskip(NEXT) | instid1(VALU_DEP_1)
	v_add_nc_u32_e32 v5, v4, v5
	v_add_nc_u32_e32 v6, v5, v6
	s_delay_alu instid0(VALU_DEP_1) | instskip(NEXT) | instid1(VALU_DEP_1)
	v_add_nc_u32_e32 v28, v6, v7
	;; [unrolled: 3-line block ×3, first 2 shown]
	v_add_nc_u32_e32 v1, v0, v2
	ds_store_2addr_b64 v19, v[3:4], v[5:6] offset0:2 offset1:3
	ds_store_2addr_b64 v20, v[28:29], v[0:1] offset0:2 offset1:3
	s_waitcnt lgkmcnt(0)
	s_barrier
	buffer_gl0_inv
	ds_load_b32 v0, v18
	v_lshlrev_b32_e32 v1, 3, v17
	s_waitcnt lgkmcnt(0)
	s_barrier
	buffer_gl0_inv
	v_lshl_add_u32 v0, v0, 3, v1
	ds_store_b64 v0, v[15:16]
	s_waitcnt lgkmcnt(0)
	s_barrier
	buffer_gl0_inv
	ds_load_b64 v[17:18], v25
	s_waitcnt lgkmcnt(0)
	s_barrier
	buffer_gl0_inv
	ds_store_b64 v0, v[13:14]
	s_waitcnt lgkmcnt(0)
	s_barrier
	buffer_gl0_inv
	v_bfe_u32 v1, v18, 8, 1
	v_lshrrev_b32_e32 v2, 8, v18
	s_delay_alu instid0(VALU_DEP_2) | instskip(NEXT) | instid1(VALU_DEP_1)
	v_add_co_u32 v1, s11, v1, -1
	v_cndmask_b32_e64 v3, 0, 1, s11
	s_delay_alu instid0(VALU_DEP_3)
	v_lshlrev_b32_e32 v4, 30, v2
	v_lshlrev_b32_e32 v5, 29, v2
	;; [unrolled: 1-line block ×4, first 2 shown]
	v_cmp_ne_u32_e64 s11, 0, v3
	v_not_b32_e32 v3, v4
	v_cmp_gt_i32_e64 s12, 0, v4
	v_not_b32_e32 v4, v5
	v_lshlrev_b32_e32 v15, 26, v2
	v_xor_b32_e32 v1, s11, v1
	v_ashrrev_i32_e32 v3, 31, v3
	v_cmp_gt_i32_e64 s11, 0, v5
	v_not_b32_e32 v5, v6
	v_ashrrev_i32_e32 v4, 31, v4
	v_and_b32_e32 v1, exec_lo, v1
	v_xor_b32_e32 v3, s12, v3
	v_cmp_gt_i32_e64 s12, 0, v6
	v_not_b32_e32 v6, v7
	v_ashrrev_i32_e32 v5, 31, v5
	v_xor_b32_e32 v4, s11, v4
	v_and_b32_e32 v1, v1, v3
	v_lshlrev_b32_e32 v16, 25, v2
	v_cmp_gt_i32_e64 s11, 0, v7
	v_not_b32_e32 v3, v15
	v_ashrrev_i32_e32 v6, 31, v6
	v_xor_b32_e32 v5, s12, v5
	v_and_b32_e32 v1, v1, v4
	v_lshlrev_b32_e32 v2, 24, v2
	v_cmp_gt_i32_e64 s12, 0, v15
	v_not_b32_e32 v4, v16
	v_ashrrev_i32_e32 v3, 31, v3
	v_xor_b32_e32 v6, s11, v6
	v_and_b32_e32 v1, v1, v5
	v_cmp_gt_i32_e64 s11, 0, v16
	v_not_b32_e32 v5, v2
	v_ashrrev_i32_e32 v4, 31, v4
	v_xor_b32_e32 v3, s12, v3
	v_and_b32_e32 v1, v1, v6
	v_cmp_gt_i32_e64 s12, 0, v2
	v_ashrrev_i32_e32 v2, 31, v5
	v_xor_b32_e32 v4, s11, v4
	ds_load_b64 v[15:16], v25
	v_and_b32_e32 v1, v1, v3
	s_waitcnt lgkmcnt(0)
	v_xor_b32_e32 v0, s12, v2
	v_lshrrev_b32_e32 v2, 6, v18
	s_barrier
	v_and_b32_e32 v1, v1, v4
	buffer_gl0_inv
	ds_store_2addr_b64 v19, v[11:12], v[9:10] offset0:2 offset1:3
	ds_store_2addr_b64 v20, v[11:12], v[9:10] offset0:2 offset1:3
	s_waitcnt lgkmcnt(0)
	s_barrier
	v_and_b32_e32 v0, v1, v0
	v_and_b32_e32 v1, 0x3fc, v2
	buffer_gl0_inv
	; wave barrier
	v_mbcnt_lo_u32_b32 v13, v0, 0
	v_add_nc_u32_e32 v1, v1, v26
	v_cmp_ne_u32_e64 s12, 0, v0
	s_delay_alu instid0(VALU_DEP_3) | instskip(NEXT) | instid1(VALU_DEP_3)
	v_cmp_eq_u32_e64 s11, 0, v13
	v_lshl_add_u32 v14, v1, 2, 16
	s_delay_alu instid0(VALU_DEP_2) | instskip(NEXT) | instid1(SALU_CYCLE_1)
	s_and_b32 s12, s12, s11
	s_and_saveexec_b32 s11, s12
	s_cbranch_execz .LBB345_12
; %bb.11:                               ;   in Loop: Header=BB345_2 Depth=1
	v_bcnt_u32_b32 v0, v0, 0
	ds_store_b32 v14, v0
.LBB345_12:                             ;   in Loop: Header=BB345_2 Depth=1
	s_or_b32 exec_lo, exec_lo, s11
	; wave barrier
	s_waitcnt lgkmcnt(0)
	s_barrier
	buffer_gl0_inv
	ds_load_2addr_b64 v[4:7], v19 offset0:2 offset1:3
	ds_load_2addr_b64 v[0:3], v20 offset0:2 offset1:3
	s_waitcnt lgkmcnt(1)
	v_add_nc_u32_e32 v28, v5, v4
	s_delay_alu instid0(VALU_DEP_1) | instskip(SKIP_1) | instid1(VALU_DEP_1)
	v_add3_u32 v28, v28, v6, v7
	s_waitcnt lgkmcnt(0)
	v_add3_u32 v28, v28, v0, v1
	s_delay_alu instid0(VALU_DEP_1) | instskip(NEXT) | instid1(VALU_DEP_1)
	v_add3_u32 v3, v28, v2, v3
	v_mov_b32_dpp v28, v3 row_shr:1 row_mask:0xf bank_mask:0xf
	s_delay_alu instid0(VALU_DEP_1) | instskip(NEXT) | instid1(VALU_DEP_1)
	v_cndmask_b32_e64 v28, v28, 0, s0
	v_add_nc_u32_e32 v3, v28, v3
	s_delay_alu instid0(VALU_DEP_1) | instskip(NEXT) | instid1(VALU_DEP_1)
	v_mov_b32_dpp v28, v3 row_shr:2 row_mask:0xf bank_mask:0xf
	v_cndmask_b32_e64 v28, 0, v28, s1
	s_delay_alu instid0(VALU_DEP_1) | instskip(NEXT) | instid1(VALU_DEP_1)
	v_add_nc_u32_e32 v3, v3, v28
	v_mov_b32_dpp v28, v3 row_shr:4 row_mask:0xf bank_mask:0xf
	s_delay_alu instid0(VALU_DEP_1) | instskip(NEXT) | instid1(VALU_DEP_1)
	v_cndmask_b32_e64 v28, 0, v28, s2
	v_add_nc_u32_e32 v3, v3, v28
	s_delay_alu instid0(VALU_DEP_1) | instskip(NEXT) | instid1(VALU_DEP_1)
	v_mov_b32_dpp v28, v3 row_shr:8 row_mask:0xf bank_mask:0xf
	v_cndmask_b32_e64 v28, 0, v28, s3
	s_delay_alu instid0(VALU_DEP_1) | instskip(SKIP_3) | instid1(VALU_DEP_1)
	v_add_nc_u32_e32 v3, v3, v28
	ds_swizzle_b32 v28, v3 offset:swizzle(BROADCAST,32,15)
	s_waitcnt lgkmcnt(0)
	v_cndmask_b32_e64 v28, v28, 0, s4
	v_add_nc_u32_e32 v3, v3, v28
	s_and_saveexec_b32 s11, s10
	s_cbranch_execz .LBB345_14
; %bb.13:                               ;   in Loop: Header=BB345_2 Depth=1
	ds_store_b32 v21, v3
.LBB345_14:                             ;   in Loop: Header=BB345_2 Depth=1
	s_or_b32 exec_lo, exec_lo, s11
	s_waitcnt lgkmcnt(0)
	s_barrier
	buffer_gl0_inv
	s_and_saveexec_b32 s11, s5
	s_cbranch_execz .LBB345_16
; %bb.15:                               ;   in Loop: Header=BB345_2 Depth=1
	ds_load_b32 v28, v23
	s_waitcnt lgkmcnt(0)
	v_mov_b32_dpp v29, v28 row_shr:1 row_mask:0xf bank_mask:0xf
	s_delay_alu instid0(VALU_DEP_1) | instskip(NEXT) | instid1(VALU_DEP_1)
	v_cndmask_b32_e64 v29, v29, 0, s8
	v_add_nc_u32_e32 v28, v29, v28
	s_delay_alu instid0(VALU_DEP_1) | instskip(NEXT) | instid1(VALU_DEP_1)
	v_mov_b32_dpp v29, v28 row_shr:2 row_mask:0xf bank_mask:0xf
	v_cndmask_b32_e64 v29, 0, v29, s9
	s_delay_alu instid0(VALU_DEP_1)
	v_add_nc_u32_e32 v28, v28, v29
	ds_store_b32 v23, v28
.LBB345_16:                             ;   in Loop: Header=BB345_2 Depth=1
	s_or_b32 exec_lo, exec_lo, s11
	v_mov_b32_e32 v28, 0
	s_waitcnt lgkmcnt(0)
	s_barrier
	buffer_gl0_inv
	s_and_saveexec_b32 s11, s6
	s_cbranch_execz .LBB345_18
; %bb.17:                               ;   in Loop: Header=BB345_2 Depth=1
	ds_load_b32 v28, v24
.LBB345_18:                             ;   in Loop: Header=BB345_2 Depth=1
	s_or_b32 exec_lo, exec_lo, s11
	s_waitcnt lgkmcnt(0)
	v_add_nc_u32_e32 v3, v28, v3
	ds_bpermute_b32 v3, v22, v3
	s_waitcnt lgkmcnt(0)
	v_cndmask_b32_e32 v3, v3, v28, vcc_lo
	s_delay_alu instid0(VALU_DEP_1) | instskip(NEXT) | instid1(VALU_DEP_1)
	v_cndmask_b32_e64 v3, v3, 0, s7
	v_add_nc_u32_e32 v4, v3, v4
	s_delay_alu instid0(VALU_DEP_1) | instskip(NEXT) | instid1(VALU_DEP_1)
	v_add_nc_u32_e32 v5, v4, v5
	v_add_nc_u32_e32 v6, v5, v6
	s_delay_alu instid0(VALU_DEP_1) | instskip(NEXT) | instid1(VALU_DEP_1)
	v_add_nc_u32_e32 v28, v6, v7
	v_add_nc_u32_e32 v29, v28, v0
	s_delay_alu instid0(VALU_DEP_1) | instskip(NEXT) | instid1(VALU_DEP_1)
	v_add_nc_u32_e32 v0, v29, v1
	v_add_nc_u32_e32 v1, v0, v2
	ds_store_2addr_b64 v19, v[3:4], v[5:6] offset0:2 offset1:3
	ds_store_2addr_b64 v20, v[28:29], v[0:1] offset0:2 offset1:3
	s_waitcnt lgkmcnt(0)
	s_barrier
	buffer_gl0_inv
	ds_load_b32 v0, v14
	v_lshlrev_b32_e32 v1, 3, v13
	s_waitcnt lgkmcnt(0)
	s_barrier
	buffer_gl0_inv
	v_lshl_add_u32 v0, v0, 3, v1
	v_dual_mov_b32 v1, s20 :: v_dual_mov_b32 v2, s21
	ds_store_b64 v0, v[17:18]
	s_waitcnt lgkmcnt(0)
	s_barrier
	buffer_gl0_inv
	ds_load_b64 v[13:14], v25
	s_waitcnt lgkmcnt(0)
	s_barrier
	buffer_gl0_inv
	ds_store_b64 v0, v[15:16]
	s_waitcnt lgkmcnt(0)
	s_barrier
	buffer_gl0_inv
	ds_load_b64 v[15:16], v25
	s_waitcnt lgkmcnt(0)
	s_barrier
	buffer_gl0_inv
	v_bfe_u32 v3, v14, 16, 1
	v_lshrrev_b32_e32 v4, 16, v14
	s_delay_alu instid0(VALU_DEP_2) | instskip(NEXT) | instid1(VALU_DEP_1)
	v_add_co_u32 v3, s11, v3, -1
	v_cndmask_b32_e64 v5, 0, 1, s11
	s_delay_alu instid0(VALU_DEP_3)
	v_lshlrev_b32_e32 v6, 30, v4
	v_lshlrev_b32_e32 v7, 29, v4
	;; [unrolled: 1-line block ×4, first 2 shown]
	v_cmp_ne_u32_e64 s11, 0, v5
	v_not_b32_e32 v5, v6
	v_cmp_gt_i32_e64 s12, 0, v6
	v_not_b32_e32 v6, v7
	v_lshlrev_b32_e32 v28, 26, v4
	v_xor_b32_e32 v3, s11, v3
	v_ashrrev_i32_e32 v5, 31, v5
	v_cmp_gt_i32_e64 s11, 0, v7
	v_not_b32_e32 v7, v17
	v_ashrrev_i32_e32 v6, 31, v6
	v_and_b32_e32 v3, exec_lo, v3
	v_xor_b32_e32 v5, s12, v5
	v_cmp_gt_i32_e64 s12, 0, v17
	v_not_b32_e32 v17, v18
	v_ashrrev_i32_e32 v7, 31, v7
	v_xor_b32_e32 v6, s11, v6
	v_and_b32_e32 v3, v3, v5
	v_lshlrev_b32_e32 v29, 25, v4
	v_cmp_gt_i32_e64 s11, 0, v18
	v_not_b32_e32 v5, v28
	v_ashrrev_i32_e32 v17, 31, v17
	v_xor_b32_e32 v7, s12, v7
	v_and_b32_e32 v3, v3, v6
	v_lshlrev_b32_e32 v4, 24, v4
	v_cmp_gt_i32_e64 s12, 0, v28
	v_not_b32_e32 v6, v29
	v_ashrrev_i32_e32 v5, 31, v5
	v_xor_b32_e32 v17, s11, v17
	v_and_b32_e32 v3, v3, v7
	v_cmp_gt_i32_e64 s11, 0, v29
	v_not_b32_e32 v7, v4
	v_ashrrev_i32_e32 v6, 31, v6
	v_xor_b32_e32 v5, s12, v5
	v_and_b32_e32 v3, v3, v17
	v_cmp_gt_i32_e64 s12, 0, v4
	v_ashrrev_i32_e32 v4, 31, v7
	v_xor_b32_e32 v6, s11, v6
	s_delay_alu instid0(VALU_DEP_4) | instskip(NEXT) | instid1(VALU_DEP_3)
	v_and_b32_e32 v3, v3, v5
	v_xor_b32_e32 v0, s12, v4
	s_delay_alu instid0(VALU_DEP_2)
	v_and_b32_e32 v5, v3, v6
	v_mov_b32_e32 v3, s16
	v_lshrrev_b32_e32 v6, 14, v14
	v_mov_b32_e32 v4, s17
	ds_store_2addr_b64 v19, v[1:2], v[3:4] offset0:2 offset1:3
	ds_store_2addr_b64 v20, v[1:2], v[3:4] offset0:2 offset1:3
	v_and_b32_e32 v0, v5, v0
	v_and_b32_e32 v5, 0x3fc, v6
	s_waitcnt lgkmcnt(0)
	s_barrier
	buffer_gl0_inv
	v_mbcnt_lo_u32_b32 v17, v0, 0
	v_add_nc_u32_e32 v1, v5, v26
	v_cmp_ne_u32_e64 s12, 0, v0
	; wave barrier
	s_delay_alu instid0(VALU_DEP_3) | instskip(NEXT) | instid1(VALU_DEP_3)
	v_cmp_eq_u32_e64 s11, 0, v17
	v_lshl_add_u32 v18, v1, 2, 16
	s_delay_alu instid0(VALU_DEP_2) | instskip(NEXT) | instid1(SALU_CYCLE_1)
	s_and_b32 s12, s12, s11
	s_and_saveexec_b32 s11, s12
	s_cbranch_execz .LBB345_20
; %bb.19:                               ;   in Loop: Header=BB345_2 Depth=1
	v_bcnt_u32_b32 v0, v0, 0
	ds_store_b32 v18, v0
.LBB345_20:                             ;   in Loop: Header=BB345_2 Depth=1
	s_or_b32 exec_lo, exec_lo, s11
	; wave barrier
	s_waitcnt lgkmcnt(0)
	s_barrier
	buffer_gl0_inv
	ds_load_2addr_b64 v[4:7], v19 offset0:2 offset1:3
	ds_load_2addr_b64 v[0:3], v20 offset0:2 offset1:3
	s_waitcnt lgkmcnt(1)
	v_add_nc_u32_e32 v28, v5, v4
	s_delay_alu instid0(VALU_DEP_1) | instskip(SKIP_1) | instid1(VALU_DEP_1)
	v_add3_u32 v28, v28, v6, v7
	s_waitcnt lgkmcnt(0)
	v_add3_u32 v28, v28, v0, v1
	s_delay_alu instid0(VALU_DEP_1) | instskip(NEXT) | instid1(VALU_DEP_1)
	v_add3_u32 v3, v28, v2, v3
	v_mov_b32_dpp v28, v3 row_shr:1 row_mask:0xf bank_mask:0xf
	s_delay_alu instid0(VALU_DEP_1) | instskip(NEXT) | instid1(VALU_DEP_1)
	v_cndmask_b32_e64 v28, v28, 0, s0
	v_add_nc_u32_e32 v3, v28, v3
	s_delay_alu instid0(VALU_DEP_1) | instskip(NEXT) | instid1(VALU_DEP_1)
	v_mov_b32_dpp v28, v3 row_shr:2 row_mask:0xf bank_mask:0xf
	v_cndmask_b32_e64 v28, 0, v28, s1
	s_delay_alu instid0(VALU_DEP_1) | instskip(NEXT) | instid1(VALU_DEP_1)
	v_add_nc_u32_e32 v3, v3, v28
	v_mov_b32_dpp v28, v3 row_shr:4 row_mask:0xf bank_mask:0xf
	s_delay_alu instid0(VALU_DEP_1) | instskip(NEXT) | instid1(VALU_DEP_1)
	v_cndmask_b32_e64 v28, 0, v28, s2
	v_add_nc_u32_e32 v3, v3, v28
	s_delay_alu instid0(VALU_DEP_1) | instskip(NEXT) | instid1(VALU_DEP_1)
	v_mov_b32_dpp v28, v3 row_shr:8 row_mask:0xf bank_mask:0xf
	v_cndmask_b32_e64 v28, 0, v28, s3
	s_delay_alu instid0(VALU_DEP_1) | instskip(SKIP_3) | instid1(VALU_DEP_1)
	v_add_nc_u32_e32 v3, v3, v28
	ds_swizzle_b32 v28, v3 offset:swizzle(BROADCAST,32,15)
	s_waitcnt lgkmcnt(0)
	v_cndmask_b32_e64 v28, v28, 0, s4
	v_add_nc_u32_e32 v3, v3, v28
	s_and_saveexec_b32 s11, s10
	s_cbranch_execz .LBB345_22
; %bb.21:                               ;   in Loop: Header=BB345_2 Depth=1
	ds_store_b32 v21, v3
.LBB345_22:                             ;   in Loop: Header=BB345_2 Depth=1
	s_or_b32 exec_lo, exec_lo, s11
	s_waitcnt lgkmcnt(0)
	s_barrier
	buffer_gl0_inv
	s_and_saveexec_b32 s11, s5
	s_cbranch_execz .LBB345_24
; %bb.23:                               ;   in Loop: Header=BB345_2 Depth=1
	ds_load_b32 v28, v23
	s_waitcnt lgkmcnt(0)
	v_mov_b32_dpp v29, v28 row_shr:1 row_mask:0xf bank_mask:0xf
	s_delay_alu instid0(VALU_DEP_1) | instskip(NEXT) | instid1(VALU_DEP_1)
	v_cndmask_b32_e64 v29, v29, 0, s8
	v_add_nc_u32_e32 v28, v29, v28
	s_delay_alu instid0(VALU_DEP_1) | instskip(NEXT) | instid1(VALU_DEP_1)
	v_mov_b32_dpp v29, v28 row_shr:2 row_mask:0xf bank_mask:0xf
	v_cndmask_b32_e64 v29, 0, v29, s9
	s_delay_alu instid0(VALU_DEP_1)
	v_add_nc_u32_e32 v28, v28, v29
	ds_store_b32 v23, v28
.LBB345_24:                             ;   in Loop: Header=BB345_2 Depth=1
	s_or_b32 exec_lo, exec_lo, s11
	v_mov_b32_e32 v28, 0
	s_waitcnt lgkmcnt(0)
	s_barrier
	buffer_gl0_inv
	s_and_saveexec_b32 s11, s6
	s_cbranch_execz .LBB345_26
; %bb.25:                               ;   in Loop: Header=BB345_2 Depth=1
	ds_load_b32 v28, v24
.LBB345_26:                             ;   in Loop: Header=BB345_2 Depth=1
	s_or_b32 exec_lo, exec_lo, s11
	s_waitcnt lgkmcnt(0)
	v_add_nc_u32_e32 v3, v28, v3
	ds_bpermute_b32 v3, v22, v3
	s_waitcnt lgkmcnt(0)
	v_cndmask_b32_e32 v3, v3, v28, vcc_lo
	s_delay_alu instid0(VALU_DEP_1) | instskip(NEXT) | instid1(VALU_DEP_1)
	v_cndmask_b32_e64 v3, v3, 0, s7
	v_add_nc_u32_e32 v4, v3, v4
	s_delay_alu instid0(VALU_DEP_1) | instskip(NEXT) | instid1(VALU_DEP_1)
	v_add_nc_u32_e32 v5, v4, v5
	v_add_nc_u32_e32 v6, v5, v6
	s_delay_alu instid0(VALU_DEP_1) | instskip(NEXT) | instid1(VALU_DEP_1)
	v_add_nc_u32_e32 v28, v6, v7
	v_add_nc_u32_e32 v29, v28, v0
	s_delay_alu instid0(VALU_DEP_1) | instskip(NEXT) | instid1(VALU_DEP_1)
	v_add_nc_u32_e32 v0, v29, v1
	v_add_nc_u32_e32 v1, v0, v2
	ds_store_2addr_b64 v19, v[3:4], v[5:6] offset0:2 offset1:3
	ds_store_2addr_b64 v20, v[28:29], v[0:1] offset0:2 offset1:3
	s_waitcnt lgkmcnt(0)
	s_barrier
	buffer_gl0_inv
	ds_load_b32 v0, v18
	v_lshlrev_b32_e32 v1, 3, v17
	s_waitcnt lgkmcnt(0)
	s_barrier
	buffer_gl0_inv
	v_lshl_add_u32 v0, v0, 3, v1
	ds_store_b64 v0, v[13:14]
	s_waitcnt lgkmcnt(0)
	s_barrier
	buffer_gl0_inv
	ds_load_b64 v[13:14], v25
	s_waitcnt lgkmcnt(0)
	s_barrier
	buffer_gl0_inv
	ds_store_b64 v0, v[15:16]
	s_waitcnt lgkmcnt(0)
	s_barrier
	buffer_gl0_inv
	ds_load_b64 v[15:16], v25
	s_waitcnt lgkmcnt(0)
	s_barrier
	buffer_gl0_inv
	v_bfe_u32 v1, v14, 24, 1
	v_lshrrev_b32_e32 v5, 24, v14
	s_delay_alu instid0(VALU_DEP_2) | instskip(NEXT) | instid1(VALU_DEP_1)
	v_add_co_u32 v1, s11, v1, -1
	v_cndmask_b32_e64 v2, 0, 1, s11
	s_delay_alu instid0(VALU_DEP_3)
	v_lshlrev_b32_e32 v3, 30, v5
	v_lshlrev_b32_e32 v4, 29, v5
	;; [unrolled: 1-line block ×4, first 2 shown]
	v_cmp_ne_u32_e64 s11, 0, v2
	v_not_b32_e32 v2, v3
	v_cmp_gt_i32_e64 s12, 0, v3
	v_not_b32_e32 v3, v4
	v_lshlrev_b32_e32 v17, 26, v5
	v_xor_b32_e32 v1, s11, v1
	v_ashrrev_i32_e32 v2, 31, v2
	v_cmp_gt_i32_e64 s11, 0, v4
	v_not_b32_e32 v4, v6
	v_ashrrev_i32_e32 v3, 31, v3
	v_and_b32_e32 v1, exec_lo, v1
	v_xor_b32_e32 v2, s12, v2
	v_cmp_gt_i32_e64 s12, 0, v6
	v_not_b32_e32 v6, v7
	v_ashrrev_i32_e32 v4, 31, v4
	v_xor_b32_e32 v3, s11, v3
	v_and_b32_e32 v1, v1, v2
	v_lshlrev_b32_e32 v18, 25, v5
	v_cmp_gt_i32_e64 s11, 0, v7
	v_not_b32_e32 v2, v17
	v_ashrrev_i32_e32 v6, 31, v6
	v_xor_b32_e32 v4, s12, v4
	v_and_b32_e32 v1, v1, v3
	v_cmp_gt_i32_e64 s12, 0, v17
	v_not_b32_e32 v3, v18
	v_ashrrev_i32_e32 v2, 31, v2
	v_xor_b32_e32 v6, s11, v6
	v_and_b32_e32 v1, v1, v4
	v_not_b32_e32 v4, v14
	v_cmp_gt_i32_e64 s11, 0, v18
	v_ashrrev_i32_e32 v3, 31, v3
	v_xor_b32_e32 v2, s12, v2
	v_and_b32_e32 v1, v1, v6
	v_cmp_gt_i32_e64 s12, 0, v14
	v_ashrrev_i32_e32 v4, 31, v4
	v_xor_b32_e32 v3, s11, v3
	s_delay_alu instid0(VALU_DEP_4) | instskip(NEXT) | instid1(VALU_DEP_3)
	v_and_b32_e32 v1, v1, v2
	v_xor_b32_e32 v0, s12, v4
	s_delay_alu instid0(VALU_DEP_2) | instskip(SKIP_1) | instid1(VALU_DEP_2)
	v_and_b32_e32 v3, v1, v3
	v_dual_mov_b32 v1, s20 :: v_dual_mov_b32 v2, s21
	v_dual_mov_b32 v3, s16 :: v_dual_and_b32 v0, v3, v0
	v_mov_b32_e32 v4, s17
	ds_store_2addr_b64 v19, v[1:2], v[3:4] offset0:2 offset1:3
	ds_store_2addr_b64 v20, v[1:2], v[3:4] offset0:2 offset1:3
	v_mbcnt_lo_u32_b32 v17, v0, 0
	v_lshl_add_u32 v1, v5, 2, v26
	v_cmp_ne_u32_e64 s12, 0, v0
	s_waitcnt lgkmcnt(0)
	s_barrier
	v_cmp_eq_u32_e64 s11, 0, v17
	v_lshl_add_u32 v18, v1, 2, 16
	buffer_gl0_inv
	; wave barrier
	s_and_b32 s12, s12, s11
	s_delay_alu instid0(SALU_CYCLE_1)
	s_and_saveexec_b32 s11, s12
	s_cbranch_execz .LBB345_28
; %bb.27:                               ;   in Loop: Header=BB345_2 Depth=1
	v_bcnt_u32_b32 v0, v0, 0
	ds_store_b32 v18, v0
.LBB345_28:                             ;   in Loop: Header=BB345_2 Depth=1
	s_or_b32 exec_lo, exec_lo, s11
	; wave barrier
	s_waitcnt lgkmcnt(0)
	s_barrier
	buffer_gl0_inv
	ds_load_2addr_b64 v[4:7], v19 offset0:2 offset1:3
	ds_load_2addr_b64 v[0:3], v20 offset0:2 offset1:3
	s_waitcnt lgkmcnt(1)
	v_add_nc_u32_e32 v28, v5, v4
	s_delay_alu instid0(VALU_DEP_1) | instskip(SKIP_1) | instid1(VALU_DEP_1)
	v_add3_u32 v28, v28, v6, v7
	s_waitcnt lgkmcnt(0)
	v_add3_u32 v28, v28, v0, v1
	s_delay_alu instid0(VALU_DEP_1) | instskip(NEXT) | instid1(VALU_DEP_1)
	v_add3_u32 v3, v28, v2, v3
	v_mov_b32_dpp v28, v3 row_shr:1 row_mask:0xf bank_mask:0xf
	s_delay_alu instid0(VALU_DEP_1) | instskip(NEXT) | instid1(VALU_DEP_1)
	v_cndmask_b32_e64 v28, v28, 0, s0
	v_add_nc_u32_e32 v3, v28, v3
	s_delay_alu instid0(VALU_DEP_1) | instskip(NEXT) | instid1(VALU_DEP_1)
	v_mov_b32_dpp v28, v3 row_shr:2 row_mask:0xf bank_mask:0xf
	v_cndmask_b32_e64 v28, 0, v28, s1
	s_delay_alu instid0(VALU_DEP_1) | instskip(NEXT) | instid1(VALU_DEP_1)
	v_add_nc_u32_e32 v3, v3, v28
	v_mov_b32_dpp v28, v3 row_shr:4 row_mask:0xf bank_mask:0xf
	s_delay_alu instid0(VALU_DEP_1) | instskip(NEXT) | instid1(VALU_DEP_1)
	v_cndmask_b32_e64 v28, 0, v28, s2
	v_add_nc_u32_e32 v3, v3, v28
	s_delay_alu instid0(VALU_DEP_1) | instskip(NEXT) | instid1(VALU_DEP_1)
	v_mov_b32_dpp v28, v3 row_shr:8 row_mask:0xf bank_mask:0xf
	v_cndmask_b32_e64 v28, 0, v28, s3
	s_delay_alu instid0(VALU_DEP_1) | instskip(SKIP_3) | instid1(VALU_DEP_1)
	v_add_nc_u32_e32 v3, v3, v28
	ds_swizzle_b32 v28, v3 offset:swizzle(BROADCAST,32,15)
	s_waitcnt lgkmcnt(0)
	v_cndmask_b32_e64 v28, v28, 0, s4
	v_add_nc_u32_e32 v3, v3, v28
	s_and_saveexec_b32 s11, s10
	s_cbranch_execz .LBB345_30
; %bb.29:                               ;   in Loop: Header=BB345_2 Depth=1
	ds_store_b32 v21, v3
.LBB345_30:                             ;   in Loop: Header=BB345_2 Depth=1
	s_or_b32 exec_lo, exec_lo, s11
	s_waitcnt lgkmcnt(0)
	s_barrier
	buffer_gl0_inv
	s_and_saveexec_b32 s11, s5
	s_cbranch_execz .LBB345_32
; %bb.31:                               ;   in Loop: Header=BB345_2 Depth=1
	ds_load_b32 v28, v23
	s_waitcnt lgkmcnt(0)
	v_mov_b32_dpp v29, v28 row_shr:1 row_mask:0xf bank_mask:0xf
	s_delay_alu instid0(VALU_DEP_1) | instskip(NEXT) | instid1(VALU_DEP_1)
	v_cndmask_b32_e64 v29, v29, 0, s8
	v_add_nc_u32_e32 v28, v29, v28
	s_delay_alu instid0(VALU_DEP_1) | instskip(NEXT) | instid1(VALU_DEP_1)
	v_mov_b32_dpp v29, v28 row_shr:2 row_mask:0xf bank_mask:0xf
	v_cndmask_b32_e64 v29, 0, v29, s9
	s_delay_alu instid0(VALU_DEP_1)
	v_add_nc_u32_e32 v28, v28, v29
	ds_store_b32 v23, v28
.LBB345_32:                             ;   in Loop: Header=BB345_2 Depth=1
	s_or_b32 exec_lo, exec_lo, s11
	v_mov_b32_e32 v28, 0
	s_waitcnt lgkmcnt(0)
	s_barrier
	buffer_gl0_inv
	s_and_saveexec_b32 s11, s6
	s_cbranch_execz .LBB345_34
; %bb.33:                               ;   in Loop: Header=BB345_2 Depth=1
	ds_load_b32 v28, v24
.LBB345_34:                             ;   in Loop: Header=BB345_2 Depth=1
	s_or_b32 exec_lo, exec_lo, s11
	s_waitcnt lgkmcnt(0)
	v_add_nc_u32_e32 v3, v28, v3
	ds_bpermute_b32 v3, v22, v3
	s_waitcnt lgkmcnt(0)
	v_cndmask_b32_e32 v3, v3, v28, vcc_lo
	s_delay_alu instid0(VALU_DEP_1) | instskip(NEXT) | instid1(VALU_DEP_1)
	v_cndmask_b32_e64 v3, v3, 0, s7
	v_add_nc_u32_e32 v4, v3, v4
	s_delay_alu instid0(VALU_DEP_1) | instskip(NEXT) | instid1(VALU_DEP_1)
	v_add_nc_u32_e32 v5, v4, v5
	v_add_nc_u32_e32 v6, v5, v6
	s_delay_alu instid0(VALU_DEP_1) | instskip(NEXT) | instid1(VALU_DEP_1)
	v_add_nc_u32_e32 v28, v6, v7
	v_add_nc_u32_e32 v29, v28, v0
	s_delay_alu instid0(VALU_DEP_1) | instskip(NEXT) | instid1(VALU_DEP_1)
	v_add_nc_u32_e32 v0, v29, v1
	v_add_nc_u32_e32 v1, v0, v2
	ds_store_2addr_b64 v19, v[3:4], v[5:6] offset0:2 offset1:3
	ds_store_2addr_b64 v20, v[28:29], v[0:1] offset0:2 offset1:3
	s_waitcnt lgkmcnt(0)
	s_barrier
	buffer_gl0_inv
	ds_load_b32 v0, v18
	v_lshlrev_b32_e32 v1, 3, v17
	s_waitcnt lgkmcnt(0)
	s_barrier
	buffer_gl0_inv
	v_lshl_add_u32 v0, v0, 3, v1
	v_dual_mov_b32 v1, s20 :: v_dual_mov_b32 v2, s21
	ds_store_b64 v0, v[13:14]
	s_waitcnt lgkmcnt(0)
	s_barrier
	buffer_gl0_inv
	ds_load_b64 v[13:14], v25
	s_waitcnt lgkmcnt(0)
	s_barrier
	buffer_gl0_inv
	ds_store_b64 v0, v[15:16]
	s_waitcnt lgkmcnt(0)
	s_barrier
	buffer_gl0_inv
	ds_load_b64 v[15:16], v25
	s_waitcnt lgkmcnt(0)
	s_barrier
	buffer_gl0_inv
	v_and_b32_e32 v3, 1, v13
	v_lshlrev_b32_e32 v4, 30, v13
	v_lshlrev_b32_e32 v5, 29, v13
	;; [unrolled: 1-line block ×4, first 2 shown]
	v_add_co_u32 v3, s11, v3, -1
	s_delay_alu instid0(VALU_DEP_1)
	v_cndmask_b32_e64 v7, 0, 1, s11
	v_not_b32_e32 v29, v4
	v_cmp_gt_i32_e64 s12, 0, v4
	v_not_b32_e32 v4, v5
	v_lshlrev_b32_e32 v18, 26, v13
	v_cmp_ne_u32_e64 s11, 0, v7
	v_ashrrev_i32_e32 v29, 31, v29
	v_lshlrev_b32_e32 v28, 25, v13
	v_ashrrev_i32_e32 v4, 31, v4
	v_lshlrev_b32_e32 v7, 24, v13
	v_xor_b32_e32 v3, s11, v3
	v_cmp_gt_i32_e64 s11, 0, v5
	v_not_b32_e32 v5, v6
	v_xor_b32_e32 v29, s12, v29
	v_cmp_gt_i32_e64 s12, 0, v6
	v_and_b32_e32 v3, exec_lo, v3
	v_not_b32_e32 v6, v17
	v_ashrrev_i32_e32 v5, 31, v5
	v_xor_b32_e32 v4, s11, v4
	v_cmp_gt_i32_e64 s11, 0, v17
	v_and_b32_e32 v3, v3, v29
	v_not_b32_e32 v17, v18
	v_ashrrev_i32_e32 v6, 31, v6
	v_xor_b32_e32 v5, s12, v5
	v_cmp_gt_i32_e64 s12, 0, v18
	v_and_b32_e32 v3, v3, v4
	;; [unrolled: 5-line block ×4, first 2 shown]
	v_ashrrev_i32_e32 v5, 31, v5
	v_xor_b32_e32 v4, s11, v4
	s_delay_alu instid0(VALU_DEP_3) | instskip(NEXT) | instid1(VALU_DEP_3)
	v_and_b32_e32 v3, v3, v17
	v_xor_b32_e32 v0, s12, v5
	s_delay_alu instid0(VALU_DEP_2)
	v_and_b32_e32 v5, v3, v4
	v_dual_mov_b32 v3, s16 :: v_dual_mov_b32 v4, s17
	ds_store_2addr_b64 v19, v[1:2], v[3:4] offset0:2 offset1:3
	ds_store_2addr_b64 v20, v[1:2], v[3:4] offset0:2 offset1:3
	v_and_b32_e32 v0, v5, v0
	v_and_b32_e32 v5, 0xff, v13
	s_waitcnt lgkmcnt(0)
	s_barrier
	buffer_gl0_inv
	v_mbcnt_lo_u32_b32 v17, v0, 0
	v_lshl_add_u32 v1, v5, 2, v26
	v_cmp_ne_u32_e64 s12, 0, v0
	; wave barrier
	s_delay_alu instid0(VALU_DEP_3) | instskip(NEXT) | instid1(VALU_DEP_3)
	v_cmp_eq_u32_e64 s11, 0, v17
	v_lshl_add_u32 v18, v1, 2, 16
	s_delay_alu instid0(VALU_DEP_2) | instskip(NEXT) | instid1(SALU_CYCLE_1)
	s_and_b32 s12, s12, s11
	s_and_saveexec_b32 s11, s12
	s_cbranch_execz .LBB345_36
; %bb.35:                               ;   in Loop: Header=BB345_2 Depth=1
	v_bcnt_u32_b32 v0, v0, 0
	ds_store_b32 v18, v0
.LBB345_36:                             ;   in Loop: Header=BB345_2 Depth=1
	s_or_b32 exec_lo, exec_lo, s11
	; wave barrier
	s_waitcnt lgkmcnt(0)
	s_barrier
	buffer_gl0_inv
	ds_load_2addr_b64 v[4:7], v19 offset0:2 offset1:3
	ds_load_2addr_b64 v[0:3], v20 offset0:2 offset1:3
	s_waitcnt lgkmcnt(1)
	v_add_nc_u32_e32 v28, v5, v4
	s_delay_alu instid0(VALU_DEP_1) | instskip(SKIP_1) | instid1(VALU_DEP_1)
	v_add3_u32 v28, v28, v6, v7
	s_waitcnt lgkmcnt(0)
	v_add3_u32 v28, v28, v0, v1
	s_delay_alu instid0(VALU_DEP_1) | instskip(NEXT) | instid1(VALU_DEP_1)
	v_add3_u32 v3, v28, v2, v3
	v_mov_b32_dpp v28, v3 row_shr:1 row_mask:0xf bank_mask:0xf
	s_delay_alu instid0(VALU_DEP_1) | instskip(NEXT) | instid1(VALU_DEP_1)
	v_cndmask_b32_e64 v28, v28, 0, s0
	v_add_nc_u32_e32 v3, v28, v3
	s_delay_alu instid0(VALU_DEP_1) | instskip(NEXT) | instid1(VALU_DEP_1)
	v_mov_b32_dpp v28, v3 row_shr:2 row_mask:0xf bank_mask:0xf
	v_cndmask_b32_e64 v28, 0, v28, s1
	s_delay_alu instid0(VALU_DEP_1) | instskip(NEXT) | instid1(VALU_DEP_1)
	v_add_nc_u32_e32 v3, v3, v28
	v_mov_b32_dpp v28, v3 row_shr:4 row_mask:0xf bank_mask:0xf
	s_delay_alu instid0(VALU_DEP_1) | instskip(NEXT) | instid1(VALU_DEP_1)
	v_cndmask_b32_e64 v28, 0, v28, s2
	v_add_nc_u32_e32 v3, v3, v28
	s_delay_alu instid0(VALU_DEP_1) | instskip(NEXT) | instid1(VALU_DEP_1)
	v_mov_b32_dpp v28, v3 row_shr:8 row_mask:0xf bank_mask:0xf
	v_cndmask_b32_e64 v28, 0, v28, s3
	s_delay_alu instid0(VALU_DEP_1) | instskip(SKIP_3) | instid1(VALU_DEP_1)
	v_add_nc_u32_e32 v3, v3, v28
	ds_swizzle_b32 v28, v3 offset:swizzle(BROADCAST,32,15)
	s_waitcnt lgkmcnt(0)
	v_cndmask_b32_e64 v28, v28, 0, s4
	v_add_nc_u32_e32 v3, v3, v28
	s_and_saveexec_b32 s11, s10
	s_cbranch_execz .LBB345_38
; %bb.37:                               ;   in Loop: Header=BB345_2 Depth=1
	ds_store_b32 v21, v3
.LBB345_38:                             ;   in Loop: Header=BB345_2 Depth=1
	s_or_b32 exec_lo, exec_lo, s11
	s_waitcnt lgkmcnt(0)
	s_barrier
	buffer_gl0_inv
	s_and_saveexec_b32 s11, s5
	s_cbranch_execz .LBB345_40
; %bb.39:                               ;   in Loop: Header=BB345_2 Depth=1
	ds_load_b32 v28, v23
	s_waitcnt lgkmcnt(0)
	v_mov_b32_dpp v29, v28 row_shr:1 row_mask:0xf bank_mask:0xf
	s_delay_alu instid0(VALU_DEP_1) | instskip(NEXT) | instid1(VALU_DEP_1)
	v_cndmask_b32_e64 v29, v29, 0, s8
	v_add_nc_u32_e32 v28, v29, v28
	s_delay_alu instid0(VALU_DEP_1) | instskip(NEXT) | instid1(VALU_DEP_1)
	v_mov_b32_dpp v29, v28 row_shr:2 row_mask:0xf bank_mask:0xf
	v_cndmask_b32_e64 v29, 0, v29, s9
	s_delay_alu instid0(VALU_DEP_1)
	v_add_nc_u32_e32 v28, v28, v29
	ds_store_b32 v23, v28
.LBB345_40:                             ;   in Loop: Header=BB345_2 Depth=1
	s_or_b32 exec_lo, exec_lo, s11
	v_mov_b32_e32 v28, 0
	s_waitcnt lgkmcnt(0)
	s_barrier
	buffer_gl0_inv
	s_and_saveexec_b32 s11, s6
	s_cbranch_execz .LBB345_42
; %bb.41:                               ;   in Loop: Header=BB345_2 Depth=1
	ds_load_b32 v28, v24
.LBB345_42:                             ;   in Loop: Header=BB345_2 Depth=1
	s_or_b32 exec_lo, exec_lo, s11
	s_waitcnt lgkmcnt(0)
	v_add_nc_u32_e32 v3, v28, v3
	ds_bpermute_b32 v3, v22, v3
	s_waitcnt lgkmcnt(0)
	v_cndmask_b32_e32 v3, v3, v28, vcc_lo
	s_delay_alu instid0(VALU_DEP_1) | instskip(NEXT) | instid1(VALU_DEP_1)
	v_cndmask_b32_e64 v3, v3, 0, s7
	v_add_nc_u32_e32 v4, v3, v4
	s_delay_alu instid0(VALU_DEP_1) | instskip(NEXT) | instid1(VALU_DEP_1)
	v_add_nc_u32_e32 v5, v4, v5
	v_add_nc_u32_e32 v6, v5, v6
	s_delay_alu instid0(VALU_DEP_1) | instskip(NEXT) | instid1(VALU_DEP_1)
	v_add_nc_u32_e32 v28, v6, v7
	;; [unrolled: 3-line block ×3, first 2 shown]
	v_add_nc_u32_e32 v1, v0, v2
	ds_store_2addr_b64 v19, v[3:4], v[5:6] offset0:2 offset1:3
	ds_store_2addr_b64 v20, v[28:29], v[0:1] offset0:2 offset1:3
	s_waitcnt lgkmcnt(0)
	s_barrier
	buffer_gl0_inv
	ds_load_b32 v0, v18
	v_lshlrev_b32_e32 v1, 3, v17
	s_waitcnt lgkmcnt(0)
	s_barrier
	buffer_gl0_inv
	v_lshl_add_u32 v0, v0, 3, v1
	v_dual_mov_b32 v1, s20 :: v_dual_mov_b32 v2, s21
	ds_store_b64 v0, v[13:14]
	s_waitcnt lgkmcnt(0)
	s_barrier
	buffer_gl0_inv
	ds_load_b64 v[13:14], v25
	s_waitcnt lgkmcnt(0)
	s_barrier
	buffer_gl0_inv
	ds_store_b64 v0, v[15:16]
	s_waitcnt lgkmcnt(0)
	s_barrier
	buffer_gl0_inv
	ds_load_b64 v[15:16], v25
	s_waitcnt lgkmcnt(0)
	s_barrier
	buffer_gl0_inv
	v_bfe_u32 v3, v13, 8, 1
	v_lshrrev_b32_e32 v4, 8, v13
	s_delay_alu instid0(VALU_DEP_2) | instskip(NEXT) | instid1(VALU_DEP_1)
	v_add_co_u32 v3, s11, v3, -1
	v_cndmask_b32_e64 v5, 0, 1, s11
	s_delay_alu instid0(VALU_DEP_3)
	v_lshlrev_b32_e32 v6, 30, v4
	v_lshlrev_b32_e32 v7, 29, v4
	;; [unrolled: 1-line block ×4, first 2 shown]
	v_cmp_ne_u32_e64 s11, 0, v5
	v_not_b32_e32 v5, v6
	v_cmp_gt_i32_e64 s12, 0, v6
	v_not_b32_e32 v6, v7
	v_lshlrev_b32_e32 v28, 26, v4
	v_xor_b32_e32 v3, s11, v3
	v_ashrrev_i32_e32 v5, 31, v5
	v_cmp_gt_i32_e64 s11, 0, v7
	v_not_b32_e32 v7, v17
	v_ashrrev_i32_e32 v6, 31, v6
	v_and_b32_e32 v3, exec_lo, v3
	v_xor_b32_e32 v5, s12, v5
	v_cmp_gt_i32_e64 s12, 0, v17
	v_not_b32_e32 v17, v18
	v_ashrrev_i32_e32 v7, 31, v7
	v_xor_b32_e32 v6, s11, v6
	v_and_b32_e32 v3, v3, v5
	v_lshlrev_b32_e32 v29, 25, v4
	v_cmp_gt_i32_e64 s11, 0, v18
	v_not_b32_e32 v5, v28
	v_ashrrev_i32_e32 v17, 31, v17
	v_xor_b32_e32 v7, s12, v7
	v_and_b32_e32 v3, v3, v6
	v_lshlrev_b32_e32 v4, 24, v4
	v_cmp_gt_i32_e64 s12, 0, v28
	v_not_b32_e32 v6, v29
	v_ashrrev_i32_e32 v5, 31, v5
	v_xor_b32_e32 v17, s11, v17
	v_and_b32_e32 v3, v3, v7
	v_cmp_gt_i32_e64 s11, 0, v29
	v_not_b32_e32 v7, v4
	v_ashrrev_i32_e32 v6, 31, v6
	v_xor_b32_e32 v5, s12, v5
	v_and_b32_e32 v3, v3, v17
	v_cmp_gt_i32_e64 s12, 0, v4
	v_ashrrev_i32_e32 v4, 31, v7
	v_xor_b32_e32 v6, s11, v6
	s_delay_alu instid0(VALU_DEP_4) | instskip(NEXT) | instid1(VALU_DEP_3)
	v_and_b32_e32 v3, v3, v5
	v_xor_b32_e32 v0, s12, v4
	s_delay_alu instid0(VALU_DEP_2)
	v_and_b32_e32 v5, v3, v6
	v_mov_b32_e32 v3, s16
	v_lshrrev_b32_e32 v6, 6, v13
	v_mov_b32_e32 v4, s17
	ds_store_2addr_b64 v19, v[1:2], v[3:4] offset0:2 offset1:3
	ds_store_2addr_b64 v20, v[1:2], v[3:4] offset0:2 offset1:3
	v_and_b32_e32 v0, v5, v0
	v_and_b32_e32 v5, 0x3fc, v6
	s_waitcnt lgkmcnt(0)
	s_barrier
	buffer_gl0_inv
	v_mbcnt_lo_u32_b32 v17, v0, 0
	v_add_nc_u32_e32 v1, v5, v26
	v_cmp_ne_u32_e64 s12, 0, v0
	; wave barrier
	s_delay_alu instid0(VALU_DEP_3) | instskip(NEXT) | instid1(VALU_DEP_3)
	v_cmp_eq_u32_e64 s11, 0, v17
	v_lshl_add_u32 v18, v1, 2, 16
	s_delay_alu instid0(VALU_DEP_2) | instskip(NEXT) | instid1(SALU_CYCLE_1)
	s_and_b32 s12, s12, s11
	s_and_saveexec_b32 s11, s12
	s_cbranch_execz .LBB345_44
; %bb.43:                               ;   in Loop: Header=BB345_2 Depth=1
	v_bcnt_u32_b32 v0, v0, 0
	ds_store_b32 v18, v0
.LBB345_44:                             ;   in Loop: Header=BB345_2 Depth=1
	s_or_b32 exec_lo, exec_lo, s11
	; wave barrier
	s_waitcnt lgkmcnt(0)
	s_barrier
	buffer_gl0_inv
	ds_load_2addr_b64 v[4:7], v19 offset0:2 offset1:3
	ds_load_2addr_b64 v[0:3], v20 offset0:2 offset1:3
	s_waitcnt lgkmcnt(1)
	v_add_nc_u32_e32 v28, v5, v4
	s_delay_alu instid0(VALU_DEP_1) | instskip(SKIP_1) | instid1(VALU_DEP_1)
	v_add3_u32 v28, v28, v6, v7
	s_waitcnt lgkmcnt(0)
	v_add3_u32 v28, v28, v0, v1
	s_delay_alu instid0(VALU_DEP_1) | instskip(NEXT) | instid1(VALU_DEP_1)
	v_add3_u32 v3, v28, v2, v3
	v_mov_b32_dpp v28, v3 row_shr:1 row_mask:0xf bank_mask:0xf
	s_delay_alu instid0(VALU_DEP_1) | instskip(NEXT) | instid1(VALU_DEP_1)
	v_cndmask_b32_e64 v28, v28, 0, s0
	v_add_nc_u32_e32 v3, v28, v3
	s_delay_alu instid0(VALU_DEP_1) | instskip(NEXT) | instid1(VALU_DEP_1)
	v_mov_b32_dpp v28, v3 row_shr:2 row_mask:0xf bank_mask:0xf
	v_cndmask_b32_e64 v28, 0, v28, s1
	s_delay_alu instid0(VALU_DEP_1) | instskip(NEXT) | instid1(VALU_DEP_1)
	v_add_nc_u32_e32 v3, v3, v28
	v_mov_b32_dpp v28, v3 row_shr:4 row_mask:0xf bank_mask:0xf
	s_delay_alu instid0(VALU_DEP_1) | instskip(NEXT) | instid1(VALU_DEP_1)
	v_cndmask_b32_e64 v28, 0, v28, s2
	v_add_nc_u32_e32 v3, v3, v28
	s_delay_alu instid0(VALU_DEP_1) | instskip(NEXT) | instid1(VALU_DEP_1)
	v_mov_b32_dpp v28, v3 row_shr:8 row_mask:0xf bank_mask:0xf
	v_cndmask_b32_e64 v28, 0, v28, s3
	s_delay_alu instid0(VALU_DEP_1) | instskip(SKIP_3) | instid1(VALU_DEP_1)
	v_add_nc_u32_e32 v3, v3, v28
	ds_swizzle_b32 v28, v3 offset:swizzle(BROADCAST,32,15)
	s_waitcnt lgkmcnt(0)
	v_cndmask_b32_e64 v28, v28, 0, s4
	v_add_nc_u32_e32 v3, v3, v28
	s_and_saveexec_b32 s11, s10
	s_cbranch_execz .LBB345_46
; %bb.45:                               ;   in Loop: Header=BB345_2 Depth=1
	ds_store_b32 v21, v3
.LBB345_46:                             ;   in Loop: Header=BB345_2 Depth=1
	s_or_b32 exec_lo, exec_lo, s11
	s_waitcnt lgkmcnt(0)
	s_barrier
	buffer_gl0_inv
	s_and_saveexec_b32 s11, s5
	s_cbranch_execz .LBB345_48
; %bb.47:                               ;   in Loop: Header=BB345_2 Depth=1
	ds_load_b32 v28, v23
	s_waitcnt lgkmcnt(0)
	v_mov_b32_dpp v29, v28 row_shr:1 row_mask:0xf bank_mask:0xf
	s_delay_alu instid0(VALU_DEP_1) | instskip(NEXT) | instid1(VALU_DEP_1)
	v_cndmask_b32_e64 v29, v29, 0, s8
	v_add_nc_u32_e32 v28, v29, v28
	s_delay_alu instid0(VALU_DEP_1) | instskip(NEXT) | instid1(VALU_DEP_1)
	v_mov_b32_dpp v29, v28 row_shr:2 row_mask:0xf bank_mask:0xf
	v_cndmask_b32_e64 v29, 0, v29, s9
	s_delay_alu instid0(VALU_DEP_1)
	v_add_nc_u32_e32 v28, v28, v29
	ds_store_b32 v23, v28
.LBB345_48:                             ;   in Loop: Header=BB345_2 Depth=1
	s_or_b32 exec_lo, exec_lo, s11
	v_mov_b32_e32 v28, 0
	s_waitcnt lgkmcnt(0)
	s_barrier
	buffer_gl0_inv
	s_and_saveexec_b32 s11, s6
	s_cbranch_execz .LBB345_50
; %bb.49:                               ;   in Loop: Header=BB345_2 Depth=1
	ds_load_b32 v28, v24
.LBB345_50:                             ;   in Loop: Header=BB345_2 Depth=1
	s_or_b32 exec_lo, exec_lo, s11
	s_waitcnt lgkmcnt(0)
	v_add_nc_u32_e32 v3, v28, v3
	ds_bpermute_b32 v3, v22, v3
	s_waitcnt lgkmcnt(0)
	v_cndmask_b32_e32 v3, v3, v28, vcc_lo
	s_delay_alu instid0(VALU_DEP_1) | instskip(NEXT) | instid1(VALU_DEP_1)
	v_cndmask_b32_e64 v3, v3, 0, s7
	v_add_nc_u32_e32 v4, v3, v4
	s_delay_alu instid0(VALU_DEP_1) | instskip(NEXT) | instid1(VALU_DEP_1)
	v_add_nc_u32_e32 v5, v4, v5
	v_add_nc_u32_e32 v6, v5, v6
	s_delay_alu instid0(VALU_DEP_1) | instskip(NEXT) | instid1(VALU_DEP_1)
	v_add_nc_u32_e32 v28, v6, v7
	;; [unrolled: 3-line block ×3, first 2 shown]
	v_add_nc_u32_e32 v1, v0, v2
	ds_store_2addr_b64 v19, v[3:4], v[5:6] offset0:2 offset1:3
	ds_store_2addr_b64 v20, v[28:29], v[0:1] offset0:2 offset1:3
	s_waitcnt lgkmcnt(0)
	s_barrier
	buffer_gl0_inv
	ds_load_b32 v0, v18
	v_lshlrev_b32_e32 v1, 3, v17
	s_waitcnt lgkmcnt(0)
	s_barrier
	buffer_gl0_inv
	v_lshl_add_u32 v0, v0, 3, v1
	v_dual_mov_b32 v1, s20 :: v_dual_mov_b32 v2, s21
	ds_store_b64 v0, v[13:14]
	s_waitcnt lgkmcnt(0)
	s_barrier
	buffer_gl0_inv
	ds_load_b64 v[13:14], v25
	s_waitcnt lgkmcnt(0)
	s_barrier
	buffer_gl0_inv
	ds_store_b64 v0, v[15:16]
	s_waitcnt lgkmcnt(0)
	s_barrier
	buffer_gl0_inv
	ds_load_b64 v[15:16], v25
	s_waitcnt lgkmcnt(0)
	s_barrier
	buffer_gl0_inv
	v_bfe_u32 v3, v13, 16, 1
	v_lshrrev_b32_e32 v4, 16, v13
	s_delay_alu instid0(VALU_DEP_2) | instskip(NEXT) | instid1(VALU_DEP_1)
	v_add_co_u32 v3, s11, v3, -1
	v_cndmask_b32_e64 v5, 0, 1, s11
	s_delay_alu instid0(VALU_DEP_3)
	v_lshlrev_b32_e32 v6, 30, v4
	v_lshlrev_b32_e32 v7, 29, v4
	;; [unrolled: 1-line block ×4, first 2 shown]
	v_cmp_ne_u32_e64 s11, 0, v5
	v_not_b32_e32 v5, v6
	v_cmp_gt_i32_e64 s12, 0, v6
	v_not_b32_e32 v6, v7
	v_lshlrev_b32_e32 v28, 26, v4
	v_xor_b32_e32 v3, s11, v3
	v_ashrrev_i32_e32 v5, 31, v5
	v_cmp_gt_i32_e64 s11, 0, v7
	v_not_b32_e32 v7, v17
	v_ashrrev_i32_e32 v6, 31, v6
	v_and_b32_e32 v3, exec_lo, v3
	v_xor_b32_e32 v5, s12, v5
	v_cmp_gt_i32_e64 s12, 0, v17
	v_not_b32_e32 v17, v18
	v_ashrrev_i32_e32 v7, 31, v7
	v_xor_b32_e32 v6, s11, v6
	v_and_b32_e32 v3, v3, v5
	v_lshlrev_b32_e32 v29, 25, v4
	v_cmp_gt_i32_e64 s11, 0, v18
	v_not_b32_e32 v5, v28
	v_ashrrev_i32_e32 v17, 31, v17
	v_xor_b32_e32 v7, s12, v7
	v_and_b32_e32 v3, v3, v6
	v_lshlrev_b32_e32 v4, 24, v4
	v_cmp_gt_i32_e64 s12, 0, v28
	v_not_b32_e32 v6, v29
	v_ashrrev_i32_e32 v5, 31, v5
	v_xor_b32_e32 v17, s11, v17
	v_and_b32_e32 v3, v3, v7
	v_cmp_gt_i32_e64 s11, 0, v29
	v_not_b32_e32 v7, v4
	v_ashrrev_i32_e32 v6, 31, v6
	v_xor_b32_e32 v5, s12, v5
	v_and_b32_e32 v3, v3, v17
	v_cmp_gt_i32_e64 s12, 0, v4
	v_ashrrev_i32_e32 v4, 31, v7
	v_xor_b32_e32 v6, s11, v6
	s_delay_alu instid0(VALU_DEP_4) | instskip(NEXT) | instid1(VALU_DEP_3)
	v_and_b32_e32 v3, v3, v5
	v_xor_b32_e32 v0, s12, v4
	s_delay_alu instid0(VALU_DEP_2)
	v_and_b32_e32 v5, v3, v6
	v_mov_b32_e32 v3, s16
	v_lshrrev_b32_e32 v6, 14, v13
	v_mov_b32_e32 v4, s17
	ds_store_2addr_b64 v19, v[1:2], v[3:4] offset0:2 offset1:3
	ds_store_2addr_b64 v20, v[1:2], v[3:4] offset0:2 offset1:3
	v_and_b32_e32 v0, v5, v0
	v_and_b32_e32 v5, 0x3fc, v6
	s_waitcnt lgkmcnt(0)
	s_barrier
	buffer_gl0_inv
	v_mbcnt_lo_u32_b32 v17, v0, 0
	v_add_nc_u32_e32 v1, v5, v26
	v_cmp_ne_u32_e64 s12, 0, v0
	; wave barrier
	s_delay_alu instid0(VALU_DEP_3) | instskip(NEXT) | instid1(VALU_DEP_3)
	v_cmp_eq_u32_e64 s11, 0, v17
	v_lshl_add_u32 v18, v1, 2, 16
	s_delay_alu instid0(VALU_DEP_2) | instskip(NEXT) | instid1(SALU_CYCLE_1)
	s_and_b32 s12, s12, s11
	s_and_saveexec_b32 s11, s12
	s_cbranch_execz .LBB345_52
; %bb.51:                               ;   in Loop: Header=BB345_2 Depth=1
	v_bcnt_u32_b32 v0, v0, 0
	ds_store_b32 v18, v0
.LBB345_52:                             ;   in Loop: Header=BB345_2 Depth=1
	s_or_b32 exec_lo, exec_lo, s11
	; wave barrier
	s_waitcnt lgkmcnt(0)
	s_barrier
	buffer_gl0_inv
	ds_load_2addr_b64 v[4:7], v19 offset0:2 offset1:3
	ds_load_2addr_b64 v[0:3], v20 offset0:2 offset1:3
	s_waitcnt lgkmcnt(1)
	v_add_nc_u32_e32 v28, v5, v4
	s_delay_alu instid0(VALU_DEP_1) | instskip(SKIP_1) | instid1(VALU_DEP_1)
	v_add3_u32 v28, v28, v6, v7
	s_waitcnt lgkmcnt(0)
	v_add3_u32 v28, v28, v0, v1
	s_delay_alu instid0(VALU_DEP_1) | instskip(NEXT) | instid1(VALU_DEP_1)
	v_add3_u32 v3, v28, v2, v3
	v_mov_b32_dpp v28, v3 row_shr:1 row_mask:0xf bank_mask:0xf
	s_delay_alu instid0(VALU_DEP_1) | instskip(NEXT) | instid1(VALU_DEP_1)
	v_cndmask_b32_e64 v28, v28, 0, s0
	v_add_nc_u32_e32 v3, v28, v3
	s_delay_alu instid0(VALU_DEP_1) | instskip(NEXT) | instid1(VALU_DEP_1)
	v_mov_b32_dpp v28, v3 row_shr:2 row_mask:0xf bank_mask:0xf
	v_cndmask_b32_e64 v28, 0, v28, s1
	s_delay_alu instid0(VALU_DEP_1) | instskip(NEXT) | instid1(VALU_DEP_1)
	v_add_nc_u32_e32 v3, v3, v28
	v_mov_b32_dpp v28, v3 row_shr:4 row_mask:0xf bank_mask:0xf
	s_delay_alu instid0(VALU_DEP_1) | instskip(NEXT) | instid1(VALU_DEP_1)
	v_cndmask_b32_e64 v28, 0, v28, s2
	v_add_nc_u32_e32 v3, v3, v28
	s_delay_alu instid0(VALU_DEP_1) | instskip(NEXT) | instid1(VALU_DEP_1)
	v_mov_b32_dpp v28, v3 row_shr:8 row_mask:0xf bank_mask:0xf
	v_cndmask_b32_e64 v28, 0, v28, s3
	s_delay_alu instid0(VALU_DEP_1) | instskip(SKIP_3) | instid1(VALU_DEP_1)
	v_add_nc_u32_e32 v3, v3, v28
	ds_swizzle_b32 v28, v3 offset:swizzle(BROADCAST,32,15)
	s_waitcnt lgkmcnt(0)
	v_cndmask_b32_e64 v28, v28, 0, s4
	v_add_nc_u32_e32 v3, v3, v28
	s_and_saveexec_b32 s11, s10
	s_cbranch_execz .LBB345_54
; %bb.53:                               ;   in Loop: Header=BB345_2 Depth=1
	ds_store_b32 v21, v3
.LBB345_54:                             ;   in Loop: Header=BB345_2 Depth=1
	s_or_b32 exec_lo, exec_lo, s11
	s_waitcnt lgkmcnt(0)
	s_barrier
	buffer_gl0_inv
	s_and_saveexec_b32 s11, s5
	s_cbranch_execz .LBB345_56
; %bb.55:                               ;   in Loop: Header=BB345_2 Depth=1
	ds_load_b32 v28, v23
	s_waitcnt lgkmcnt(0)
	v_mov_b32_dpp v29, v28 row_shr:1 row_mask:0xf bank_mask:0xf
	s_delay_alu instid0(VALU_DEP_1) | instskip(NEXT) | instid1(VALU_DEP_1)
	v_cndmask_b32_e64 v29, v29, 0, s8
	v_add_nc_u32_e32 v28, v29, v28
	s_delay_alu instid0(VALU_DEP_1) | instskip(NEXT) | instid1(VALU_DEP_1)
	v_mov_b32_dpp v29, v28 row_shr:2 row_mask:0xf bank_mask:0xf
	v_cndmask_b32_e64 v29, 0, v29, s9
	s_delay_alu instid0(VALU_DEP_1)
	v_add_nc_u32_e32 v28, v28, v29
	ds_store_b32 v23, v28
.LBB345_56:                             ;   in Loop: Header=BB345_2 Depth=1
	s_or_b32 exec_lo, exec_lo, s11
	v_mov_b32_e32 v28, 0
	s_waitcnt lgkmcnt(0)
	s_barrier
	buffer_gl0_inv
	s_and_saveexec_b32 s11, s6
	s_cbranch_execz .LBB345_58
; %bb.57:                               ;   in Loop: Header=BB345_2 Depth=1
	ds_load_b32 v28, v24
.LBB345_58:                             ;   in Loop: Header=BB345_2 Depth=1
	s_or_b32 exec_lo, exec_lo, s11
	s_waitcnt lgkmcnt(0)
	v_add_nc_u32_e32 v3, v28, v3
	ds_bpermute_b32 v3, v22, v3
	s_waitcnt lgkmcnt(0)
	v_cndmask_b32_e32 v3, v3, v28, vcc_lo
	s_delay_alu instid0(VALU_DEP_1) | instskip(NEXT) | instid1(VALU_DEP_1)
	v_cndmask_b32_e64 v3, v3, 0, s7
	v_add_nc_u32_e32 v4, v3, v4
	s_delay_alu instid0(VALU_DEP_1) | instskip(NEXT) | instid1(VALU_DEP_1)
	v_add_nc_u32_e32 v5, v4, v5
	v_add_nc_u32_e32 v6, v5, v6
	s_delay_alu instid0(VALU_DEP_1) | instskip(NEXT) | instid1(VALU_DEP_1)
	v_add_nc_u32_e32 v28, v6, v7
	;; [unrolled: 3-line block ×3, first 2 shown]
	v_add_nc_u32_e32 v1, v0, v2
	ds_store_2addr_b64 v19, v[3:4], v[5:6] offset0:2 offset1:3
	ds_store_2addr_b64 v20, v[28:29], v[0:1] offset0:2 offset1:3
	s_waitcnt lgkmcnt(0)
	s_barrier
	buffer_gl0_inv
	ds_load_b32 v0, v18
	v_lshlrev_b32_e32 v1, 3, v17
	s_waitcnt lgkmcnt(0)
	s_barrier
	buffer_gl0_inv
	v_lshl_add_u32 v0, v0, 3, v1
	ds_store_b64 v0, v[13:14]
	s_waitcnt lgkmcnt(0)
	s_barrier
	buffer_gl0_inv
	ds_load_b64 v[13:14], v25
	s_waitcnt lgkmcnt(0)
	s_barrier
	buffer_gl0_inv
	ds_store_b64 v0, v[15:16]
	s_waitcnt lgkmcnt(0)
	s_barrier
	buffer_gl0_inv
	v_bfe_u32 v1, v13, 24, 1
	v_lshrrev_b32_e32 v5, 24, v13
	s_delay_alu instid0(VALU_DEP_2) | instskip(NEXT) | instid1(VALU_DEP_1)
	v_add_co_u32 v1, s11, v1, -1
	v_cndmask_b32_e64 v2, 0, 1, s11
	s_delay_alu instid0(VALU_DEP_3)
	v_lshlrev_b32_e32 v3, 30, v5
	v_lshlrev_b32_e32 v4, 29, v5
	;; [unrolled: 1-line block ×4, first 2 shown]
	v_cmp_ne_u32_e64 s11, 0, v2
	v_not_b32_e32 v2, v3
	v_cmp_gt_i32_e64 s12, 0, v3
	v_not_b32_e32 v3, v4
	v_lshlrev_b32_e32 v17, 26, v5
	v_xor_b32_e32 v1, s11, v1
	v_ashrrev_i32_e32 v2, 31, v2
	v_cmp_gt_i32_e64 s11, 0, v4
	v_not_b32_e32 v4, v6
	v_ashrrev_i32_e32 v3, 31, v3
	v_and_b32_e32 v1, exec_lo, v1
	v_xor_b32_e32 v2, s12, v2
	v_cmp_gt_i32_e64 s12, 0, v6
	v_not_b32_e32 v6, v7
	v_ashrrev_i32_e32 v4, 31, v4
	v_xor_b32_e32 v3, s11, v3
	v_and_b32_e32 v1, v1, v2
	v_lshlrev_b32_e32 v18, 25, v5
	v_cmp_gt_i32_e64 s11, 0, v7
	v_not_b32_e32 v2, v17
	v_ashrrev_i32_e32 v6, 31, v6
	v_xor_b32_e32 v4, s12, v4
	v_and_b32_e32 v1, v1, v3
	v_cmp_gt_i32_e64 s12, 0, v17
	v_not_b32_e32 v3, v18
	v_ashrrev_i32_e32 v2, 31, v2
	v_xor_b32_e32 v6, s11, v6
	v_and_b32_e32 v1, v1, v4
	v_not_b32_e32 v4, v13
	v_cmp_gt_i32_e64 s11, 0, v18
	v_ashrrev_i32_e32 v3, 31, v3
	v_xor_b32_e32 v2, s12, v2
	v_and_b32_e32 v1, v1, v6
	v_cmp_gt_i32_e64 s12, 0, v13
	v_ashrrev_i32_e32 v4, 31, v4
	v_xor_b32_e32 v3, s11, v3
	ds_load_b64 v[17:18], v25
	v_and_b32_e32 v1, v1, v2
	s_waitcnt lgkmcnt(0)
	v_xor_b32_e32 v0, s12, v4
	s_barrier
	buffer_gl0_inv
	v_and_b32_e32 v3, v1, v3
	v_dual_mov_b32 v1, s20 :: v_dual_mov_b32 v2, s21
	s_delay_alu instid0(VALU_DEP_2)
	v_dual_mov_b32 v3, s16 :: v_dual_and_b32 v0, v3, v0
	v_mov_b32_e32 v4, s17
	ds_store_2addr_b64 v19, v[1:2], v[3:4] offset0:2 offset1:3
	ds_store_2addr_b64 v20, v[1:2], v[3:4] offset0:2 offset1:3
	v_mbcnt_lo_u32_b32 v15, v0, 0
	v_lshl_add_u32 v1, v5, 2, v26
	v_cmp_ne_u32_e64 s12, 0, v0
	s_waitcnt lgkmcnt(0)
	s_barrier
	v_cmp_eq_u32_e64 s11, 0, v15
	v_lshl_add_u32 v16, v1, 2, 16
	buffer_gl0_inv
	; wave barrier
	s_and_b32 s12, s12, s11
	s_delay_alu instid0(SALU_CYCLE_1)
	s_and_saveexec_b32 s11, s12
	s_cbranch_execz .LBB345_60
; %bb.59:                               ;   in Loop: Header=BB345_2 Depth=1
	v_bcnt_u32_b32 v0, v0, 0
	ds_store_b32 v16, v0
.LBB345_60:                             ;   in Loop: Header=BB345_2 Depth=1
	s_or_b32 exec_lo, exec_lo, s11
	; wave barrier
	s_waitcnt lgkmcnt(0)
	s_barrier
	buffer_gl0_inv
	ds_load_2addr_b64 v[4:7], v19 offset0:2 offset1:3
	ds_load_2addr_b64 v[0:3], v20 offset0:2 offset1:3
	s_waitcnt lgkmcnt(1)
	v_add_nc_u32_e32 v28, v5, v4
	s_delay_alu instid0(VALU_DEP_1) | instskip(SKIP_1) | instid1(VALU_DEP_1)
	v_add3_u32 v28, v28, v6, v7
	s_waitcnt lgkmcnt(0)
	v_add3_u32 v28, v28, v0, v1
	s_delay_alu instid0(VALU_DEP_1) | instskip(NEXT) | instid1(VALU_DEP_1)
	v_add3_u32 v3, v28, v2, v3
	v_mov_b32_dpp v28, v3 row_shr:1 row_mask:0xf bank_mask:0xf
	s_delay_alu instid0(VALU_DEP_1) | instskip(NEXT) | instid1(VALU_DEP_1)
	v_cndmask_b32_e64 v28, v28, 0, s0
	v_add_nc_u32_e32 v3, v28, v3
	s_delay_alu instid0(VALU_DEP_1) | instskip(NEXT) | instid1(VALU_DEP_1)
	v_mov_b32_dpp v28, v3 row_shr:2 row_mask:0xf bank_mask:0xf
	v_cndmask_b32_e64 v28, 0, v28, s1
	s_delay_alu instid0(VALU_DEP_1) | instskip(NEXT) | instid1(VALU_DEP_1)
	v_add_nc_u32_e32 v3, v3, v28
	v_mov_b32_dpp v28, v3 row_shr:4 row_mask:0xf bank_mask:0xf
	s_delay_alu instid0(VALU_DEP_1) | instskip(NEXT) | instid1(VALU_DEP_1)
	v_cndmask_b32_e64 v28, 0, v28, s2
	v_add_nc_u32_e32 v3, v3, v28
	s_delay_alu instid0(VALU_DEP_1) | instskip(NEXT) | instid1(VALU_DEP_1)
	v_mov_b32_dpp v28, v3 row_shr:8 row_mask:0xf bank_mask:0xf
	v_cndmask_b32_e64 v28, 0, v28, s3
	s_delay_alu instid0(VALU_DEP_1) | instskip(SKIP_3) | instid1(VALU_DEP_1)
	v_add_nc_u32_e32 v3, v3, v28
	ds_swizzle_b32 v28, v3 offset:swizzle(BROADCAST,32,15)
	s_waitcnt lgkmcnt(0)
	v_cndmask_b32_e64 v28, v28, 0, s4
	v_add_nc_u32_e32 v3, v3, v28
	s_and_saveexec_b32 s11, s10
	s_cbranch_execz .LBB345_62
; %bb.61:                               ;   in Loop: Header=BB345_2 Depth=1
	ds_store_b32 v21, v3
.LBB345_62:                             ;   in Loop: Header=BB345_2 Depth=1
	s_or_b32 exec_lo, exec_lo, s11
	s_waitcnt lgkmcnt(0)
	s_barrier
	buffer_gl0_inv
	s_and_saveexec_b32 s11, s5
	s_cbranch_execz .LBB345_64
; %bb.63:                               ;   in Loop: Header=BB345_2 Depth=1
	ds_load_b32 v28, v23
	s_waitcnt lgkmcnt(0)
	v_mov_b32_dpp v29, v28 row_shr:1 row_mask:0xf bank_mask:0xf
	s_delay_alu instid0(VALU_DEP_1) | instskip(NEXT) | instid1(VALU_DEP_1)
	v_cndmask_b32_e64 v29, v29, 0, s8
	v_add_nc_u32_e32 v28, v29, v28
	s_delay_alu instid0(VALU_DEP_1) | instskip(NEXT) | instid1(VALU_DEP_1)
	v_mov_b32_dpp v29, v28 row_shr:2 row_mask:0xf bank_mask:0xf
	v_cndmask_b32_e64 v29, 0, v29, s9
	s_delay_alu instid0(VALU_DEP_1)
	v_add_nc_u32_e32 v28, v28, v29
	ds_store_b32 v23, v28
.LBB345_64:                             ;   in Loop: Header=BB345_2 Depth=1
	s_or_b32 exec_lo, exec_lo, s11
	v_mov_b32_e32 v28, 0
	s_waitcnt lgkmcnt(0)
	s_barrier
	buffer_gl0_inv
	s_and_saveexec_b32 s11, s6
	s_cbranch_execz .LBB345_1
; %bb.65:                               ;   in Loop: Header=BB345_2 Depth=1
	ds_load_b32 v28, v24
	s_branch .LBB345_1
.LBB345_66:
	s_waitcnt lgkmcnt(0)
	v_add3_u32 v0, v13, v15, 0x80000000
	v_add3_u32 v1, v14, v16, 0x80000000
	v_lshlrev_b32_e32 v2, 3, v8
	s_add_u32 s0, s18, s14
	s_addc_u32 s1, s19, s15
	global_store_b64 v2, v[0:1], s[0:1]
	s_nop 0
	s_sendmsg sendmsg(MSG_DEALLOC_VGPRS)
	s_endpgm
	.section	.rodata,"a",@progbits
	.p2align	6, 0x0
	.amdhsa_kernel _Z17sort_pairs_kernelI22helper_blocked_stripedN15benchmark_utils11custom_typeIiiEELj128ELj1ELj10EEvPKT0_PS4_
		.amdhsa_group_segment_fixed_size 4112
		.amdhsa_private_segment_fixed_size 0
		.amdhsa_kernarg_size 272
		.amdhsa_user_sgpr_count 15
		.amdhsa_user_sgpr_dispatch_ptr 0
		.amdhsa_user_sgpr_queue_ptr 0
		.amdhsa_user_sgpr_kernarg_segment_ptr 1
		.amdhsa_user_sgpr_dispatch_id 0
		.amdhsa_user_sgpr_private_segment_size 0
		.amdhsa_wavefront_size32 1
		.amdhsa_uses_dynamic_stack 0
		.amdhsa_enable_private_segment 0
		.amdhsa_system_sgpr_workgroup_id_x 1
		.amdhsa_system_sgpr_workgroup_id_y 0
		.amdhsa_system_sgpr_workgroup_id_z 0
		.amdhsa_system_sgpr_workgroup_info 0
		.amdhsa_system_vgpr_workitem_id 2
		.amdhsa_next_free_vgpr 30
		.amdhsa_next_free_sgpr 23
		.amdhsa_reserve_vcc 1
		.amdhsa_float_round_mode_32 0
		.amdhsa_float_round_mode_16_64 0
		.amdhsa_float_denorm_mode_32 3
		.amdhsa_float_denorm_mode_16_64 3
		.amdhsa_dx10_clamp 1
		.amdhsa_ieee_mode 1
		.amdhsa_fp16_overflow 0
		.amdhsa_workgroup_processor_mode 1
		.amdhsa_memory_ordered 1
		.amdhsa_forward_progress 0
		.amdhsa_shared_vgpr_count 0
		.amdhsa_exception_fp_ieee_invalid_op 0
		.amdhsa_exception_fp_denorm_src 0
		.amdhsa_exception_fp_ieee_div_zero 0
		.amdhsa_exception_fp_ieee_overflow 0
		.amdhsa_exception_fp_ieee_underflow 0
		.amdhsa_exception_fp_ieee_inexact 0
		.amdhsa_exception_int_div_zero 0
	.end_amdhsa_kernel
	.section	.text._Z17sort_pairs_kernelI22helper_blocked_stripedN15benchmark_utils11custom_typeIiiEELj128ELj1ELj10EEvPKT0_PS4_,"axG",@progbits,_Z17sort_pairs_kernelI22helper_blocked_stripedN15benchmark_utils11custom_typeIiiEELj128ELj1ELj10EEvPKT0_PS4_,comdat
.Lfunc_end345:
	.size	_Z17sort_pairs_kernelI22helper_blocked_stripedN15benchmark_utils11custom_typeIiiEELj128ELj1ELj10EEvPKT0_PS4_, .Lfunc_end345-_Z17sort_pairs_kernelI22helper_blocked_stripedN15benchmark_utils11custom_typeIiiEELj128ELj1ELj10EEvPKT0_PS4_
                                        ; -- End function
	.section	.AMDGPU.csdata,"",@progbits
; Kernel info:
; codeLenInByte = 8320
; NumSgprs: 25
; NumVgprs: 30
; ScratchSize: 0
; MemoryBound: 0
; FloatMode: 240
; IeeeMode: 1
; LDSByteSize: 4112 bytes/workgroup (compile time only)
; SGPRBlocks: 3
; VGPRBlocks: 3
; NumSGPRsForWavesPerEU: 25
; NumVGPRsForWavesPerEU: 30
; Occupancy: 16
; WaveLimiterHint : 0
; COMPUTE_PGM_RSRC2:SCRATCH_EN: 0
; COMPUTE_PGM_RSRC2:USER_SGPR: 15
; COMPUTE_PGM_RSRC2:TRAP_HANDLER: 0
; COMPUTE_PGM_RSRC2:TGID_X_EN: 1
; COMPUTE_PGM_RSRC2:TGID_Y_EN: 0
; COMPUTE_PGM_RSRC2:TGID_Z_EN: 0
; COMPUTE_PGM_RSRC2:TIDIG_COMP_CNT: 2
	.section	.text._Z16sort_keys_kernelI22helper_blocked_stripedN15benchmark_utils11custom_typeIiiEELj128ELj3ELj10EEvPKT0_PS4_,"axG",@progbits,_Z16sort_keys_kernelI22helper_blocked_stripedN15benchmark_utils11custom_typeIiiEELj128ELj3ELj10EEvPKT0_PS4_,comdat
	.protected	_Z16sort_keys_kernelI22helper_blocked_stripedN15benchmark_utils11custom_typeIiiEELj128ELj3ELj10EEvPKT0_PS4_ ; -- Begin function _Z16sort_keys_kernelI22helper_blocked_stripedN15benchmark_utils11custom_typeIiiEELj128ELj3ELj10EEvPKT0_PS4_
	.globl	_Z16sort_keys_kernelI22helper_blocked_stripedN15benchmark_utils11custom_typeIiiEELj128ELj3ELj10EEvPKT0_PS4_
	.p2align	8
	.type	_Z16sort_keys_kernelI22helper_blocked_stripedN15benchmark_utils11custom_typeIiiEELj128ELj3ELj10EEvPKT0_PS4_,@function
_Z16sort_keys_kernelI22helper_blocked_stripedN15benchmark_utils11custom_typeIiiEELj128ELj3ELj10EEvPKT0_PS4_: ; @_Z16sort_keys_kernelI22helper_blocked_stripedN15benchmark_utils11custom_typeIiiEELj128ELj3ELj10EEvPKT0_PS4_
; %bb.0:
	s_clause 0x1
	s_load_b128 s[16:19], s[0:1], 0x0
	s_load_b32 s2, s[0:1], 0x1c
	s_mov_b32 s23, 0
	s_mul_i32 s22, s15, 0x180
	v_bfe_u32 v9, v0, 10, 10
	s_lshl_b64 s[20:21], s[22:23], 3
	s_mov_b32 s22, s23
	v_and_b32_e32 v8, 0x3ff, v0
	v_bfe_u32 v0, v0, 20, 10
	v_mbcnt_lo_u32_b32 v12, -1, 0
	s_mov_b32 s12, s23
	s_mov_b32 s13, s23
	v_mul_u32_u24_e32 v1, 3, v8
	s_delay_alu instid0(VALU_DEP_2) | instskip(NEXT) | instid1(VALU_DEP_2)
	v_cmp_eq_u32_e64 s8, 0, v12
	v_lshlrev_b32_e32 v7, 3, v1
	s_waitcnt lgkmcnt(0)
	s_add_u32 s0, s16, s20
	s_addc_u32 s1, s17, s21
	s_clause 0x2
	global_load_b64 v[5:6], v7, s[0:1] offset:16
	global_load_b128 v[1:4], v7, s[0:1]
	global_load_b64 v[1:2], v7, s[0:1]
	s_lshr_b32 s0, s2, 16
	s_delay_alu instid0(SALU_CYCLE_1)
	v_mad_u32_u24 v0, v0, s0, v9
	s_and_b32 s0, s2, 0xffff
	s_delay_alu instid0(VALU_DEP_1) | instid1(SALU_CYCLE_1)
	v_mad_u64_u32 v[9:10], null, v0, s0, v[8:9]
	v_and_b32_e32 v10, 15, v12
	s_delay_alu instid0(VALU_DEP_1) | instskip(NEXT) | instid1(VALU_DEP_3)
	v_cmp_eq_u32_e64 s0, 0, v10
	v_lshrrev_b32_e32 v23, 5, v9
	v_add_nc_u32_e32 v9, -1, v12
	v_cmp_lt_u32_e64 s1, 1, v10
	v_cmp_lt_u32_e64 s2, 3, v10
	;; [unrolled: 1-line block ×3, first 2 shown]
	s_delay_alu instid0(VALU_DEP_4) | instskip(SKIP_1) | instid1(VALU_DEP_1)
	v_cmp_gt_i32_e32 vcc_lo, 0, v9
	v_cndmask_b32_e32 v9, v9, v12, vcc_lo
	v_lshlrev_b32_e32 v24, 2, v9
	v_and_b32_e32 v9, 3, v12
	s_delay_alu instid0(VALU_DEP_1)
	v_cmp_eq_u32_e64 s10, 0, v9
	v_cmp_lt_u32_e64 s11, 1, v9
	v_mov_b32_e32 v9, s22
	v_lshrrev_b32_e32 v7, 5, v8
	v_lshlrev_b32_e32 v19, 5, v8
	v_cmp_gt_u32_e64 s6, 4, v8
	v_cmp_lt_u32_e64 s7, 31, v8
	v_cmp_eq_u32_e64 s9, 0, v8
	v_mul_u32_u24_e32 v11, 0x60, v7
	v_lshlrev_b32_e32 v25, 2, v7
	v_mad_i32_i24 v26, 0xffffffe4, v8, v19
	v_or_b32_e32 v22, 16, v19
	v_mov_b32_e32 v10, s23
	v_or_b32_e32 v0, v12, v11
	v_lshlrev_b32_e32 v13, 3, v11
	v_and_b32_e32 v11, 16, v12
	v_add_nc_u32_e32 v27, -4, v25
	s_delay_alu instid0(VALU_DEP_4) | instskip(SKIP_3) | instid1(VALU_DEP_3)
	v_lshlrev_b32_e32 v21, 3, v0
	v_and_b32_e32 v0, 0x60, v8
	v_mad_u32_u24 v20, v12, 24, v13
	v_cmp_eq_u32_e64 s4, 0, v11
	v_or_b32_e32 v13, 31, v0
	v_mul_u32_u24_e32 v0, 3, v0
	s_delay_alu instid0(VALU_DEP_2) | instskip(NEXT) | instid1(VALU_DEP_2)
	v_cmp_eq_u32_e64 s5, v13, v8
	v_or_b32_e32 v0, v12, v0
	v_dual_mov_b32 v11, s12 :: v_dual_mov_b32 v12, s13
	s_delay_alu instid0(VALU_DEP_2) | instskip(SKIP_1) | instid1(VALU_DEP_1)
	v_lshlrev_b32_e32 v28, 3, v0
	v_lshlrev_b32_e32 v0, 2, v8
	v_add_nc_u32_e32 v29, v26, v0
	s_branch .LBB346_2
.LBB346_1:                              ;   in Loop: Header=BB346_2 Depth=1
	s_barrier
	buffer_gl0_inv
	ds_store_b64 v6, v[13:14]
	ds_store_b64 v7, v[17:18]
	;; [unrolled: 1-line block ×3, first 2 shown]
	s_waitcnt lgkmcnt(0)
	s_barrier
	buffer_gl0_inv
	ds_load_2addr_stride64_b64 v[1:4], v29 offset1:2
	ds_load_b64 v[5:6], v29 offset:2048
	s_add_i32 s23, s23, 1
	s_delay_alu instid0(SALU_CYCLE_1)
	s_cmp_eq_u32 s23, 10
	s_waitcnt lgkmcnt(1)
	v_xor_b32_e32 v1, 0x80000000, v1
	v_xor_b32_e32 v2, 0x80000000, v2
	;; [unrolled: 1-line block ×4, first 2 shown]
	s_waitcnt lgkmcnt(0)
	v_xor_b32_e32 v5, 0x80000000, v5
	v_xor_b32_e32 v6, 0x80000000, v6
	s_cbranch_scc1 .LBB346_18
.LBB346_2:                              ; =>This Loop Header: Depth=1
                                        ;     Child Loop BB346_4 Depth 2
	s_waitcnt vmcnt(0)
	v_xor_b32_e32 v2, 0x80000000, v2
	v_xor_b32_e32 v1, 0x80000000, v1
	;; [unrolled: 1-line block ×6, first 2 shown]
	ds_store_2addr_b64 v20, v[1:2], v[3:4] offset1:1
	ds_store_b64 v20, v[5:6] offset:16
	; wave barrier
	ds_load_2addr_b64 v[0:3], v21 offset1:32
	ds_load_b64 v[4:5], v21 offset:512
	s_mov_b32 s15, 8
	s_mov_b32 s16, 32
	;; [unrolled: 1-line block ×3, first 2 shown]
	s_waitcnt lgkmcnt(0)
	s_barrier
	buffer_gl0_inv
	; wave barrier
	s_barrier
	s_branch .LBB346_4
.LBB346_3:                              ;   in Loop: Header=BB346_4 Depth=2
	s_barrier
	buffer_gl0_inv
	ds_store_b64 v6, v[13:14]
	ds_store_b64 v7, v[17:18]
	;; [unrolled: 1-line block ×3, first 2 shown]
	s_waitcnt lgkmcnt(0)
	s_barrier
	buffer_gl0_inv
	ds_load_2addr_b64 v[0:3], v28 offset1:32
	ds_load_b64 v[4:5], v28 offset:512
	s_add_i32 s16, s16, -8
	s_add_i32 s15, s15, 8
	s_add_i32 s17, s17, 8
	s_waitcnt lgkmcnt(0)
	s_barrier
	s_cbranch_execz .LBB346_1
.LBB346_4:                              ;   Parent Loop BB346_2 Depth=1
                                        ; =>  This Inner Loop Header: Depth=2
	s_min_i32 s13, s15, 32
	s_cmp_lt_u32 s17, 32
	v_dual_mov_b32 v14, v1 :: v_dual_mov_b32 v13, v0
	s_cselect_b32 vcc_lo, -1, 0
	s_cmp_gt_u32 s17, 24
	buffer_gl0_inv
	s_cselect_b32 s12, -1, 0
	s_sub_i32 s13, s13, 32
	v_lshrrev_b32_e32 v1, s17, v14
	s_add_i32 s14, s13, s16
	ds_store_2addr_b64 v19, v[9:10], v[11:12] offset0:2 offset1:3
	ds_store_2addr_b64 v22, v[9:10], v[11:12] offset0:2 offset1:3
	s_lshl_b32 s14, -1, s14
	s_waitcnt lgkmcnt(0)
	s_not_b32 s14, s14
	s_cmp_lg_u32 s13, s17
	s_barrier
	s_cselect_b32 s22, s14, -1
	s_max_i32 s24, s16, 0
	s_max_i32 s13, s17, 32
	v_and_b32_e32 v1, s22, v1
	s_sub_i32 s14, s13, s24
	s_sub_i32 s25, s13, 32
	;; [unrolled: 1-line block ×3, first 2 shown]
	v_lshrrev_b32_e32 v0, s25, v13
	s_min_i32 s13, s14, 32
	buffer_gl0_inv
	s_sub_i32 s13, s13, s25
	s_delay_alu instid0(SALU_CYCLE_1) | instskip(NEXT) | instid1(SALU_CYCLE_1)
	s_lshl_b32 s14, -1, s13
	; wave barrier
	s_not_b32 s14, s14
	s_cmp_lg_u32 s13, 32
	v_cndmask_b32_e32 v1, 0, v1, vcc_lo
	s_cselect_b32 s26, s14, -1
	s_delay_alu instid0(SALU_CYCLE_1) | instskip(NEXT) | instid1(VALU_DEP_1)
	v_and_b32_e32 v0, s26, v0
	v_lshlrev_b32_e32 v0, s24, v0
	s_delay_alu instid0(VALU_DEP_1) | instskip(NEXT) | instid1(VALU_DEP_1)
	v_cndmask_b32_e64 v0, 0, v0, s12
	v_or_b32_e32 v1, v1, v0
	s_delay_alu instid0(VALU_DEP_1)
	v_and_b32_e32 v0, 1, v1
	v_lshlrev_b32_e32 v6, 30, v1
	v_lshlrev_b32_e32 v7, 29, v1
	;; [unrolled: 1-line block ×4, first 2 shown]
	v_add_co_u32 v0, s13, v0, -1
	s_delay_alu instid0(VALU_DEP_1)
	v_cndmask_b32_e64 v16, 0, 1, s13
	v_not_b32_e32 v31, v6
	v_cmp_gt_i32_e64 s14, 0, v6
	v_not_b32_e32 v6, v7
	v_lshlrev_b32_e32 v18, 26, v1
	v_cmp_ne_u32_e64 s13, 0, v16
	v_ashrrev_i32_e32 v31, 31, v31
	v_lshlrev_b32_e32 v30, 25, v1
	v_ashrrev_i32_e32 v6, 31, v6
	v_lshlrev_b32_e32 v16, 24, v1
	v_xor_b32_e32 v0, s13, v0
	v_cmp_gt_i32_e64 s13, 0, v7
	v_not_b32_e32 v7, v15
	v_xor_b32_e32 v31, s14, v31
	v_cmp_gt_i32_e64 s14, 0, v15
	v_and_b32_e32 v0, exec_lo, v0
	v_not_b32_e32 v15, v17
	v_ashrrev_i32_e32 v7, 31, v7
	v_xor_b32_e32 v6, s13, v6
	v_cmp_gt_i32_e64 s13, 0, v17
	v_and_b32_e32 v0, v0, v31
	v_not_b32_e32 v17, v18
	v_ashrrev_i32_e32 v15, 31, v15
	v_xor_b32_e32 v7, s14, v7
	v_cmp_gt_i32_e64 s14, 0, v18
	v_and_b32_e32 v0, v0, v6
	;; [unrolled: 5-line block ×4, first 2 shown]
	v_mov_b32_e32 v16, v5
	v_ashrrev_i32_e32 v7, 31, v7
	v_xor_b32_e32 v6, s13, v6
	v_lshl_add_u32 v1, v1, 2, v23
	v_and_b32_e32 v0, v0, v17
	v_mov_b32_e32 v18, v3
	v_xor_b32_e32 v7, s14, v7
	v_mov_b32_e32 v17, v2
	v_mov_b32_e32 v15, v4
	v_and_b32_e32 v0, v0, v6
	v_lshl_add_u32 v31, v1, 2, 16
	s_delay_alu instid0(VALU_DEP_2) | instskip(NEXT) | instid1(VALU_DEP_1)
	v_and_b32_e32 v0, v0, v7
	v_mbcnt_lo_u32_b32 v30, v0, 0
	v_cmp_ne_u32_e64 s14, 0, v0
	s_delay_alu instid0(VALU_DEP_2) | instskip(NEXT) | instid1(VALU_DEP_1)
	v_cmp_eq_u32_e64 s13, 0, v30
	s_and_b32 s14, s13, s14
	s_delay_alu instid0(SALU_CYCLE_1)
	s_and_saveexec_b32 s13, s14
	s_cbranch_execz .LBB346_6
; %bb.5:                                ;   in Loop: Header=BB346_4 Depth=2
	v_bcnt_u32_b32 v0, v0, 0
	ds_store_b32 v31, v0
.LBB346_6:                              ;   in Loop: Header=BB346_4 Depth=2
	s_or_b32 exec_lo, exec_lo, s13
	v_lshrrev_b32_e32 v0, s25, v17
	v_lshrrev_b32_e32 v1, s17, v18
	; wave barrier
	s_delay_alu instid0(VALU_DEP_1) | instskip(NEXT) | instid1(VALU_DEP_1)
	v_and_b32_e32 v1, s22, v1
	v_dual_cndmask_b32 v1, 0, v1 :: v_dual_and_b32 v0, s26, v0
	s_delay_alu instid0(VALU_DEP_1) | instskip(NEXT) | instid1(VALU_DEP_1)
	v_lshlrev_b32_e32 v0, s24, v0
	v_cndmask_b32_e64 v0, 0, v0, s12
	s_delay_alu instid0(VALU_DEP_1) | instskip(NEXT) | instid1(VALU_DEP_1)
	v_or_b32_e32 v0, v1, v0
	v_and_b32_e32 v1, 1, v0
	v_lshlrev_b32_e32 v2, 30, v0
	v_lshlrev_b32_e32 v3, 29, v0
	;; [unrolled: 1-line block ×4, first 2 shown]
	v_add_co_u32 v1, s13, v1, -1
	s_delay_alu instid0(VALU_DEP_1)
	v_cndmask_b32_e64 v5, 0, 1, s13
	v_not_b32_e32 v33, v2
	v_cmp_gt_i32_e64 s14, 0, v2
	v_not_b32_e32 v2, v3
	v_lshlrev_b32_e32 v7, 26, v0
	v_cmp_ne_u32_e64 s13, 0, v5
	v_ashrrev_i32_e32 v33, 31, v33
	v_lshlrev_b32_e32 v32, 25, v0
	v_ashrrev_i32_e32 v2, 31, v2
	v_lshlrev_b32_e32 v5, 24, v0
	v_xor_b32_e32 v1, s13, v1
	v_cmp_gt_i32_e64 s13, 0, v3
	v_not_b32_e32 v3, v4
	v_xor_b32_e32 v33, s14, v33
	v_cmp_gt_i32_e64 s14, 0, v4
	v_and_b32_e32 v1, exec_lo, v1
	v_not_b32_e32 v4, v6
	v_ashrrev_i32_e32 v3, 31, v3
	v_xor_b32_e32 v2, s13, v2
	v_cmp_gt_i32_e64 s13, 0, v6
	v_and_b32_e32 v1, v1, v33
	v_not_b32_e32 v6, v7
	v_ashrrev_i32_e32 v4, 31, v4
	v_xor_b32_e32 v3, s14, v3
	v_cmp_gt_i32_e64 s14, 0, v7
	v_and_b32_e32 v1, v1, v2
	;; [unrolled: 5-line block ×3, first 2 shown]
	v_not_b32_e32 v3, v5
	v_ashrrev_i32_e32 v2, 31, v2
	v_xor_b32_e32 v6, s14, v6
	v_lshlrev_b32_e32 v0, 2, v0
	v_and_b32_e32 v1, v1, v4
	v_cmp_gt_i32_e64 s14, 0, v5
	v_ashrrev_i32_e32 v3, 31, v3
	v_xor_b32_e32 v2, s13, v2
	v_add_lshl_u32 v4, v0, v23, 2
	v_and_b32_e32 v1, v1, v6
	s_delay_alu instid0(VALU_DEP_4) | instskip(SKIP_3) | instid1(VALU_DEP_2)
	v_xor_b32_e32 v0, s14, v3
	ds_load_b32 v32, v4 offset:16
	v_and_b32_e32 v1, v1, v2
	v_add_nc_u32_e32 v34, 16, v4
	; wave barrier
	v_and_b32_e32 v0, v1, v0
	s_delay_alu instid0(VALU_DEP_1) | instskip(SKIP_1) | instid1(VALU_DEP_2)
	v_mbcnt_lo_u32_b32 v33, v0, 0
	v_cmp_ne_u32_e64 s14, 0, v0
	v_cmp_eq_u32_e64 s13, 0, v33
	s_delay_alu instid0(VALU_DEP_1) | instskip(NEXT) | instid1(SALU_CYCLE_1)
	s_and_b32 s14, s13, s14
	s_and_saveexec_b32 s13, s14
	s_cbranch_execz .LBB346_8
; %bb.7:                                ;   in Loop: Header=BB346_4 Depth=2
	s_waitcnt lgkmcnt(0)
	v_bcnt_u32_b32 v0, v0, v32
	ds_store_b32 v34, v0
.LBB346_8:                              ;   in Loop: Header=BB346_4 Depth=2
	s_or_b32 exec_lo, exec_lo, s13
	v_lshrrev_b32_e32 v0, s25, v15
	v_lshrrev_b32_e32 v1, s17, v16
	; wave barrier
	s_delay_alu instid0(VALU_DEP_1) | instskip(NEXT) | instid1(VALU_DEP_1)
	v_and_b32_e32 v1, s22, v1
	v_dual_cndmask_b32 v1, 0, v1 :: v_dual_and_b32 v0, s26, v0
	s_delay_alu instid0(VALU_DEP_1) | instskip(NEXT) | instid1(VALU_DEP_1)
	v_lshlrev_b32_e32 v0, s24, v0
	v_cndmask_b32_e64 v0, 0, v0, s12
	s_delay_alu instid0(VALU_DEP_1) | instskip(NEXT) | instid1(VALU_DEP_1)
	v_or_b32_e32 v0, v1, v0
	v_and_b32_e32 v1, 1, v0
	v_lshlrev_b32_e32 v2, 30, v0
	v_lshlrev_b32_e32 v3, 29, v0
	;; [unrolled: 1-line block ×4, first 2 shown]
	v_add_co_u32 v1, s12, v1, -1
	s_delay_alu instid0(VALU_DEP_1)
	v_cndmask_b32_e64 v5, 0, 1, s12
	v_not_b32_e32 v36, v2
	v_cmp_gt_i32_e64 s12, 0, v2
	v_not_b32_e32 v2, v3
	v_lshlrev_b32_e32 v7, 26, v0
	v_cmp_ne_u32_e32 vcc_lo, 0, v5
	v_ashrrev_i32_e32 v36, 31, v36
	v_lshlrev_b32_e32 v35, 25, v0
	v_ashrrev_i32_e32 v2, 31, v2
	v_lshlrev_b32_e32 v5, 24, v0
	v_xor_b32_e32 v1, vcc_lo, v1
	v_cmp_gt_i32_e32 vcc_lo, 0, v3
	v_not_b32_e32 v3, v4
	v_xor_b32_e32 v36, s12, v36
	v_cmp_gt_i32_e64 s12, 0, v4
	v_and_b32_e32 v1, exec_lo, v1
	v_not_b32_e32 v4, v6
	v_ashrrev_i32_e32 v3, 31, v3
	v_xor_b32_e32 v2, vcc_lo, v2
	v_cmp_gt_i32_e32 vcc_lo, 0, v6
	v_and_b32_e32 v1, v1, v36
	v_not_b32_e32 v6, v7
	v_ashrrev_i32_e32 v4, 31, v4
	v_xor_b32_e32 v3, s12, v3
	v_cmp_gt_i32_e64 s12, 0, v7
	v_and_b32_e32 v1, v1, v2
	v_not_b32_e32 v2, v35
	v_ashrrev_i32_e32 v6, 31, v6
	v_xor_b32_e32 v4, vcc_lo, v4
	v_cmp_gt_i32_e32 vcc_lo, 0, v35
	v_and_b32_e32 v1, v1, v3
	v_not_b32_e32 v3, v5
	v_ashrrev_i32_e32 v2, 31, v2
	v_xor_b32_e32 v6, s12, v6
	v_lshlrev_b32_e32 v0, 2, v0
	v_and_b32_e32 v1, v1, v4
	v_cmp_gt_i32_e64 s12, 0, v5
	v_ashrrev_i32_e32 v3, 31, v3
	v_xor_b32_e32 v2, vcc_lo, v2
	v_add_lshl_u32 v4, v0, v23, 2
	v_and_b32_e32 v1, v1, v6
	s_delay_alu instid0(VALU_DEP_4) | instskip(SKIP_3) | instid1(VALU_DEP_2)
	v_xor_b32_e32 v0, s12, v3
	ds_load_b32 v35, v4 offset:16
	v_and_b32_e32 v1, v1, v2
	v_add_nc_u32_e32 v37, 16, v4
	; wave barrier
	v_and_b32_e32 v0, v1, v0
	s_delay_alu instid0(VALU_DEP_1) | instskip(SKIP_1) | instid1(VALU_DEP_2)
	v_mbcnt_lo_u32_b32 v36, v0, 0
	v_cmp_ne_u32_e64 s12, 0, v0
	v_cmp_eq_u32_e32 vcc_lo, 0, v36
	s_delay_alu instid0(VALU_DEP_2) | instskip(NEXT) | instid1(SALU_CYCLE_1)
	s_and_b32 s13, vcc_lo, s12
	s_and_saveexec_b32 s12, s13
	s_cbranch_execz .LBB346_10
; %bb.9:                                ;   in Loop: Header=BB346_4 Depth=2
	s_waitcnt lgkmcnt(0)
	v_bcnt_u32_b32 v0, v0, v35
	ds_store_b32 v37, v0
.LBB346_10:                             ;   in Loop: Header=BB346_4 Depth=2
	s_or_b32 exec_lo, exec_lo, s12
	; wave barrier
	s_waitcnt lgkmcnt(0)
	s_barrier
	buffer_gl0_inv
	ds_load_2addr_b64 v[4:7], v19 offset0:2 offset1:3
	ds_load_2addr_b64 v[0:3], v22 offset0:2 offset1:3
	s_waitcnt lgkmcnt(1)
	v_add_nc_u32_e32 v38, v5, v4
	s_delay_alu instid0(VALU_DEP_1) | instskip(SKIP_1) | instid1(VALU_DEP_1)
	v_add3_u32 v38, v38, v6, v7
	s_waitcnt lgkmcnt(0)
	v_add3_u32 v38, v38, v0, v1
	s_delay_alu instid0(VALU_DEP_1) | instskip(NEXT) | instid1(VALU_DEP_1)
	v_add3_u32 v3, v38, v2, v3
	v_mov_b32_dpp v38, v3 row_shr:1 row_mask:0xf bank_mask:0xf
	s_delay_alu instid0(VALU_DEP_1) | instskip(NEXT) | instid1(VALU_DEP_1)
	v_cndmask_b32_e64 v38, v38, 0, s0
	v_add_nc_u32_e32 v3, v38, v3
	s_delay_alu instid0(VALU_DEP_1) | instskip(NEXT) | instid1(VALU_DEP_1)
	v_mov_b32_dpp v38, v3 row_shr:2 row_mask:0xf bank_mask:0xf
	v_cndmask_b32_e64 v38, 0, v38, s1
	s_delay_alu instid0(VALU_DEP_1) | instskip(NEXT) | instid1(VALU_DEP_1)
	v_add_nc_u32_e32 v3, v3, v38
	v_mov_b32_dpp v38, v3 row_shr:4 row_mask:0xf bank_mask:0xf
	s_delay_alu instid0(VALU_DEP_1) | instskip(NEXT) | instid1(VALU_DEP_1)
	v_cndmask_b32_e64 v38, 0, v38, s2
	v_add_nc_u32_e32 v3, v3, v38
	s_delay_alu instid0(VALU_DEP_1) | instskip(NEXT) | instid1(VALU_DEP_1)
	v_mov_b32_dpp v38, v3 row_shr:8 row_mask:0xf bank_mask:0xf
	v_cndmask_b32_e64 v38, 0, v38, s3
	s_delay_alu instid0(VALU_DEP_1) | instskip(SKIP_3) | instid1(VALU_DEP_1)
	v_add_nc_u32_e32 v3, v3, v38
	ds_swizzle_b32 v38, v3 offset:swizzle(BROADCAST,32,15)
	s_waitcnt lgkmcnt(0)
	v_cndmask_b32_e64 v38, v38, 0, s4
	v_add_nc_u32_e32 v3, v3, v38
	s_and_saveexec_b32 s12, s5
	s_cbranch_execz .LBB346_12
; %bb.11:                               ;   in Loop: Header=BB346_4 Depth=2
	ds_store_b32 v25, v3
.LBB346_12:                             ;   in Loop: Header=BB346_4 Depth=2
	s_or_b32 exec_lo, exec_lo, s12
	s_waitcnt lgkmcnt(0)
	s_barrier
	buffer_gl0_inv
	s_and_saveexec_b32 s12, s6
	s_cbranch_execz .LBB346_14
; %bb.13:                               ;   in Loop: Header=BB346_4 Depth=2
	ds_load_b32 v38, v26
	s_waitcnt lgkmcnt(0)
	v_mov_b32_dpp v39, v38 row_shr:1 row_mask:0xf bank_mask:0xf
	s_delay_alu instid0(VALU_DEP_1) | instskip(NEXT) | instid1(VALU_DEP_1)
	v_cndmask_b32_e64 v39, v39, 0, s10
	v_add_nc_u32_e32 v38, v39, v38
	s_delay_alu instid0(VALU_DEP_1) | instskip(NEXT) | instid1(VALU_DEP_1)
	v_mov_b32_dpp v39, v38 row_shr:2 row_mask:0xf bank_mask:0xf
	v_cndmask_b32_e64 v39, 0, v39, s11
	s_delay_alu instid0(VALU_DEP_1)
	v_add_nc_u32_e32 v38, v38, v39
	ds_store_b32 v26, v38
.LBB346_14:                             ;   in Loop: Header=BB346_4 Depth=2
	s_or_b32 exec_lo, exec_lo, s12
	v_mov_b32_e32 v38, 0
	s_waitcnt lgkmcnt(0)
	s_barrier
	buffer_gl0_inv
	s_and_saveexec_b32 s12, s7
	s_cbranch_execz .LBB346_16
; %bb.15:                               ;   in Loop: Header=BB346_4 Depth=2
	ds_load_b32 v38, v27
.LBB346_16:                             ;   in Loop: Header=BB346_4 Depth=2
	s_or_b32 exec_lo, exec_lo, s12
	s_waitcnt lgkmcnt(0)
	v_add_nc_u32_e32 v3, v38, v3
	s_cmp_gt_u32 s17, 55
	ds_bpermute_b32 v3, v24, v3
	s_waitcnt lgkmcnt(0)
	v_cndmask_b32_e64 v3, v3, v38, s8
	s_delay_alu instid0(VALU_DEP_1) | instskip(NEXT) | instid1(VALU_DEP_1)
	v_cndmask_b32_e64 v3, v3, 0, s9
	v_add_nc_u32_e32 v4, v3, v4
	s_delay_alu instid0(VALU_DEP_1) | instskip(NEXT) | instid1(VALU_DEP_1)
	v_add_nc_u32_e32 v5, v4, v5
	v_add_nc_u32_e32 v6, v5, v6
	s_delay_alu instid0(VALU_DEP_1) | instskip(NEXT) | instid1(VALU_DEP_1)
	v_add_nc_u32_e32 v38, v6, v7
	;; [unrolled: 3-line block ×3, first 2 shown]
	v_add_nc_u32_e32 v1, v0, v2
	ds_store_2addr_b64 v19, v[3:4], v[5:6] offset0:2 offset1:3
	ds_store_2addr_b64 v22, v[38:39], v[0:1] offset0:2 offset1:3
	s_waitcnt lgkmcnt(0)
	s_barrier
	buffer_gl0_inv
	ds_load_b32 v0, v34
	ds_load_b32 v1, v37
	;; [unrolled: 1-line block ×3, first 2 shown]
	v_lshlrev_b32_e32 v3, 3, v30
	v_lshlrev_b32_e32 v4, 3, v33
	;; [unrolled: 1-line block ×5, first 2 shown]
	s_waitcnt lgkmcnt(0)
	v_lshlrev_b32_e32 v0, 3, v0
	v_lshlrev_b32_e32 v1, 3, v1
	v_lshl_add_u32 v6, v2, 3, v3
	s_delay_alu instid0(VALU_DEP_3) | instskip(NEXT) | instid1(VALU_DEP_3)
	v_add3_u32 v7, v4, v5, v0
	v_add3_u32 v30, v30, v31, v1
	s_cbranch_scc0 .LBB346_3
; %bb.17:                               ;   in Loop: Header=BB346_2 Depth=1
                                        ; implicit-def: $sgpr17
                                        ; implicit-def: $vgpr0_vgpr1
                                        ; implicit-def: $vgpr4_vgpr5
                                        ; implicit-def: $sgpr16
                                        ; implicit-def: $sgpr15
	s_branch .LBB346_1
.LBB346_18:
	v_lshlrev_b32_e32 v0, 3, v8
	s_add_u32 s0, s18, s20
	s_addc_u32 s1, s19, s21
	s_clause 0x2
	global_store_b64 v0, v[1:2], s[0:1]
	global_store_b64 v0, v[3:4], s[0:1] offset:1024
	global_store_b64 v0, v[5:6], s[0:1] offset:2048
	s_nop 0
	s_sendmsg sendmsg(MSG_DEALLOC_VGPRS)
	s_endpgm
	.section	.rodata,"a",@progbits
	.p2align	6, 0x0
	.amdhsa_kernel _Z16sort_keys_kernelI22helper_blocked_stripedN15benchmark_utils11custom_typeIiiEELj128ELj3ELj10EEvPKT0_PS4_
		.amdhsa_group_segment_fixed_size 4112
		.amdhsa_private_segment_fixed_size 0
		.amdhsa_kernarg_size 272
		.amdhsa_user_sgpr_count 15
		.amdhsa_user_sgpr_dispatch_ptr 0
		.amdhsa_user_sgpr_queue_ptr 0
		.amdhsa_user_sgpr_kernarg_segment_ptr 1
		.amdhsa_user_sgpr_dispatch_id 0
		.amdhsa_user_sgpr_private_segment_size 0
		.amdhsa_wavefront_size32 1
		.amdhsa_uses_dynamic_stack 0
		.amdhsa_enable_private_segment 0
		.amdhsa_system_sgpr_workgroup_id_x 1
		.amdhsa_system_sgpr_workgroup_id_y 0
		.amdhsa_system_sgpr_workgroup_id_z 0
		.amdhsa_system_sgpr_workgroup_info 0
		.amdhsa_system_vgpr_workitem_id 2
		.amdhsa_next_free_vgpr 40
		.amdhsa_next_free_sgpr 27
		.amdhsa_reserve_vcc 1
		.amdhsa_float_round_mode_32 0
		.amdhsa_float_round_mode_16_64 0
		.amdhsa_float_denorm_mode_32 3
		.amdhsa_float_denorm_mode_16_64 3
		.amdhsa_dx10_clamp 1
		.amdhsa_ieee_mode 1
		.amdhsa_fp16_overflow 0
		.amdhsa_workgroup_processor_mode 1
		.amdhsa_memory_ordered 1
		.amdhsa_forward_progress 0
		.amdhsa_shared_vgpr_count 0
		.amdhsa_exception_fp_ieee_invalid_op 0
		.amdhsa_exception_fp_denorm_src 0
		.amdhsa_exception_fp_ieee_div_zero 0
		.amdhsa_exception_fp_ieee_overflow 0
		.amdhsa_exception_fp_ieee_underflow 0
		.amdhsa_exception_fp_ieee_inexact 0
		.amdhsa_exception_int_div_zero 0
	.end_amdhsa_kernel
	.section	.text._Z16sort_keys_kernelI22helper_blocked_stripedN15benchmark_utils11custom_typeIiiEELj128ELj3ELj10EEvPKT0_PS4_,"axG",@progbits,_Z16sort_keys_kernelI22helper_blocked_stripedN15benchmark_utils11custom_typeIiiEELj128ELj3ELj10EEvPKT0_PS4_,comdat
.Lfunc_end346:
	.size	_Z16sort_keys_kernelI22helper_blocked_stripedN15benchmark_utils11custom_typeIiiEELj128ELj3ELj10EEvPKT0_PS4_, .Lfunc_end346-_Z16sort_keys_kernelI22helper_blocked_stripedN15benchmark_utils11custom_typeIiiEELj128ELj3ELj10EEvPKT0_PS4_
                                        ; -- End function
	.section	.AMDGPU.csdata,"",@progbits
; Kernel info:
; codeLenInByte = 2672
; NumSgprs: 29
; NumVgprs: 40
; ScratchSize: 0
; MemoryBound: 0
; FloatMode: 240
; IeeeMode: 1
; LDSByteSize: 4112 bytes/workgroup (compile time only)
; SGPRBlocks: 3
; VGPRBlocks: 4
; NumSGPRsForWavesPerEU: 29
; NumVGPRsForWavesPerEU: 40
; Occupancy: 16
; WaveLimiterHint : 1
; COMPUTE_PGM_RSRC2:SCRATCH_EN: 0
; COMPUTE_PGM_RSRC2:USER_SGPR: 15
; COMPUTE_PGM_RSRC2:TRAP_HANDLER: 0
; COMPUTE_PGM_RSRC2:TGID_X_EN: 1
; COMPUTE_PGM_RSRC2:TGID_Y_EN: 0
; COMPUTE_PGM_RSRC2:TGID_Z_EN: 0
; COMPUTE_PGM_RSRC2:TIDIG_COMP_CNT: 2
	.section	.text._Z17sort_pairs_kernelI22helper_blocked_stripedN15benchmark_utils11custom_typeIiiEELj128ELj3ELj10EEvPKT0_PS4_,"axG",@progbits,_Z17sort_pairs_kernelI22helper_blocked_stripedN15benchmark_utils11custom_typeIiiEELj128ELj3ELj10EEvPKT0_PS4_,comdat
	.protected	_Z17sort_pairs_kernelI22helper_blocked_stripedN15benchmark_utils11custom_typeIiiEELj128ELj3ELj10EEvPKT0_PS4_ ; -- Begin function _Z17sort_pairs_kernelI22helper_blocked_stripedN15benchmark_utils11custom_typeIiiEELj128ELj3ELj10EEvPKT0_PS4_
	.globl	_Z17sort_pairs_kernelI22helper_blocked_stripedN15benchmark_utils11custom_typeIiiEELj128ELj3ELj10EEvPKT0_PS4_
	.p2align	8
	.type	_Z17sort_pairs_kernelI22helper_blocked_stripedN15benchmark_utils11custom_typeIiiEELj128ELj3ELj10EEvPKT0_PS4_,@function
_Z17sort_pairs_kernelI22helper_blocked_stripedN15benchmark_utils11custom_typeIiiEELj128ELj3ELj10EEvPKT0_PS4_: ; @_Z17sort_pairs_kernelI22helper_blocked_stripedN15benchmark_utils11custom_typeIiiEELj128ELj3ELj10EEvPKT0_PS4_
; %bb.0:
	s_clause 0x1
	s_load_b128 s[16:19], s[0:1], 0x0
	s_load_b32 s11, s[0:1], 0x1c
	s_mov_b32 s23, 0
	s_mul_i32 s22, s15, 0x180
	v_mbcnt_lo_u32_b32 v7, -1, 0
	s_lshl_b64 s[20:21], s[22:23], 3
	s_mov_b32 s22, s23
	s_delay_alu instid0(SALU_CYCLE_1) | instskip(NEXT) | instid1(VALU_DEP_2)
	v_dual_mov_b32 v10, s22 :: v_dual_and_b32 v9, 0x3ff, v0
	v_add_nc_u32_e32 v12, -1, v7
	s_mov_b32 s12, s23
	s_mov_b32 s13, s23
	s_delay_alu instid0(VALU_DEP_2) | instskip(SKIP_3) | instid1(VALU_DEP_4)
	v_mul_u32_u24_e32 v1, 3, v9
	v_and_b32_e32 v8, 16, v7
	v_cmp_gt_i32_e32 vcc_lo, 0, v12
	v_dual_mov_b32 v11, s23 :: v_dual_and_b32 v6, 15, v7
	v_lshlrev_b32_e32 v5, 3, v1
	s_delay_alu instid0(VALU_DEP_4)
	v_cmp_eq_u32_e64 s5, 0, v8
	v_cndmask_b32_e32 v8, v12, v7, vcc_lo
	s_waitcnt lgkmcnt(0)
	s_add_u32 s0, s16, s20
	s_addc_u32 s1, s17, s21
	v_and_b32_e32 v13, 3, v7
	s_clause 0x1
	global_load_b128 v[1:4], v5, s[0:1]
	global_load_b64 v[14:15], v5, s[0:1] offset:16
	v_bfe_u32 v5, v0, 10, 10
	v_bfe_u32 v0, v0, 20, 10
	v_lshrrev_b32_e32 v16, 5, v9
	v_cmp_eq_u32_e64 s1, 0, v6
	v_cmp_lt_u32_e64 s2, 1, v6
	v_cmp_lt_u32_e64 s3, 3, v6
	;; [unrolled: 1-line block ×3, first 2 shown]
	v_and_b32_e32 v6, 0x60, v9
	s_lshr_b32 s14, s11, 16
	v_lshlrev_b32_e32 v30, 5, v9
	v_mad_u32_u24 v0, v0, s14, v5
	v_cmp_eq_u32_e64 s9, 0, v13
	v_cmp_lt_u32_e64 s10, 1, v13
	v_mul_u32_u24_e32 v13, 0x60, v16
	v_lshlrev_b32_e32 v32, 2, v8
	v_mul_u32_u24_e32 v8, 3, v6
	s_and_b32 s11, s11, 0xffff
	v_or_b32_e32 v17, 31, v6
	v_mad_u64_u32 v[5:6], null, v0, s11, v[9:10]
	v_lshlrev_b32_e32 v12, 2, v9
	v_lshlrev_b32_e32 v33, 2, v16
	v_mad_i32_i24 v34, 0xffffffe4, v9, v30
	v_lshlrev_b32_e32 v16, 3, v13
	v_or_b32_e32 v13, v7, v13
	v_or_b32_e32 v0, v7, v8
	v_cmp_eq_u32_e64 s0, 0, v7
	v_add_nc_u32_e32 v36, v34, v12
	v_cmp_gt_u32_e64 s6, 4, v9
	v_lshlrev_b32_e32 v38, 3, v13
	v_mov_b32_e32 v12, s12
	v_cmp_lt_u32_e64 s7, 31, v9
	v_cmp_eq_u32_e64 s8, 0, v9
	v_or_b32_e32 v31, 16, v30
	v_cmp_eq_u32_e64 s11, v17, v9
	v_add_nc_u32_e32 v35, -4, v33
	v_mad_u32_u24 v37, v7, 24, v16
	v_lshlrev_b32_e32 v39, 3, v0
	v_lshrrev_b32_e32 v40, 5, v5
	s_waitcnt vmcnt(1)
	v_dual_mov_b32 v13, s13 :: v_dual_add_nc_u32 v6, 1, v2
	v_add_nc_u32_e32 v5, 1, v1
	v_add_nc_u32_e32 v8, 1, v4
	;; [unrolled: 1-line block ×3, first 2 shown]
	s_waitcnt vmcnt(0)
	v_add_nc_u32_e32 v17, 1, v15
	v_add_nc_u32_e32 v16, 1, v14
	s_branch .LBB347_2
.LBB347_1:                              ;   in Loop: Header=BB347_2 Depth=1
	s_barrier
	buffer_gl0_inv
	ds_store_b64 v8, v[14:15]
	ds_store_b64 v41, v[24:25]
	;; [unrolled: 1-line block ×3, first 2 shown]
	s_waitcnt lgkmcnt(0)
	s_barrier
	buffer_gl0_inv
	ds_load_2addr_stride64_b64 v[1:4], v36 offset1:2
	ds_load_b64 v[14:15], v36 offset:2048
	s_waitcnt lgkmcnt(0)
	s_barrier
	buffer_gl0_inv
	ds_store_b64 v8, v[18:19]
	ds_store_b64 v41, v[16:17]
	;; [unrolled: 1-line block ×3, first 2 shown]
	s_waitcnt lgkmcnt(0)
	s_barrier
	buffer_gl0_inv
	ds_load_2addr_stride64_b64 v[5:8], v36 offset1:2
	ds_load_b64 v[16:17], v36 offset:2048
	s_add_i32 s23, s23, 1
	s_delay_alu instid0(SALU_CYCLE_1)
	s_cmp_lg_u32 s23, 10
	v_xor_b32_e32 v1, 0x80000000, v1
	v_xor_b32_e32 v2, 0x80000000, v2
	v_xor_b32_e32 v3, 0x80000000, v3
	v_xor_b32_e32 v4, 0x80000000, v4
	v_xor_b32_e32 v14, 0x80000000, v14
	v_xor_b32_e32 v15, 0x80000000, v15
	s_cbranch_scc0 .LBB347_18
.LBB347_2:                              ; =>This Loop Header: Depth=1
                                        ;     Child Loop BB347_4 Depth 2
	v_xor_b32_e32 v2, 0x80000000, v2
	v_xor_b32_e32 v1, 0x80000000, v1
	;; [unrolled: 1-line block ×6, first 2 shown]
	ds_store_2addr_b64 v37, v[1:2], v[3:4] offset1:1
	ds_store_b64 v37, v[14:15] offset:16
	; wave barrier
	ds_load_2addr_b64 v[0:3], v38 offset1:32
	ds_load_b64 v[26:27], v38 offset:512
	; wave barrier
	s_waitcnt lgkmcnt(5)
	ds_store_2addr_b64 v37, v[5:6], v[7:8] offset1:1
	s_waitcnt lgkmcnt(5)
	ds_store_b64 v37, v[16:17] offset:16
	; wave barrier
	ds_load_2addr_b64 v[4:7], v38 offset1:32
	ds_load_b64 v[28:29], v38 offset:512
	s_mov_b32 s15, 8
	s_mov_b32 s16, 32
	;; [unrolled: 1-line block ×3, first 2 shown]
	s_waitcnt lgkmcnt(0)
	s_barrier
	s_branch .LBB347_4
.LBB347_3:                              ;   in Loop: Header=BB347_4 Depth=2
	s_barrier
	buffer_gl0_inv
	ds_store_b64 v8, v[14:15]
	ds_store_b64 v41, v[24:25]
	;; [unrolled: 1-line block ×3, first 2 shown]
	s_waitcnt lgkmcnt(0)
	s_barrier
	buffer_gl0_inv
	ds_load_2addr_b64 v[0:3], v39 offset1:32
	ds_load_b64 v[26:27], v39 offset:512
	s_waitcnt lgkmcnt(0)
	s_barrier
	buffer_gl0_inv
	ds_store_b64 v8, v[18:19]
	ds_store_b64 v41, v[16:17]
	;; [unrolled: 1-line block ×3, first 2 shown]
	s_waitcnt lgkmcnt(0)
	s_barrier
	buffer_gl0_inv
	ds_load_2addr_b64 v[4:7], v39 offset1:32
	ds_load_b64 v[28:29], v39 offset:512
	s_add_i32 s16, s16, -8
	s_add_i32 s15, s15, 8
	s_add_i32 s17, s17, 8
	s_waitcnt lgkmcnt(0)
	s_barrier
	s_cbranch_execz .LBB347_1
.LBB347_4:                              ;   Parent Loop BB347_2 Depth=1
                                        ; =>  This Inner Loop Header: Depth=2
	s_min_i32 s13, s15, 32
	s_cmp_lt_u32 s17, 32
	v_dual_mov_b32 v15, v1 :: v_dual_mov_b32 v14, v0
	s_cselect_b32 vcc_lo, -1, 0
	s_cmp_gt_u32 s17, 24
	buffer_gl0_inv
	s_cselect_b32 s12, -1, 0
	s_sub_i32 s13, s13, 32
	v_lshrrev_b32_e32 v1, s17, v15
	s_add_i32 s14, s13, s16
	ds_store_2addr_b64 v30, v[10:11], v[12:13] offset0:2 offset1:3
	ds_store_2addr_b64 v31, v[10:11], v[12:13] offset0:2 offset1:3
	s_lshl_b32 s14, -1, s14
	s_waitcnt lgkmcnt(0)
	s_not_b32 s14, s14
	s_cmp_lg_u32 s13, s17
	s_barrier
	s_cselect_b32 s22, s14, -1
	s_max_i32 s24, s16, 0
	s_max_i32 s13, s17, 32
	v_and_b32_e32 v1, s22, v1
	s_sub_i32 s14, s13, s24
	s_sub_i32 s25, s13, 32
	;; [unrolled: 1-line block ×3, first 2 shown]
	v_lshrrev_b32_e32 v0, s25, v14
	s_min_i32 s13, s14, 32
	buffer_gl0_inv
	s_sub_i32 s13, s13, s25
	s_delay_alu instid0(SALU_CYCLE_1) | instskip(NEXT) | instid1(SALU_CYCLE_1)
	s_lshl_b32 s14, -1, s13
	; wave barrier
	s_not_b32 s14, s14
	s_cmp_lg_u32 s13, 32
	v_cndmask_b32_e32 v1, 0, v1, vcc_lo
	s_cselect_b32 s26, s14, -1
	s_delay_alu instid0(SALU_CYCLE_1) | instskip(SKIP_1) | instid1(VALU_DEP_2)
	v_dual_mov_b32 v25, v3 :: v_dual_and_b32 v0, s26, v0
	v_mov_b32_e32 v24, v2
	v_lshlrev_b32_e32 v0, s24, v0
	s_delay_alu instid0(VALU_DEP_1) | instskip(NEXT) | instid1(VALU_DEP_1)
	v_cndmask_b32_e64 v0, 0, v0, s12
	v_or_b32_e32 v1, v1, v0
	s_delay_alu instid0(VALU_DEP_1)
	v_and_b32_e32 v0, 1, v1
	v_lshlrev_b32_e32 v8, 30, v1
	v_lshlrev_b32_e32 v16, 29, v1
	;; [unrolled: 1-line block ×4, first 2 shown]
	v_add_co_u32 v0, s13, v0, -1
	s_delay_alu instid0(VALU_DEP_1)
	v_cndmask_b32_e64 v18, 0, 1, s13
	v_not_b32_e32 v22, v8
	v_cmp_gt_i32_e64 s14, 0, v8
	v_not_b32_e32 v8, v16
	v_lshlrev_b32_e32 v20, 26, v1
	v_cmp_ne_u32_e64 s13, 0, v18
	v_ashrrev_i32_e32 v22, 31, v22
	v_lshlrev_b32_e32 v21, 25, v1
	v_ashrrev_i32_e32 v8, 31, v8
	v_lshlrev_b32_e32 v18, 24, v1
	v_xor_b32_e32 v0, s13, v0
	v_cmp_gt_i32_e64 s13, 0, v16
	v_not_b32_e32 v16, v17
	v_xor_b32_e32 v22, s14, v22
	v_cmp_gt_i32_e64 s14, 0, v17
	v_and_b32_e32 v0, exec_lo, v0
	v_not_b32_e32 v17, v19
	v_ashrrev_i32_e32 v16, 31, v16
	v_xor_b32_e32 v8, s13, v8
	v_cmp_gt_i32_e64 s13, 0, v19
	v_and_b32_e32 v0, v0, v22
	v_mov_b32_e32 v22, v26
	v_ashrrev_i32_e32 v17, 31, v17
	v_xor_b32_e32 v16, s14, v16
	v_mov_b32_e32 v23, v27
	v_not_b32_e32 v19, v20
	v_and_b32_e32 v0, v0, v8
	v_cmp_gt_i32_e64 s14, 0, v20
	v_not_b32_e32 v8, v21
	v_xor_b32_e32 v17, s13, v17
	v_ashrrev_i32_e32 v19, 31, v19
	v_and_b32_e32 v0, v0, v16
	v_cmp_gt_i32_e64 s13, 0, v21
	v_not_b32_e32 v16, v18
	v_ashrrev_i32_e32 v8, 31, v8
	v_xor_b32_e32 v19, s14, v19
	v_and_b32_e32 v0, v0, v17
	v_cmp_gt_i32_e64 s14, 0, v18
	v_ashrrev_i32_e32 v16, 31, v16
	v_xor_b32_e32 v8, s13, v8
	v_lshl_add_u32 v1, v1, 2, v40
	v_dual_mov_b32 v19, v5 :: v_dual_and_b32 v0, v0, v19
	s_delay_alu instid0(VALU_DEP_4) | instskip(SKIP_1) | instid1(VALU_DEP_3)
	v_xor_b32_e32 v20, s14, v16
	v_dual_mov_b32 v17, v7 :: v_dual_mov_b32 v18, v4
	v_and_b32_e32 v0, v0, v8
	v_mov_b32_e32 v16, v6
	v_lshl_add_u32 v26, v1, 2, 16
	s_delay_alu instid0(VALU_DEP_3) | instskip(SKIP_1) | instid1(VALU_DEP_2)
	v_and_b32_e32 v0, v0, v20
	v_dual_mov_b32 v20, v28 :: v_dual_mov_b32 v21, v29
	v_mbcnt_lo_u32_b32 v8, v0, 0
	v_cmp_ne_u32_e64 s14, 0, v0
	s_delay_alu instid0(VALU_DEP_2) | instskip(NEXT) | instid1(VALU_DEP_1)
	v_cmp_eq_u32_e64 s13, 0, v8
	s_and_b32 s14, s13, s14
	s_delay_alu instid0(SALU_CYCLE_1)
	s_and_saveexec_b32 s13, s14
	s_cbranch_execz .LBB347_6
; %bb.5:                                ;   in Loop: Header=BB347_4 Depth=2
	v_bcnt_u32_b32 v0, v0, 0
	ds_store_b32 v26, v0
.LBB347_6:                              ;   in Loop: Header=BB347_4 Depth=2
	s_or_b32 exec_lo, exec_lo, s13
	v_lshrrev_b32_e32 v0, s25, v24
	v_lshrrev_b32_e32 v1, s17, v25
	; wave barrier
	s_delay_alu instid0(VALU_DEP_1) | instskip(NEXT) | instid1(VALU_DEP_1)
	v_and_b32_e32 v1, s22, v1
	v_dual_cndmask_b32 v1, 0, v1 :: v_dual_and_b32 v0, s26, v0
	s_delay_alu instid0(VALU_DEP_1) | instskip(NEXT) | instid1(VALU_DEP_1)
	v_lshlrev_b32_e32 v0, s24, v0
	v_cndmask_b32_e64 v0, 0, v0, s12
	s_delay_alu instid0(VALU_DEP_1) | instskip(NEXT) | instid1(VALU_DEP_1)
	v_or_b32_e32 v0, v1, v0
	v_and_b32_e32 v1, 1, v0
	v_lshlrev_b32_e32 v2, 30, v0
	v_lshlrev_b32_e32 v3, 29, v0
	;; [unrolled: 1-line block ×4, first 2 shown]
	v_add_co_u32 v1, s13, v1, -1
	s_delay_alu instid0(VALU_DEP_1)
	v_cndmask_b32_e64 v5, 0, 1, s13
	v_not_b32_e32 v28, v2
	v_cmp_gt_i32_e64 s14, 0, v2
	v_not_b32_e32 v2, v3
	v_lshlrev_b32_e32 v7, 26, v0
	v_cmp_ne_u32_e64 s13, 0, v5
	v_ashrrev_i32_e32 v28, 31, v28
	v_lshlrev_b32_e32 v27, 25, v0
	v_ashrrev_i32_e32 v2, 31, v2
	v_lshlrev_b32_e32 v5, 24, v0
	v_xor_b32_e32 v1, s13, v1
	v_cmp_gt_i32_e64 s13, 0, v3
	v_not_b32_e32 v3, v4
	v_xor_b32_e32 v28, s14, v28
	v_cmp_gt_i32_e64 s14, 0, v4
	v_and_b32_e32 v1, exec_lo, v1
	v_not_b32_e32 v4, v6
	v_ashrrev_i32_e32 v3, 31, v3
	v_xor_b32_e32 v2, s13, v2
	v_cmp_gt_i32_e64 s13, 0, v6
	v_and_b32_e32 v1, v1, v28
	v_not_b32_e32 v6, v7
	v_ashrrev_i32_e32 v4, 31, v4
	v_xor_b32_e32 v3, s14, v3
	v_cmp_gt_i32_e64 s14, 0, v7
	v_and_b32_e32 v1, v1, v2
	;; [unrolled: 5-line block ×3, first 2 shown]
	v_not_b32_e32 v3, v5
	v_ashrrev_i32_e32 v2, 31, v2
	v_xor_b32_e32 v6, s14, v6
	v_lshlrev_b32_e32 v0, 2, v0
	v_and_b32_e32 v1, v1, v4
	v_cmp_gt_i32_e64 s14, 0, v5
	v_ashrrev_i32_e32 v3, 31, v3
	v_xor_b32_e32 v2, s13, v2
	v_add_lshl_u32 v4, v0, v40, 2
	v_and_b32_e32 v1, v1, v6
	s_delay_alu instid0(VALU_DEP_4) | instskip(SKIP_3) | instid1(VALU_DEP_2)
	v_xor_b32_e32 v0, s14, v3
	ds_load_b32 v27, v4 offset:16
	v_and_b32_e32 v1, v1, v2
	v_add_nc_u32_e32 v29, 16, v4
	; wave barrier
	v_and_b32_e32 v0, v1, v0
	s_delay_alu instid0(VALU_DEP_1) | instskip(SKIP_1) | instid1(VALU_DEP_2)
	v_mbcnt_lo_u32_b32 v28, v0, 0
	v_cmp_ne_u32_e64 s14, 0, v0
	v_cmp_eq_u32_e64 s13, 0, v28
	s_delay_alu instid0(VALU_DEP_1) | instskip(NEXT) | instid1(SALU_CYCLE_1)
	s_and_b32 s14, s13, s14
	s_and_saveexec_b32 s13, s14
	s_cbranch_execz .LBB347_8
; %bb.7:                                ;   in Loop: Header=BB347_4 Depth=2
	s_waitcnt lgkmcnt(0)
	v_bcnt_u32_b32 v0, v0, v27
	ds_store_b32 v29, v0
.LBB347_8:                              ;   in Loop: Header=BB347_4 Depth=2
	s_or_b32 exec_lo, exec_lo, s13
	v_lshrrev_b32_e32 v0, s25, v22
	v_lshrrev_b32_e32 v1, s17, v23
	; wave barrier
	s_delay_alu instid0(VALU_DEP_1) | instskip(NEXT) | instid1(VALU_DEP_1)
	v_and_b32_e32 v1, s22, v1
	v_dual_cndmask_b32 v1, 0, v1 :: v_dual_and_b32 v0, s26, v0
	s_delay_alu instid0(VALU_DEP_1) | instskip(NEXT) | instid1(VALU_DEP_1)
	v_lshlrev_b32_e32 v0, s24, v0
	v_cndmask_b32_e64 v0, 0, v0, s12
	s_delay_alu instid0(VALU_DEP_1) | instskip(NEXT) | instid1(VALU_DEP_1)
	v_or_b32_e32 v0, v1, v0
	v_and_b32_e32 v1, 1, v0
	v_lshlrev_b32_e32 v2, 30, v0
	v_lshlrev_b32_e32 v3, 29, v0
	;; [unrolled: 1-line block ×4, first 2 shown]
	v_add_co_u32 v1, s12, v1, -1
	s_delay_alu instid0(VALU_DEP_1)
	v_cndmask_b32_e64 v5, 0, 1, s12
	v_not_b32_e32 v42, v2
	v_cmp_gt_i32_e64 s12, 0, v2
	v_not_b32_e32 v2, v3
	v_lshlrev_b32_e32 v7, 26, v0
	v_cmp_ne_u32_e32 vcc_lo, 0, v5
	v_ashrrev_i32_e32 v42, 31, v42
	v_lshlrev_b32_e32 v41, 25, v0
	v_ashrrev_i32_e32 v2, 31, v2
	v_lshlrev_b32_e32 v5, 24, v0
	v_xor_b32_e32 v1, vcc_lo, v1
	v_cmp_gt_i32_e32 vcc_lo, 0, v3
	v_not_b32_e32 v3, v4
	v_xor_b32_e32 v42, s12, v42
	v_cmp_gt_i32_e64 s12, 0, v4
	v_and_b32_e32 v1, exec_lo, v1
	v_not_b32_e32 v4, v6
	v_ashrrev_i32_e32 v3, 31, v3
	v_xor_b32_e32 v2, vcc_lo, v2
	v_cmp_gt_i32_e32 vcc_lo, 0, v6
	v_and_b32_e32 v1, v1, v42
	v_not_b32_e32 v6, v7
	v_ashrrev_i32_e32 v4, 31, v4
	v_xor_b32_e32 v3, s12, v3
	v_cmp_gt_i32_e64 s12, 0, v7
	v_and_b32_e32 v1, v1, v2
	v_not_b32_e32 v2, v41
	v_ashrrev_i32_e32 v6, 31, v6
	v_xor_b32_e32 v4, vcc_lo, v4
	v_cmp_gt_i32_e32 vcc_lo, 0, v41
	v_and_b32_e32 v1, v1, v3
	v_not_b32_e32 v3, v5
	v_ashrrev_i32_e32 v2, 31, v2
	v_xor_b32_e32 v6, s12, v6
	v_lshlrev_b32_e32 v0, 2, v0
	v_and_b32_e32 v1, v1, v4
	v_cmp_gt_i32_e64 s12, 0, v5
	v_ashrrev_i32_e32 v3, 31, v3
	v_xor_b32_e32 v2, vcc_lo, v2
	v_add_lshl_u32 v4, v0, v40, 2
	v_and_b32_e32 v1, v1, v6
	s_delay_alu instid0(VALU_DEP_4) | instskip(SKIP_3) | instid1(VALU_DEP_2)
	v_xor_b32_e32 v0, s12, v3
	ds_load_b32 v41, v4 offset:16
	v_and_b32_e32 v1, v1, v2
	v_add_nc_u32_e32 v43, 16, v4
	; wave barrier
	v_and_b32_e32 v0, v1, v0
	s_delay_alu instid0(VALU_DEP_1) | instskip(SKIP_1) | instid1(VALU_DEP_2)
	v_mbcnt_lo_u32_b32 v42, v0, 0
	v_cmp_ne_u32_e64 s12, 0, v0
	v_cmp_eq_u32_e32 vcc_lo, 0, v42
	s_delay_alu instid0(VALU_DEP_2) | instskip(NEXT) | instid1(SALU_CYCLE_1)
	s_and_b32 s13, vcc_lo, s12
	s_and_saveexec_b32 s12, s13
	s_cbranch_execz .LBB347_10
; %bb.9:                                ;   in Loop: Header=BB347_4 Depth=2
	s_waitcnt lgkmcnt(0)
	v_bcnt_u32_b32 v0, v0, v41
	ds_store_b32 v43, v0
.LBB347_10:                             ;   in Loop: Header=BB347_4 Depth=2
	s_or_b32 exec_lo, exec_lo, s12
	; wave barrier
	s_waitcnt lgkmcnt(0)
	s_barrier
	buffer_gl0_inv
	ds_load_2addr_b64 v[4:7], v30 offset0:2 offset1:3
	ds_load_2addr_b64 v[0:3], v31 offset0:2 offset1:3
	s_waitcnt lgkmcnt(1)
	v_add_nc_u32_e32 v44, v5, v4
	s_delay_alu instid0(VALU_DEP_1) | instskip(SKIP_1) | instid1(VALU_DEP_1)
	v_add3_u32 v44, v44, v6, v7
	s_waitcnt lgkmcnt(0)
	v_add3_u32 v44, v44, v0, v1
	s_delay_alu instid0(VALU_DEP_1) | instskip(NEXT) | instid1(VALU_DEP_1)
	v_add3_u32 v3, v44, v2, v3
	v_mov_b32_dpp v44, v3 row_shr:1 row_mask:0xf bank_mask:0xf
	s_delay_alu instid0(VALU_DEP_1) | instskip(NEXT) | instid1(VALU_DEP_1)
	v_cndmask_b32_e64 v44, v44, 0, s1
	v_add_nc_u32_e32 v3, v44, v3
	s_delay_alu instid0(VALU_DEP_1) | instskip(NEXT) | instid1(VALU_DEP_1)
	v_mov_b32_dpp v44, v3 row_shr:2 row_mask:0xf bank_mask:0xf
	v_cndmask_b32_e64 v44, 0, v44, s2
	s_delay_alu instid0(VALU_DEP_1) | instskip(NEXT) | instid1(VALU_DEP_1)
	v_add_nc_u32_e32 v3, v3, v44
	v_mov_b32_dpp v44, v3 row_shr:4 row_mask:0xf bank_mask:0xf
	s_delay_alu instid0(VALU_DEP_1) | instskip(NEXT) | instid1(VALU_DEP_1)
	v_cndmask_b32_e64 v44, 0, v44, s3
	v_add_nc_u32_e32 v3, v3, v44
	s_delay_alu instid0(VALU_DEP_1) | instskip(NEXT) | instid1(VALU_DEP_1)
	v_mov_b32_dpp v44, v3 row_shr:8 row_mask:0xf bank_mask:0xf
	v_cndmask_b32_e64 v44, 0, v44, s4
	s_delay_alu instid0(VALU_DEP_1) | instskip(SKIP_3) | instid1(VALU_DEP_1)
	v_add_nc_u32_e32 v3, v3, v44
	ds_swizzle_b32 v44, v3 offset:swizzle(BROADCAST,32,15)
	s_waitcnt lgkmcnt(0)
	v_cndmask_b32_e64 v44, v44, 0, s5
	v_add_nc_u32_e32 v3, v3, v44
	s_and_saveexec_b32 s12, s11
	s_cbranch_execz .LBB347_12
; %bb.11:                               ;   in Loop: Header=BB347_4 Depth=2
	ds_store_b32 v33, v3
.LBB347_12:                             ;   in Loop: Header=BB347_4 Depth=2
	s_or_b32 exec_lo, exec_lo, s12
	s_waitcnt lgkmcnt(0)
	s_barrier
	buffer_gl0_inv
	s_and_saveexec_b32 s12, s6
	s_cbranch_execz .LBB347_14
; %bb.13:                               ;   in Loop: Header=BB347_4 Depth=2
	ds_load_b32 v44, v34
	s_waitcnt lgkmcnt(0)
	v_mov_b32_dpp v45, v44 row_shr:1 row_mask:0xf bank_mask:0xf
	s_delay_alu instid0(VALU_DEP_1) | instskip(NEXT) | instid1(VALU_DEP_1)
	v_cndmask_b32_e64 v45, v45, 0, s9
	v_add_nc_u32_e32 v44, v45, v44
	s_delay_alu instid0(VALU_DEP_1) | instskip(NEXT) | instid1(VALU_DEP_1)
	v_mov_b32_dpp v45, v44 row_shr:2 row_mask:0xf bank_mask:0xf
	v_cndmask_b32_e64 v45, 0, v45, s10
	s_delay_alu instid0(VALU_DEP_1)
	v_add_nc_u32_e32 v44, v44, v45
	ds_store_b32 v34, v44
.LBB347_14:                             ;   in Loop: Header=BB347_4 Depth=2
	s_or_b32 exec_lo, exec_lo, s12
	v_mov_b32_e32 v44, 0
	s_waitcnt lgkmcnt(0)
	s_barrier
	buffer_gl0_inv
	s_and_saveexec_b32 s12, s7
	s_cbranch_execz .LBB347_16
; %bb.15:                               ;   in Loop: Header=BB347_4 Depth=2
	ds_load_b32 v44, v35
.LBB347_16:                             ;   in Loop: Header=BB347_4 Depth=2
	s_or_b32 exec_lo, exec_lo, s12
	s_waitcnt lgkmcnt(0)
	v_add_nc_u32_e32 v3, v44, v3
	s_cmp_gt_u32 s17, 55
	ds_bpermute_b32 v3, v32, v3
	s_waitcnt lgkmcnt(0)
	v_cndmask_b32_e64 v3, v3, v44, s0
	s_delay_alu instid0(VALU_DEP_1) | instskip(NEXT) | instid1(VALU_DEP_1)
	v_cndmask_b32_e64 v3, v3, 0, s8
	v_add_nc_u32_e32 v4, v3, v4
	s_delay_alu instid0(VALU_DEP_1) | instskip(NEXT) | instid1(VALU_DEP_1)
	v_add_nc_u32_e32 v5, v4, v5
	v_add_nc_u32_e32 v6, v5, v6
	s_delay_alu instid0(VALU_DEP_1) | instskip(SKIP_1) | instid1(VALU_DEP_2)
	v_add_nc_u32_e32 v44, v6, v7
	v_lshlrev_b32_e32 v7, 3, v41
	v_add_nc_u32_e32 v45, v44, v0
	s_delay_alu instid0(VALU_DEP_1) | instskip(NEXT) | instid1(VALU_DEP_1)
	v_add_nc_u32_e32 v0, v45, v1
	v_add_nc_u32_e32 v1, v0, v2
	ds_store_2addr_b64 v30, v[3:4], v[5:6] offset0:2 offset1:3
	ds_store_2addr_b64 v31, v[44:45], v[0:1] offset0:2 offset1:3
	s_waitcnt lgkmcnt(0)
	s_barrier
	buffer_gl0_inv
	ds_load_b32 v0, v29
	ds_load_b32 v1, v43
	;; [unrolled: 1-line block ×3, first 2 shown]
	v_lshlrev_b32_e32 v3, 3, v8
	v_lshlrev_b32_e32 v4, 3, v28
	;; [unrolled: 1-line block ×4, first 2 shown]
	s_waitcnt lgkmcnt(0)
	v_lshlrev_b32_e32 v0, 3, v0
	v_lshlrev_b32_e32 v1, 3, v1
	v_lshl_add_u32 v8, v2, 3, v3
	s_delay_alu instid0(VALU_DEP_3) | instskip(NEXT) | instid1(VALU_DEP_3)
	v_add3_u32 v41, v4, v5, v0
	v_add3_u32 v42, v6, v7, v1
	s_cbranch_scc0 .LBB347_3
; %bb.17:                               ;   in Loop: Header=BB347_2 Depth=1
                                        ; implicit-def: $sgpr17
                                        ; implicit-def: $vgpr4_vgpr5
                                        ; implicit-def: $vgpr28_vgpr29
                                        ; implicit-def: $vgpr0_vgpr1
                                        ; implicit-def: $vgpr26_vgpr27
                                        ; implicit-def: $sgpr16
                                        ; implicit-def: $sgpr15
	s_branch .LBB347_1
.LBB347_18:
	s_waitcnt lgkmcnt(1)
	v_add_nc_u32_e32 v0, v1, v5
	v_add_nc_u32_e32 v1, v2, v6
	v_lshlrev_b32_e32 v6, 3, v9
	v_add_nc_u32_e32 v2, v3, v7
	v_add_nc_u32_e32 v3, v4, v8
	s_waitcnt lgkmcnt(0)
	v_add_nc_u32_e32 v4, v14, v16
	v_add_nc_u32_e32 v5, v15, v17
	s_add_u32 s0, s18, s20
	s_addc_u32 s1, s19, s21
	s_clause 0x2
	global_store_b64 v6, v[0:1], s[0:1]
	global_store_b64 v6, v[2:3], s[0:1] offset:1024
	global_store_b64 v6, v[4:5], s[0:1] offset:2048
	s_nop 0
	s_sendmsg sendmsg(MSG_DEALLOC_VGPRS)
	s_endpgm
	.section	.rodata,"a",@progbits
	.p2align	6, 0x0
	.amdhsa_kernel _Z17sort_pairs_kernelI22helper_blocked_stripedN15benchmark_utils11custom_typeIiiEELj128ELj3ELj10EEvPKT0_PS4_
		.amdhsa_group_segment_fixed_size 4112
		.amdhsa_private_segment_fixed_size 0
		.amdhsa_kernarg_size 272
		.amdhsa_user_sgpr_count 15
		.amdhsa_user_sgpr_dispatch_ptr 0
		.amdhsa_user_sgpr_queue_ptr 0
		.amdhsa_user_sgpr_kernarg_segment_ptr 1
		.amdhsa_user_sgpr_dispatch_id 0
		.amdhsa_user_sgpr_private_segment_size 0
		.amdhsa_wavefront_size32 1
		.amdhsa_uses_dynamic_stack 0
		.amdhsa_enable_private_segment 0
		.amdhsa_system_sgpr_workgroup_id_x 1
		.amdhsa_system_sgpr_workgroup_id_y 0
		.amdhsa_system_sgpr_workgroup_id_z 0
		.amdhsa_system_sgpr_workgroup_info 0
		.amdhsa_system_vgpr_workitem_id 2
		.amdhsa_next_free_vgpr 46
		.amdhsa_next_free_sgpr 27
		.amdhsa_reserve_vcc 1
		.amdhsa_float_round_mode_32 0
		.amdhsa_float_round_mode_16_64 0
		.amdhsa_float_denorm_mode_32 3
		.amdhsa_float_denorm_mode_16_64 3
		.amdhsa_dx10_clamp 1
		.amdhsa_ieee_mode 1
		.amdhsa_fp16_overflow 0
		.amdhsa_workgroup_processor_mode 1
		.amdhsa_memory_ordered 1
		.amdhsa_forward_progress 0
		.amdhsa_shared_vgpr_count 0
		.amdhsa_exception_fp_ieee_invalid_op 0
		.amdhsa_exception_fp_denorm_src 0
		.amdhsa_exception_fp_ieee_div_zero 0
		.amdhsa_exception_fp_ieee_overflow 0
		.amdhsa_exception_fp_ieee_underflow 0
		.amdhsa_exception_fp_ieee_inexact 0
		.amdhsa_exception_int_div_zero 0
	.end_amdhsa_kernel
	.section	.text._Z17sort_pairs_kernelI22helper_blocked_stripedN15benchmark_utils11custom_typeIiiEELj128ELj3ELj10EEvPKT0_PS4_,"axG",@progbits,_Z17sort_pairs_kernelI22helper_blocked_stripedN15benchmark_utils11custom_typeIiiEELj128ELj3ELj10EEvPKT0_PS4_,comdat
.Lfunc_end347:
	.size	_Z17sort_pairs_kernelI22helper_blocked_stripedN15benchmark_utils11custom_typeIiiEELj128ELj3ELj10EEvPKT0_PS4_, .Lfunc_end347-_Z17sort_pairs_kernelI22helper_blocked_stripedN15benchmark_utils11custom_typeIiiEELj128ELj3ELj10EEvPKT0_PS4_
                                        ; -- End function
	.section	.AMDGPU.csdata,"",@progbits
; Kernel info:
; codeLenInByte = 2892
; NumSgprs: 29
; NumVgprs: 46
; ScratchSize: 0
; MemoryBound: 0
; FloatMode: 240
; IeeeMode: 1
; LDSByteSize: 4112 bytes/workgroup (compile time only)
; SGPRBlocks: 3
; VGPRBlocks: 5
; NumSGPRsForWavesPerEU: 29
; NumVGPRsForWavesPerEU: 46
; Occupancy: 16
; WaveLimiterHint : 1
; COMPUTE_PGM_RSRC2:SCRATCH_EN: 0
; COMPUTE_PGM_RSRC2:USER_SGPR: 15
; COMPUTE_PGM_RSRC2:TRAP_HANDLER: 0
; COMPUTE_PGM_RSRC2:TGID_X_EN: 1
; COMPUTE_PGM_RSRC2:TGID_Y_EN: 0
; COMPUTE_PGM_RSRC2:TGID_Z_EN: 0
; COMPUTE_PGM_RSRC2:TIDIG_COMP_CNT: 2
	.section	.text._Z16sort_keys_kernelI22helper_blocked_stripedN15benchmark_utils11custom_typeIiiEELj128ELj4ELj10EEvPKT0_PS4_,"axG",@progbits,_Z16sort_keys_kernelI22helper_blocked_stripedN15benchmark_utils11custom_typeIiiEELj128ELj4ELj10EEvPKT0_PS4_,comdat
	.protected	_Z16sort_keys_kernelI22helper_blocked_stripedN15benchmark_utils11custom_typeIiiEELj128ELj4ELj10EEvPKT0_PS4_ ; -- Begin function _Z16sort_keys_kernelI22helper_blocked_stripedN15benchmark_utils11custom_typeIiiEELj128ELj4ELj10EEvPKT0_PS4_
	.globl	_Z16sort_keys_kernelI22helper_blocked_stripedN15benchmark_utils11custom_typeIiiEELj128ELj4ELj10EEvPKT0_PS4_
	.p2align	8
	.type	_Z16sort_keys_kernelI22helper_blocked_stripedN15benchmark_utils11custom_typeIiiEELj128ELj4ELj10EEvPKT0_PS4_,@function
_Z16sort_keys_kernelI22helper_blocked_stripedN15benchmark_utils11custom_typeIiiEELj128ELj4ELj10EEvPKT0_PS4_: ; @_Z16sort_keys_kernelI22helper_blocked_stripedN15benchmark_utils11custom_typeIiiEELj128ELj4ELj10EEvPKT0_PS4_
; %bb.0:
	s_clause 0x1
	s_load_b128 s[16:19], s[0:1], 0x0
	s_load_b32 s2, s[0:1], 0x1c
	s_mov_b32 s23, 0
	s_lshl_b32 s22, s15, 9
	v_bfe_u32 v10, v0, 10, 10
	s_lshl_b64 s[20:21], s[22:23], 3
	s_mov_b32 s22, s23
	v_and_b32_e32 v9, 0x3ff, v0
	v_bfe_u32 v0, v0, 20, 10
	v_mbcnt_lo_u32_b32 v12, -1, 0
	s_delay_alu instid0(VALU_DEP_3) | instskip(NEXT) | instid1(VALU_DEP_2)
	v_lshlrev_b32_e32 v22, 5, v9
	v_and_b32_e32 v13, 3, v12
	v_cmp_eq_u32_e64 s12, 0, v12
	s_delay_alu instid0(VALU_DEP_2)
	v_cmp_eq_u32_e64 s3, 3, v13
	s_waitcnt lgkmcnt(0)
	s_add_u32 s0, s16, s20
	s_addc_u32 s1, s17, s21
	s_mov_b32 s16, s23
	s_clause 0x2
	global_load_b128 v[1:4], v22, s[0:1] offset:16
	global_load_b128 v[5:8], v22, s[0:1]
	global_load_b64 v[5:6], v22, s[0:1]
	s_lshr_b32 s0, s2, 16
	s_and_b32 s2, s2, 0xffff
	v_mad_u32_u24 v0, v0, s0, v10
	s_mov_b32 s17, s23
	v_and_b32_e32 v24, 28, v12
	v_cmp_eq_u32_e64 s0, 0, v13
	v_cmp_eq_u32_e64 s1, 1, v13
	v_mad_u64_u32 v[10:11], null, v0, s2, v[9:10]
	v_add_nc_u32_e32 v11, -1, v12
	v_and_b32_e32 v0, 15, v12
	v_cmp_eq_u32_e64 s2, 2, v13
	v_cmp_lt_u32_e64 s14, 1, v13
	s_delay_alu instid0(VALU_DEP_4)
	v_cmp_gt_i32_e32 vcc_lo, 0, v11
	v_lshrrev_b32_e32 v29, 5, v10
	v_and_b32_e32 v10, 16, v12
	v_cmp_eq_u32_e64 s4, 0, v0
	v_cmp_lt_u32_e64 s5, 1, v0
	v_cmp_lt_u32_e64 s6, 3, v0
	;; [unrolled: 1-line block ×3, first 2 shown]
	v_cmp_eq_u32_e64 s8, 0, v10
	v_lshrrev_b32_e32 v10, 3, v9
	s_delay_alu instid0(VALU_DEP_1) | instskip(SKIP_2) | instid1(VALU_DEP_3)
	v_dual_cndmask_b32 v0, v11, v12 :: v_dual_and_b32 v31, 12, v10
	v_dual_mov_b32 v10, s22 :: v_dual_lshlrev_b32 v23, 2, v9
	v_or_b32_e32 v14, 31, v9
	v_lshlrev_b32_e32 v30, 2, v0
	v_cmp_gt_u32_e64 s10, 4, v9
	v_cmp_lt_u32_e64 s11, 31, v9
	v_and_or_b32 v0, 0x180, v23, v12
	v_mov_b32_e32 v12, s16
	v_cmp_eq_u32_e64 s9, v14, v9
	v_cmp_eq_u32_e64 s13, 0, v9
	v_add_nc_u32_e32 v33, -4, v31
	v_dual_mov_b32 v11, s23 :: v_dual_lshlrev_b32 v34, 3, v0
	v_or_b32_e32 v28, 16, v22
	v_mad_i32_i24 v32, 0xffffffe4, v9, v22
	v_mov_b32_e32 v13, s17
	v_or_b32_e32 v25, 32, v24
	v_or_b32_e32 v26, 64, v24
	;; [unrolled: 1-line block ×3, first 2 shown]
	s_branch .LBB348_2
.LBB348_1:                              ;   in Loop: Header=BB348_2 Depth=1
	v_add_nc_u32_e32 v4, v32, v23
	s_barrier
	buffer_gl0_inv
	ds_store_b64 v35, v[14:15]
	ds_store_b64 v36, v[20:21]
	;; [unrolled: 1-line block ×4, first 2 shown]
	s_waitcnt lgkmcnt(0)
	s_barrier
	buffer_gl0_inv
	ds_load_2addr_stride64_b64 v[0:3], v4 offset1:2
	ds_load_2addr_stride64_b64 v[14:17], v4 offset0:4 offset1:6
	s_add_i32 s23, s23, 1
	s_delay_alu instid0(SALU_CYCLE_1)
	s_cmp_eq_u32 s23, 10
	s_waitcnt lgkmcnt(1)
	v_xor_b32_e32 v5, 0x80000000, v0
	v_xor_b32_e32 v6, 0x80000000, v1
	;; [unrolled: 1-line block ×4, first 2 shown]
	s_waitcnt lgkmcnt(0)
	v_xor_b32_e32 v1, 0x80000000, v14
	v_xor_b32_e32 v2, 0x80000000, v15
	;; [unrolled: 1-line block ×4, first 2 shown]
	s_cbranch_scc1 .LBB348_20
.LBB348_2:                              ; =>This Loop Header: Depth=1
                                        ;     Child Loop BB348_4 Depth 2
	s_waitcnt vmcnt(0)
	v_xor_b32_e32 v0, 0x80000000, v6
	v_xor_b32_e32 v5, 0x80000000, v5
	;; [unrolled: 1-line block ×5, first 2 shown]
	ds_bpermute_b32 v8, v24, v0
	ds_bpermute_b32 v14, v24, v5
	;; [unrolled: 1-line block ×4, first 2 shown]
	v_xor_b32_e32 v2, 0x80000000, v2
	v_xor_b32_e32 v3, 0x80000000, v3
	ds_bpermute_b32 v17, v25, v0
	ds_bpermute_b32 v20, v24, v15
	v_xor_b32_e32 v4, 0x80000000, v4
	ds_bpermute_b32 v18, v25, v5
	ds_bpermute_b32 v19, v24, v2
	ds_bpermute_b32 v21, v24, v3
	ds_bpermute_b32 v35, v25, v7
	ds_bpermute_b32 v36, v25, v6
	ds_bpermute_b32 v37, v24, v4
	ds_bpermute_b32 v39, v25, v2
	ds_bpermute_b32 v40, v26, v5
	ds_bpermute_b32 v41, v26, v0
	ds_bpermute_b32 v5, v27, v5
	ds_bpermute_b32 v42, v26, v6
	s_waitcnt lgkmcnt(16)
	v_cndmask_b32_e64 v8, 0, v8, s0
	s_waitcnt lgkmcnt(15)
	v_cndmask_b32_e64 v14, 0, v14, s0
	ds_bpermute_b32 v43, v26, v7
	ds_bpermute_b32 v7, v27, v7
	;; [unrolled: 1-line block ×3, first 2 shown]
	s_waitcnt lgkmcnt(16)
	v_cndmask_b32_e64 v1, v8, v1, s1
	v_cndmask_b32_e64 v8, v14, v16, s1
	ds_bpermute_b32 v14, v27, v0
	s_waitcnt lgkmcnt(16)
	v_cndmask_b32_e64 v0, 0, v17, s0
	ds_bpermute_b32 v38, v25, v15
	s_waitcnt lgkmcnt(15)
	v_cndmask_b32_e64 v16, 0, v18, s0
	v_cndmask_b32_e64 v8, v8, v20, s2
	s_waitcnt lgkmcnt(14)
	v_cndmask_b32_e64 v1, v1, v19, s2
	s_waitcnt lgkmcnt(12)
	v_cndmask_b32_e64 v17, v0, v35, s1
	ds_bpermute_b32 v18, v26, v2
	ds_bpermute_b32 v19, v26, v15
	v_cndmask_b32_e64 v0, v8, v21, s3
	ds_bpermute_b32 v8, v25, v4
	ds_bpermute_b32 v2, v27, v2
	;; [unrolled: 1-line block ×3, first 2 shown]
	s_waitcnt lgkmcnt(16)
	v_cndmask_b32_e64 v16, v16, v36, s1
	s_waitcnt lgkmcnt(15)
	v_cndmask_b32_e64 v1, v1, v37, s3
	ds_bpermute_b32 v20, v25, v3
	ds_bpermute_b32 v21, v26, v4
	;; [unrolled: 1-line block ×5, first 2 shown]
	s_waitcnt lgkmcnt(19)
	v_cndmask_b32_e64 v3, v17, v39, s2
	s_waitcnt lgkmcnt(17)
	v_cndmask_b32_e64 v4, 0, v41, s0
	v_cndmask_b32_e64 v17, 0, v40, s0
	s_waitcnt lgkmcnt(11)
	v_cndmask_b32_e64 v14, 0, v14, s0
	;; [unrolled: 3-line block ×3, first 2 shown]
	v_cndmask_b32_e64 v4, v4, v43, s1
	v_cndmask_b32_e64 v17, v17, v42, s1
	;; [unrolled: 1-line block ×4, first 2 shown]
	s_waitcnt lgkmcnt(7)
	v_cndmask_b32_e64 v3, v3, v8, s3
	v_cndmask_b32_e64 v4, v4, v18, s2
	v_cndmask_b32_e64 v6, v17, v19, s2
	s_waitcnt lgkmcnt(6)
	v_cndmask_b32_e64 v7, v7, v2, s2
	s_waitcnt lgkmcnt(5)
	v_cndmask_b32_e64 v8, v5, v15, s2
	;; [unrolled: 2-line block ×7, first 2 shown]
	s_mov_b32 s22, 8
	s_mov_b32 s24, 32
	;; [unrolled: 1-line block ×3, first 2 shown]
	s_barrier
	s_branch .LBB348_4
.LBB348_3:                              ;   in Loop: Header=BB348_4 Depth=2
	s_barrier
	buffer_gl0_inv
	ds_store_b64 v35, v[14:15]
	ds_store_b64 v36, v[20:21]
	;; [unrolled: 1-line block ×4, first 2 shown]
	s_waitcnt lgkmcnt(0)
	s_barrier
	buffer_gl0_inv
	ds_load_2addr_b64 v[0:3], v34 offset1:32
	ds_load_2addr_b64 v[4:7], v34 offset0:64 offset1:96
	s_add_i32 s24, s24, -8
	s_add_i32 s22, s22, 8
	s_add_i32 s25, s25, 8
	s_waitcnt lgkmcnt(0)
	s_barrier
	s_cbranch_execz .LBB348_1
.LBB348_4:                              ;   Parent Loop BB348_2 Depth=1
                                        ; =>  This Inner Loop Header: Depth=2
	s_min_i32 s16, s22, 32
	s_cmp_lt_u32 s25, 32
	v_dual_mov_b32 v15, v1 :: v_dual_mov_b32 v14, v0
	s_cselect_b32 vcc_lo, -1, 0
	s_cmp_gt_u32 s25, 24
	buffer_gl0_inv
	s_cselect_b32 s15, -1, 0
	s_sub_i32 s16, s16, 32
	v_lshrrev_b32_e32 v1, s25, v15
	s_add_i32 s17, s16, s24
	ds_store_2addr_b64 v22, v[10:11], v[12:13] offset0:2 offset1:3
	ds_store_2addr_b64 v28, v[10:11], v[12:13] offset0:2 offset1:3
	s_lshl_b32 s17, -1, s17
	s_waitcnt lgkmcnt(0)
	s_not_b32 s17, s17
	s_cmp_lg_u32 s16, s25
	s_barrier
	s_cselect_b32 s26, s17, -1
	s_max_i32 s27, s24, 0
	s_max_i32 s16, s25, 32
	v_and_b32_e32 v1, s26, v1
	s_sub_i32 s17, s16, s27
	s_sub_i32 s28, s16, 32
	;; [unrolled: 1-line block ×3, first 2 shown]
	v_lshrrev_b32_e32 v0, s28, v14
	s_min_i32 s16, s17, 32
	buffer_gl0_inv
	s_sub_i32 s16, s16, s28
	s_delay_alu instid0(SALU_CYCLE_1) | instskip(NEXT) | instid1(SALU_CYCLE_1)
	s_lshl_b32 s17, -1, s16
	; wave barrier
	s_not_b32 s17, s17
	s_cmp_lg_u32 s16, 32
	v_cndmask_b32_e32 v1, 0, v1, vcc_lo
	s_cselect_b32 s29, s17, -1
	s_delay_alu instid0(SALU_CYCLE_1) | instskip(NEXT) | instid1(VALU_DEP_1)
	v_and_b32_e32 v0, s29, v0
	v_lshlrev_b32_e32 v0, s27, v0
	s_delay_alu instid0(VALU_DEP_1) | instskip(NEXT) | instid1(VALU_DEP_1)
	v_cndmask_b32_e64 v0, 0, v0, s15
	v_or_b32_e32 v1, v1, v0
	s_delay_alu instid0(VALU_DEP_1)
	v_and_b32_e32 v0, 1, v1
	v_lshlrev_b32_e32 v8, 30, v1
	v_lshlrev_b32_e32 v16, 29, v1
	v_lshlrev_b32_e32 v17, 28, v1
	v_lshlrev_b32_e32 v19, 27, v1
	v_add_co_u32 v0, s16, v0, -1
	s_delay_alu instid0(VALU_DEP_1)
	v_cndmask_b32_e64 v18, 0, 1, s16
	v_not_b32_e32 v35, v8
	v_cmp_gt_i32_e64 s17, 0, v8
	v_not_b32_e32 v8, v16
	v_lshlrev_b32_e32 v20, 26, v1
	v_cmp_ne_u32_e64 s16, 0, v18
	v_ashrrev_i32_e32 v35, 31, v35
	v_lshlrev_b32_e32 v21, 25, v1
	v_ashrrev_i32_e32 v8, 31, v8
	v_lshlrev_b32_e32 v18, 24, v1
	v_xor_b32_e32 v0, s16, v0
	v_cmp_gt_i32_e64 s16, 0, v16
	v_not_b32_e32 v16, v17
	v_xor_b32_e32 v35, s17, v35
	v_cmp_gt_i32_e64 s17, 0, v17
	v_and_b32_e32 v0, exec_lo, v0
	v_not_b32_e32 v17, v19
	v_ashrrev_i32_e32 v16, 31, v16
	v_xor_b32_e32 v8, s16, v8
	v_cmp_gt_i32_e64 s16, 0, v19
	v_and_b32_e32 v0, v0, v35
	v_not_b32_e32 v19, v20
	v_ashrrev_i32_e32 v17, 31, v17
	v_xor_b32_e32 v16, s17, v16
	v_cmp_gt_i32_e64 s17, 0, v20
	v_and_b32_e32 v0, v0, v8
	v_not_b32_e32 v8, v21
	v_ashrrev_i32_e32 v19, 31, v19
	v_xor_b32_e32 v17, s16, v17
	v_cmp_gt_i32_e64 s16, 0, v21
	v_and_b32_e32 v0, v0, v16
	v_not_b32_e32 v16, v18
	v_ashrrev_i32_e32 v8, 31, v8
	v_xor_b32_e32 v19, s17, v19
	v_cmp_gt_i32_e64 s17, 0, v18
	v_and_b32_e32 v0, v0, v17
	v_ashrrev_i32_e32 v16, 31, v16
	v_xor_b32_e32 v8, s16, v8
	v_lshl_add_u32 v1, v1, 2, v29
	s_delay_alu instid0(VALU_DEP_4) | instskip(NEXT) | instid1(VALU_DEP_4)
	v_dual_mov_b32 v21, v3 :: v_dual_and_b32 v0, v0, v19
	v_xor_b32_e32 v16, s17, v16
	v_dual_mov_b32 v19, v5 :: v_dual_mov_b32 v20, v2
	v_mov_b32_e32 v18, v4
	s_delay_alu instid0(VALU_DEP_4) | instskip(SKIP_1) | instid1(VALU_DEP_2)
	v_and_b32_e32 v0, v0, v8
	v_lshl_add_u32 v35, v1, 2, 16
	v_dual_mov_b32 v17, v7 :: v_dual_and_b32 v0, v0, v16
	v_mov_b32_e32 v16, v6
	s_delay_alu instid0(VALU_DEP_2) | instskip(SKIP_1) | instid1(VALU_DEP_2)
	v_mbcnt_lo_u32_b32 v8, v0, 0
	v_cmp_ne_u32_e64 s17, 0, v0
	v_cmp_eq_u32_e64 s16, 0, v8
	s_delay_alu instid0(VALU_DEP_1) | instskip(NEXT) | instid1(SALU_CYCLE_1)
	s_and_b32 s17, s16, s17
	s_and_saveexec_b32 s16, s17
	s_cbranch_execz .LBB348_6
; %bb.5:                                ;   in Loop: Header=BB348_4 Depth=2
	v_bcnt_u32_b32 v0, v0, 0
	ds_store_b32 v35, v0
.LBB348_6:                              ;   in Loop: Header=BB348_4 Depth=2
	s_or_b32 exec_lo, exec_lo, s16
	v_lshrrev_b32_e32 v0, s28, v20
	v_lshrrev_b32_e32 v1, s25, v21
	; wave barrier
	s_delay_alu instid0(VALU_DEP_1) | instskip(NEXT) | instid1(VALU_DEP_1)
	v_and_b32_e32 v1, s26, v1
	v_dual_cndmask_b32 v1, 0, v1 :: v_dual_and_b32 v0, s29, v0
	s_delay_alu instid0(VALU_DEP_1) | instskip(NEXT) | instid1(VALU_DEP_1)
	v_lshlrev_b32_e32 v0, s27, v0
	v_cndmask_b32_e64 v0, 0, v0, s15
	s_delay_alu instid0(VALU_DEP_1) | instskip(NEXT) | instid1(VALU_DEP_1)
	v_or_b32_e32 v0, v1, v0
	v_and_b32_e32 v1, 1, v0
	v_lshlrev_b32_e32 v2, 30, v0
	v_lshlrev_b32_e32 v3, 29, v0
	;; [unrolled: 1-line block ×4, first 2 shown]
	v_add_co_u32 v1, s16, v1, -1
	s_delay_alu instid0(VALU_DEP_1)
	v_cndmask_b32_e64 v5, 0, 1, s16
	v_not_b32_e32 v37, v2
	v_cmp_gt_i32_e64 s17, 0, v2
	v_not_b32_e32 v2, v3
	v_lshlrev_b32_e32 v7, 26, v0
	v_cmp_ne_u32_e64 s16, 0, v5
	v_ashrrev_i32_e32 v37, 31, v37
	v_lshlrev_b32_e32 v36, 25, v0
	v_ashrrev_i32_e32 v2, 31, v2
	v_lshlrev_b32_e32 v5, 24, v0
	v_xor_b32_e32 v1, s16, v1
	v_cmp_gt_i32_e64 s16, 0, v3
	v_not_b32_e32 v3, v4
	v_xor_b32_e32 v37, s17, v37
	v_cmp_gt_i32_e64 s17, 0, v4
	v_and_b32_e32 v1, exec_lo, v1
	v_not_b32_e32 v4, v6
	v_ashrrev_i32_e32 v3, 31, v3
	v_xor_b32_e32 v2, s16, v2
	v_cmp_gt_i32_e64 s16, 0, v6
	v_and_b32_e32 v1, v1, v37
	v_not_b32_e32 v6, v7
	v_ashrrev_i32_e32 v4, 31, v4
	v_xor_b32_e32 v3, s17, v3
	v_cmp_gt_i32_e64 s17, 0, v7
	v_and_b32_e32 v1, v1, v2
	;; [unrolled: 5-line block ×3, first 2 shown]
	v_not_b32_e32 v3, v5
	v_ashrrev_i32_e32 v2, 31, v2
	v_xor_b32_e32 v6, s17, v6
	v_lshlrev_b32_e32 v0, 2, v0
	v_and_b32_e32 v1, v1, v4
	v_cmp_gt_i32_e64 s17, 0, v5
	v_ashrrev_i32_e32 v3, 31, v3
	v_xor_b32_e32 v2, s16, v2
	v_add_lshl_u32 v4, v0, v29, 2
	v_and_b32_e32 v1, v1, v6
	s_delay_alu instid0(VALU_DEP_4) | instskip(SKIP_3) | instid1(VALU_DEP_2)
	v_xor_b32_e32 v0, s17, v3
	ds_load_b32 v36, v4 offset:16
	v_and_b32_e32 v1, v1, v2
	v_add_nc_u32_e32 v38, 16, v4
	; wave barrier
	v_and_b32_e32 v0, v1, v0
	s_delay_alu instid0(VALU_DEP_1) | instskip(SKIP_1) | instid1(VALU_DEP_2)
	v_mbcnt_lo_u32_b32 v37, v0, 0
	v_cmp_ne_u32_e64 s17, 0, v0
	v_cmp_eq_u32_e64 s16, 0, v37
	s_delay_alu instid0(VALU_DEP_1) | instskip(NEXT) | instid1(SALU_CYCLE_1)
	s_and_b32 s17, s16, s17
	s_and_saveexec_b32 s16, s17
	s_cbranch_execz .LBB348_8
; %bb.7:                                ;   in Loop: Header=BB348_4 Depth=2
	s_waitcnt lgkmcnt(0)
	v_bcnt_u32_b32 v0, v0, v36
	ds_store_b32 v38, v0
.LBB348_8:                              ;   in Loop: Header=BB348_4 Depth=2
	s_or_b32 exec_lo, exec_lo, s16
	v_lshrrev_b32_e32 v0, s28, v18
	v_lshrrev_b32_e32 v1, s25, v19
	; wave barrier
	s_delay_alu instid0(VALU_DEP_1) | instskip(NEXT) | instid1(VALU_DEP_1)
	v_and_b32_e32 v1, s26, v1
	v_dual_cndmask_b32 v1, 0, v1 :: v_dual_and_b32 v0, s29, v0
	s_delay_alu instid0(VALU_DEP_1) | instskip(NEXT) | instid1(VALU_DEP_1)
	v_lshlrev_b32_e32 v0, s27, v0
	v_cndmask_b32_e64 v0, 0, v0, s15
	s_delay_alu instid0(VALU_DEP_1) | instskip(NEXT) | instid1(VALU_DEP_1)
	v_or_b32_e32 v0, v1, v0
	v_and_b32_e32 v1, 1, v0
	v_lshlrev_b32_e32 v2, 30, v0
	v_lshlrev_b32_e32 v3, 29, v0
	;; [unrolled: 1-line block ×4, first 2 shown]
	v_add_co_u32 v1, s16, v1, -1
	s_delay_alu instid0(VALU_DEP_1)
	v_cndmask_b32_e64 v5, 0, 1, s16
	v_not_b32_e32 v40, v2
	v_cmp_gt_i32_e64 s17, 0, v2
	v_not_b32_e32 v2, v3
	v_lshlrev_b32_e32 v7, 26, v0
	v_cmp_ne_u32_e64 s16, 0, v5
	v_ashrrev_i32_e32 v40, 31, v40
	v_lshlrev_b32_e32 v39, 25, v0
	v_ashrrev_i32_e32 v2, 31, v2
	v_lshlrev_b32_e32 v5, 24, v0
	v_xor_b32_e32 v1, s16, v1
	v_cmp_gt_i32_e64 s16, 0, v3
	v_not_b32_e32 v3, v4
	v_xor_b32_e32 v40, s17, v40
	v_cmp_gt_i32_e64 s17, 0, v4
	v_and_b32_e32 v1, exec_lo, v1
	v_not_b32_e32 v4, v6
	v_ashrrev_i32_e32 v3, 31, v3
	v_xor_b32_e32 v2, s16, v2
	v_cmp_gt_i32_e64 s16, 0, v6
	v_and_b32_e32 v1, v1, v40
	v_not_b32_e32 v6, v7
	v_ashrrev_i32_e32 v4, 31, v4
	v_xor_b32_e32 v3, s17, v3
	v_cmp_gt_i32_e64 s17, 0, v7
	v_and_b32_e32 v1, v1, v2
	;; [unrolled: 5-line block ×3, first 2 shown]
	v_not_b32_e32 v3, v5
	v_ashrrev_i32_e32 v2, 31, v2
	v_xor_b32_e32 v6, s17, v6
	v_lshlrev_b32_e32 v0, 2, v0
	v_and_b32_e32 v1, v1, v4
	v_cmp_gt_i32_e64 s17, 0, v5
	v_ashrrev_i32_e32 v3, 31, v3
	v_xor_b32_e32 v2, s16, v2
	v_add_lshl_u32 v4, v0, v29, 2
	v_and_b32_e32 v1, v1, v6
	s_delay_alu instid0(VALU_DEP_4) | instskip(SKIP_3) | instid1(VALU_DEP_2)
	v_xor_b32_e32 v0, s17, v3
	ds_load_b32 v39, v4 offset:16
	v_and_b32_e32 v1, v1, v2
	v_add_nc_u32_e32 v41, 16, v4
	; wave barrier
	v_and_b32_e32 v0, v1, v0
	s_delay_alu instid0(VALU_DEP_1) | instskip(SKIP_1) | instid1(VALU_DEP_2)
	v_mbcnt_lo_u32_b32 v40, v0, 0
	v_cmp_ne_u32_e64 s17, 0, v0
	v_cmp_eq_u32_e64 s16, 0, v40
	s_delay_alu instid0(VALU_DEP_1) | instskip(NEXT) | instid1(SALU_CYCLE_1)
	s_and_b32 s17, s16, s17
	s_and_saveexec_b32 s16, s17
	s_cbranch_execz .LBB348_10
; %bb.9:                                ;   in Loop: Header=BB348_4 Depth=2
	s_waitcnt lgkmcnt(0)
	v_bcnt_u32_b32 v0, v0, v39
	ds_store_b32 v41, v0
.LBB348_10:                             ;   in Loop: Header=BB348_4 Depth=2
	s_or_b32 exec_lo, exec_lo, s16
	v_lshrrev_b32_e32 v0, s28, v16
	v_lshrrev_b32_e32 v1, s25, v17
	; wave barrier
	s_delay_alu instid0(VALU_DEP_1) | instskip(NEXT) | instid1(VALU_DEP_1)
	v_and_b32_e32 v1, s26, v1
	v_dual_cndmask_b32 v1, 0, v1 :: v_dual_and_b32 v0, s29, v0
	s_delay_alu instid0(VALU_DEP_1) | instskip(NEXT) | instid1(VALU_DEP_1)
	v_lshlrev_b32_e32 v0, s27, v0
	v_cndmask_b32_e64 v0, 0, v0, s15
	s_delay_alu instid0(VALU_DEP_1) | instskip(NEXT) | instid1(VALU_DEP_1)
	v_or_b32_e32 v0, v1, v0
	v_and_b32_e32 v1, 1, v0
	v_lshlrev_b32_e32 v2, 30, v0
	v_lshlrev_b32_e32 v3, 29, v0
	;; [unrolled: 1-line block ×4, first 2 shown]
	v_add_co_u32 v1, s15, v1, -1
	s_delay_alu instid0(VALU_DEP_1)
	v_cndmask_b32_e64 v5, 0, 1, s15
	v_not_b32_e32 v43, v2
	v_cmp_gt_i32_e64 s15, 0, v2
	v_not_b32_e32 v2, v3
	v_lshlrev_b32_e32 v7, 26, v0
	v_cmp_ne_u32_e32 vcc_lo, 0, v5
	v_ashrrev_i32_e32 v43, 31, v43
	v_lshlrev_b32_e32 v42, 25, v0
	v_ashrrev_i32_e32 v2, 31, v2
	v_lshlrev_b32_e32 v5, 24, v0
	v_xor_b32_e32 v1, vcc_lo, v1
	v_cmp_gt_i32_e32 vcc_lo, 0, v3
	v_not_b32_e32 v3, v4
	v_xor_b32_e32 v43, s15, v43
	v_cmp_gt_i32_e64 s15, 0, v4
	v_and_b32_e32 v1, exec_lo, v1
	v_not_b32_e32 v4, v6
	v_ashrrev_i32_e32 v3, 31, v3
	v_xor_b32_e32 v2, vcc_lo, v2
	v_cmp_gt_i32_e32 vcc_lo, 0, v6
	v_and_b32_e32 v1, v1, v43
	v_not_b32_e32 v6, v7
	v_ashrrev_i32_e32 v4, 31, v4
	v_xor_b32_e32 v3, s15, v3
	v_cmp_gt_i32_e64 s15, 0, v7
	v_and_b32_e32 v1, v1, v2
	v_not_b32_e32 v2, v42
	v_ashrrev_i32_e32 v6, 31, v6
	v_xor_b32_e32 v4, vcc_lo, v4
	v_cmp_gt_i32_e32 vcc_lo, 0, v42
	v_and_b32_e32 v1, v1, v3
	v_not_b32_e32 v3, v5
	v_ashrrev_i32_e32 v2, 31, v2
	v_xor_b32_e32 v6, s15, v6
	v_lshlrev_b32_e32 v0, 2, v0
	v_and_b32_e32 v1, v1, v4
	v_cmp_gt_i32_e64 s15, 0, v5
	v_ashrrev_i32_e32 v3, 31, v3
	v_xor_b32_e32 v2, vcc_lo, v2
	v_add_lshl_u32 v4, v0, v29, 2
	v_and_b32_e32 v1, v1, v6
	s_delay_alu instid0(VALU_DEP_4) | instskip(SKIP_3) | instid1(VALU_DEP_2)
	v_xor_b32_e32 v0, s15, v3
	ds_load_b32 v42, v4 offset:16
	v_and_b32_e32 v1, v1, v2
	v_add_nc_u32_e32 v44, 16, v4
	; wave barrier
	v_and_b32_e32 v0, v1, v0
	s_delay_alu instid0(VALU_DEP_1) | instskip(SKIP_1) | instid1(VALU_DEP_2)
	v_mbcnt_lo_u32_b32 v43, v0, 0
	v_cmp_ne_u32_e64 s15, 0, v0
	v_cmp_eq_u32_e32 vcc_lo, 0, v43
	s_delay_alu instid0(VALU_DEP_2) | instskip(NEXT) | instid1(SALU_CYCLE_1)
	s_and_b32 s16, vcc_lo, s15
	s_and_saveexec_b32 s15, s16
	s_cbranch_execz .LBB348_12
; %bb.11:                               ;   in Loop: Header=BB348_4 Depth=2
	s_waitcnt lgkmcnt(0)
	v_bcnt_u32_b32 v0, v0, v42
	ds_store_b32 v44, v0
.LBB348_12:                             ;   in Loop: Header=BB348_4 Depth=2
	s_or_b32 exec_lo, exec_lo, s15
	; wave barrier
	s_waitcnt lgkmcnt(0)
	s_barrier
	buffer_gl0_inv
	ds_load_2addr_b64 v[4:7], v22 offset0:2 offset1:3
	ds_load_2addr_b64 v[0:3], v28 offset0:2 offset1:3
	s_waitcnt lgkmcnt(1)
	v_add_nc_u32_e32 v45, v5, v4
	s_delay_alu instid0(VALU_DEP_1) | instskip(SKIP_1) | instid1(VALU_DEP_1)
	v_add3_u32 v45, v45, v6, v7
	s_waitcnt lgkmcnt(0)
	v_add3_u32 v45, v45, v0, v1
	s_delay_alu instid0(VALU_DEP_1) | instskip(NEXT) | instid1(VALU_DEP_1)
	v_add3_u32 v3, v45, v2, v3
	v_mov_b32_dpp v45, v3 row_shr:1 row_mask:0xf bank_mask:0xf
	s_delay_alu instid0(VALU_DEP_1) | instskip(NEXT) | instid1(VALU_DEP_1)
	v_cndmask_b32_e64 v45, v45, 0, s4
	v_add_nc_u32_e32 v3, v45, v3
	s_delay_alu instid0(VALU_DEP_1) | instskip(NEXT) | instid1(VALU_DEP_1)
	v_mov_b32_dpp v45, v3 row_shr:2 row_mask:0xf bank_mask:0xf
	v_cndmask_b32_e64 v45, 0, v45, s5
	s_delay_alu instid0(VALU_DEP_1) | instskip(NEXT) | instid1(VALU_DEP_1)
	v_add_nc_u32_e32 v3, v3, v45
	v_mov_b32_dpp v45, v3 row_shr:4 row_mask:0xf bank_mask:0xf
	s_delay_alu instid0(VALU_DEP_1) | instskip(NEXT) | instid1(VALU_DEP_1)
	v_cndmask_b32_e64 v45, 0, v45, s6
	v_add_nc_u32_e32 v3, v3, v45
	s_delay_alu instid0(VALU_DEP_1) | instskip(NEXT) | instid1(VALU_DEP_1)
	v_mov_b32_dpp v45, v3 row_shr:8 row_mask:0xf bank_mask:0xf
	v_cndmask_b32_e64 v45, 0, v45, s7
	s_delay_alu instid0(VALU_DEP_1) | instskip(SKIP_3) | instid1(VALU_DEP_1)
	v_add_nc_u32_e32 v3, v3, v45
	ds_swizzle_b32 v45, v3 offset:swizzle(BROADCAST,32,15)
	s_waitcnt lgkmcnt(0)
	v_cndmask_b32_e64 v45, v45, 0, s8
	v_add_nc_u32_e32 v3, v3, v45
	s_and_saveexec_b32 s15, s9
	s_cbranch_execz .LBB348_14
; %bb.13:                               ;   in Loop: Header=BB348_4 Depth=2
	ds_store_b32 v31, v3
.LBB348_14:                             ;   in Loop: Header=BB348_4 Depth=2
	s_or_b32 exec_lo, exec_lo, s15
	s_waitcnt lgkmcnt(0)
	s_barrier
	buffer_gl0_inv
	s_and_saveexec_b32 s15, s10
	s_cbranch_execz .LBB348_16
; %bb.15:                               ;   in Loop: Header=BB348_4 Depth=2
	ds_load_b32 v45, v32
	s_waitcnt lgkmcnt(0)
	v_mov_b32_dpp v46, v45 row_shr:1 row_mask:0xf bank_mask:0xf
	s_delay_alu instid0(VALU_DEP_1) | instskip(NEXT) | instid1(VALU_DEP_1)
	v_cndmask_b32_e64 v46, v46, 0, s0
	v_add_nc_u32_e32 v45, v46, v45
	s_delay_alu instid0(VALU_DEP_1) | instskip(NEXT) | instid1(VALU_DEP_1)
	v_mov_b32_dpp v46, v45 row_shr:2 row_mask:0xf bank_mask:0xf
	v_cndmask_b32_e64 v46, 0, v46, s14
	s_delay_alu instid0(VALU_DEP_1)
	v_add_nc_u32_e32 v45, v45, v46
	ds_store_b32 v32, v45
.LBB348_16:                             ;   in Loop: Header=BB348_4 Depth=2
	s_or_b32 exec_lo, exec_lo, s15
	v_mov_b32_e32 v45, 0
	s_waitcnt lgkmcnt(0)
	s_barrier
	buffer_gl0_inv
	s_and_saveexec_b32 s15, s11
	s_cbranch_execz .LBB348_18
; %bb.17:                               ;   in Loop: Header=BB348_4 Depth=2
	ds_load_b32 v45, v33
.LBB348_18:                             ;   in Loop: Header=BB348_4 Depth=2
	s_or_b32 exec_lo, exec_lo, s15
	s_waitcnt lgkmcnt(0)
	v_add_nc_u32_e32 v3, v45, v3
	s_cmp_gt_u32 s25, 55
	ds_bpermute_b32 v3, v30, v3
	s_waitcnt lgkmcnt(0)
	v_cndmask_b32_e64 v3, v3, v45, s12
	s_delay_alu instid0(VALU_DEP_1) | instskip(NEXT) | instid1(VALU_DEP_1)
	v_cndmask_b32_e64 v3, v3, 0, s13
	v_add_nc_u32_e32 v4, v3, v4
	s_delay_alu instid0(VALU_DEP_1) | instskip(NEXT) | instid1(VALU_DEP_1)
	v_add_nc_u32_e32 v5, v4, v5
	v_add_nc_u32_e32 v6, v5, v6
	s_delay_alu instid0(VALU_DEP_1) | instskip(SKIP_1) | instid1(VALU_DEP_2)
	v_add_nc_u32_e32 v45, v6, v7
	v_lshlrev_b32_e32 v7, 3, v40
	v_add_nc_u32_e32 v46, v45, v0
	s_delay_alu instid0(VALU_DEP_1) | instskip(NEXT) | instid1(VALU_DEP_1)
	v_add_nc_u32_e32 v0, v46, v1
	v_add_nc_u32_e32 v1, v0, v2
	ds_store_2addr_b64 v22, v[3:4], v[5:6] offset0:2 offset1:3
	ds_store_2addr_b64 v28, v[45:46], v[0:1] offset0:2 offset1:3
	s_waitcnt lgkmcnt(0)
	s_barrier
	buffer_gl0_inv
	ds_load_b32 v0, v38
	ds_load_b32 v1, v41
	;; [unrolled: 1-line block ×4, first 2 shown]
	v_lshlrev_b32_e32 v4, 3, v8
	v_lshlrev_b32_e32 v5, 3, v37
	;; [unrolled: 1-line block ×6, first 2 shown]
	s_waitcnt lgkmcnt(0)
	v_lshlrev_b32_e32 v0, 3, v0
	v_lshlrev_b32_e32 v1, 3, v1
	;; [unrolled: 1-line block ×3, first 2 shown]
	v_lshl_add_u32 v35, v3, 3, v4
	s_delay_alu instid0(VALU_DEP_4) | instskip(NEXT) | instid1(VALU_DEP_4)
	v_add3_u32 v36, v5, v6, v0
	v_add3_u32 v37, v7, v8, v1
	s_delay_alu instid0(VALU_DEP_4)
	v_add3_u32 v8, v38, v39, v2
	s_cbranch_scc0 .LBB348_3
; %bb.19:                               ;   in Loop: Header=BB348_2 Depth=1
                                        ; implicit-def: $sgpr25
                                        ; implicit-def: $vgpr0_vgpr1
                                        ; implicit-def: $vgpr4_vgpr5
                                        ; implicit-def: $sgpr24
                                        ; implicit-def: $sgpr22
	s_branch .LBB348_1
.LBB348_20:
	v_lshlrev_b32_e32 v0, 3, v9
	s_add_u32 s0, s18, s20
	s_addc_u32 s1, s19, s21
	s_clause 0x3
	global_store_b64 v0, v[5:6], s[0:1]
	global_store_b64 v0, v[7:8], s[0:1] offset:1024
	global_store_b64 v0, v[1:2], s[0:1] offset:2048
	;; [unrolled: 1-line block ×3, first 2 shown]
	s_nop 0
	s_sendmsg sendmsg(MSG_DEALLOC_VGPRS)
	s_endpgm
	.section	.rodata,"a",@progbits
	.p2align	6, 0x0
	.amdhsa_kernel _Z16sort_keys_kernelI22helper_blocked_stripedN15benchmark_utils11custom_typeIiiEELj128ELj4ELj10EEvPKT0_PS4_
		.amdhsa_group_segment_fixed_size 4112
		.amdhsa_private_segment_fixed_size 0
		.amdhsa_kernarg_size 272
		.amdhsa_user_sgpr_count 15
		.amdhsa_user_sgpr_dispatch_ptr 0
		.amdhsa_user_sgpr_queue_ptr 0
		.amdhsa_user_sgpr_kernarg_segment_ptr 1
		.amdhsa_user_sgpr_dispatch_id 0
		.amdhsa_user_sgpr_private_segment_size 0
		.amdhsa_wavefront_size32 1
		.amdhsa_uses_dynamic_stack 0
		.amdhsa_enable_private_segment 0
		.amdhsa_system_sgpr_workgroup_id_x 1
		.amdhsa_system_sgpr_workgroup_id_y 0
		.amdhsa_system_sgpr_workgroup_id_z 0
		.amdhsa_system_sgpr_workgroup_info 0
		.amdhsa_system_vgpr_workitem_id 2
		.amdhsa_next_free_vgpr 47
		.amdhsa_next_free_sgpr 30
		.amdhsa_reserve_vcc 1
		.amdhsa_float_round_mode_32 0
		.amdhsa_float_round_mode_16_64 0
		.amdhsa_float_denorm_mode_32 3
		.amdhsa_float_denorm_mode_16_64 3
		.amdhsa_dx10_clamp 1
		.amdhsa_ieee_mode 1
		.amdhsa_fp16_overflow 0
		.amdhsa_workgroup_processor_mode 1
		.amdhsa_memory_ordered 1
		.amdhsa_forward_progress 0
		.amdhsa_shared_vgpr_count 0
		.amdhsa_exception_fp_ieee_invalid_op 0
		.amdhsa_exception_fp_denorm_src 0
		.amdhsa_exception_fp_ieee_div_zero 0
		.amdhsa_exception_fp_ieee_overflow 0
		.amdhsa_exception_fp_ieee_underflow 0
		.amdhsa_exception_fp_ieee_inexact 0
		.amdhsa_exception_int_div_zero 0
	.end_amdhsa_kernel
	.section	.text._Z16sort_keys_kernelI22helper_blocked_stripedN15benchmark_utils11custom_typeIiiEELj128ELj4ELj10EEvPKT0_PS4_,"axG",@progbits,_Z16sort_keys_kernelI22helper_blocked_stripedN15benchmark_utils11custom_typeIiiEELj128ELj4ELj10EEvPKT0_PS4_,comdat
.Lfunc_end348:
	.size	_Z16sort_keys_kernelI22helper_blocked_stripedN15benchmark_utils11custom_typeIiiEELj128ELj4ELj10EEvPKT0_PS4_, .Lfunc_end348-_Z16sort_keys_kernelI22helper_blocked_stripedN15benchmark_utils11custom_typeIiiEELj128ELj4ELj10EEvPKT0_PS4_
                                        ; -- End function
	.section	.AMDGPU.csdata,"",@progbits
; Kernel info:
; codeLenInByte = 3680
; NumSgprs: 32
; NumVgprs: 47
; ScratchSize: 0
; MemoryBound: 0
; FloatMode: 240
; IeeeMode: 1
; LDSByteSize: 4112 bytes/workgroup (compile time only)
; SGPRBlocks: 3
; VGPRBlocks: 5
; NumSGPRsForWavesPerEU: 32
; NumVGPRsForWavesPerEU: 47
; Occupancy: 16
; WaveLimiterHint : 1
; COMPUTE_PGM_RSRC2:SCRATCH_EN: 0
; COMPUTE_PGM_RSRC2:USER_SGPR: 15
; COMPUTE_PGM_RSRC2:TRAP_HANDLER: 0
; COMPUTE_PGM_RSRC2:TGID_X_EN: 1
; COMPUTE_PGM_RSRC2:TGID_Y_EN: 0
; COMPUTE_PGM_RSRC2:TGID_Z_EN: 0
; COMPUTE_PGM_RSRC2:TIDIG_COMP_CNT: 2
	.section	.text._Z17sort_pairs_kernelI22helper_blocked_stripedN15benchmark_utils11custom_typeIiiEELj128ELj4ELj10EEvPKT0_PS4_,"axG",@progbits,_Z17sort_pairs_kernelI22helper_blocked_stripedN15benchmark_utils11custom_typeIiiEELj128ELj4ELj10EEvPKT0_PS4_,comdat
	.protected	_Z17sort_pairs_kernelI22helper_blocked_stripedN15benchmark_utils11custom_typeIiiEELj128ELj4ELj10EEvPKT0_PS4_ ; -- Begin function _Z17sort_pairs_kernelI22helper_blocked_stripedN15benchmark_utils11custom_typeIiiEELj128ELj4ELj10EEvPKT0_PS4_
	.globl	_Z17sort_pairs_kernelI22helper_blocked_stripedN15benchmark_utils11custom_typeIiiEELj128ELj4ELj10EEvPKT0_PS4_
	.p2align	8
	.type	_Z17sort_pairs_kernelI22helper_blocked_stripedN15benchmark_utils11custom_typeIiiEELj128ELj4ELj10EEvPKT0_PS4_,@function
_Z17sort_pairs_kernelI22helper_blocked_stripedN15benchmark_utils11custom_typeIiiEELj128ELj4ELj10EEvPKT0_PS4_: ; @_Z17sort_pairs_kernelI22helper_blocked_stripedN15benchmark_utils11custom_typeIiiEELj128ELj4ELj10EEvPKT0_PS4_
; %bb.0:
	s_clause 0x1
	s_load_b128 s[16:19], s[0:1], 0x0
	s_load_b32 s14, s[0:1], 0x1c
	v_mbcnt_lo_u32_b32 v11, -1, 0
	s_mov_b32 s23, 0
	s_lshl_b32 s22, s15, 9
	v_bfe_u32 v10, v0, 10, 10
	s_lshl_b64 s[20:21], s[22:23], 3
	v_add_nc_u32_e32 v14, -1, v11
	v_and_b32_e32 v13, 16, v11
	v_and_b32_e32 v9, 3, v11
	;; [unrolled: 1-line block ×4, first 2 shown]
	v_cmp_gt_i32_e32 vcc_lo, 0, v14
	v_and_b32_e32 v18, 0x3ff, v0
	v_cmp_eq_u32_e64 s9, 0, v13
	v_bfe_u32 v0, v0, 20, 10
	v_cmp_eq_u32_e64 s2, 1, v9
	v_cndmask_b32_e32 v13, v14, v11, vcc_lo
	v_lshlrev_b32_e32 v33, 5, v18
	v_lshlrev_b32_e32 v35, 2, v18
	s_waitcnt lgkmcnt(0)
	s_add_u32 s0, s16, s20
	s_addc_u32 s1, s17, s21
	s_lshr_b32 s13, s14, 16
	s_clause 0x1
	global_load_b128 v[5:8], v33, s[0:1]
	global_load_b128 v[1:4], v33, s[0:1] offset:16
	v_mad_u32_u24 v0, v0, s13, v10
	v_lshrrev_b32_e32 v14, 3, v18
	s_and_b32 s14, s14, 0xffff
	v_cmp_eq_u32_e64 s1, 0, v9
	v_cmp_eq_u32_e64 s3, 2, v9
	v_cmp_eq_u32_e64 s4, 3, v9
	v_cmp_lt_u32_e64 s13, 1, v9
	v_mad_u64_u32 v[9:10], null, v0, s14, v[18:19]
	v_cmp_eq_u32_e64 s5, 0, v12
	v_cmp_lt_u32_e64 s6, 1, v12
	v_cmp_lt_u32_e64 s7, 3, v12
	;; [unrolled: 1-line block ×3, first 2 shown]
	v_or_b32_e32 v12, 31, v18
	v_and_b32_e32 v40, 12, v14
	v_and_or_b32 v0, 0x180, v35, v11
	v_cmp_eq_u32_e64 s0, 0, v11
	v_or_b32_e32 v36, 32, v34
	v_or_b32_e32 v37, 64, v34
	;; [unrolled: 1-line block ×3, first 2 shown]
	v_cmp_gt_u32_e64 s10, 4, v18
	v_cmp_lt_u32_e64 s11, 31, v18
	v_cmp_eq_u32_e64 s12, 0, v18
	v_or_b32_e32 v39, 16, v33
	v_cmp_eq_u32_e64 s14, v12, v18
	v_lshlrev_b32_e32 v41, 2, v13
	v_mad_i32_i24 v42, 0xffffffe4, v18, v33
	v_add_nc_u32_e32 v43, -4, v40
	v_lshlrev_b32_e32 v44, 3, v0
	v_lshrrev_b32_e32 v45, 5, v9
	s_mov_b32 s22, s23
	s_mov_b32 s24, s23
	;; [unrolled: 1-line block ×4, first 2 shown]
	s_waitcnt vmcnt(1)
	v_add_nc_u32_e32 v15, 1, v6
	v_add_nc_u32_e32 v14, 1, v5
	;; [unrolled: 1-line block ×4, first 2 shown]
	s_waitcnt vmcnt(0)
	v_add_nc_u32_e32 v11, 1, v2
	v_add_nc_u32_e32 v10, 1, v1
	;; [unrolled: 1-line block ×4, first 2 shown]
	s_branch .LBB349_2
.LBB349_1:                              ;   in Loop: Header=BB349_2 Depth=1
	v_add_nc_u32_e32 v4, v42, v35
	s_barrier
	buffer_gl0_inv
	ds_store_b64 v46, v[16:17]
	ds_store_b64 v47, v[29:30]
	;; [unrolled: 1-line block ×4, first 2 shown]
	s_waitcnt lgkmcnt(0)
	s_barrier
	buffer_gl0_inv
	ds_load_2addr_stride64_b64 v[0:3], v4 offset1:2
	ds_load_2addr_stride64_b64 v[27:30], v4 offset0:4 offset1:6
	s_waitcnt lgkmcnt(0)
	s_barrier
	buffer_gl0_inv
	ds_store_b64 v46, v[21:22]
	ds_store_b64 v47, v[19:20]
	;; [unrolled: 1-line block ×4, first 2 shown]
	s_waitcnt lgkmcnt(0)
	s_barrier
	buffer_gl0_inv
	ds_load_2addr_stride64_b64 v[14:17], v4 offset1:2
	ds_load_2addr_stride64_b64 v[10:13], v4 offset0:4 offset1:6
	s_add_i32 s26, s26, 1
	s_delay_alu instid0(SALU_CYCLE_1)
	s_cmp_lg_u32 s26, 10
	v_xor_b32_e32 v5, 0x80000000, v0
	v_xor_b32_e32 v6, 0x80000000, v1
	;; [unrolled: 1-line block ×8, first 2 shown]
	s_cbranch_scc0 .LBB349_20
.LBB349_2:                              ; =>This Loop Header: Depth=1
                                        ;     Child Loop BB349_4 Depth 2
	v_xor_b32_e32 v0, 0x80000000, v6
	v_xor_b32_e32 v5, 0x80000000, v5
	;; [unrolled: 1-line block ×5, first 2 shown]
	ds_bpermute_b32 v1, v34, v0
	v_xor_b32_e32 v9, 0x80000000, v2
	ds_bpermute_b32 v2, v34, v5
	v_xor_b32_e32 v19, 0x80000000, v3
	ds_bpermute_b32 v3, v34, v7
	ds_bpermute_b32 v20, v34, v6
	;; [unrolled: 1-line block ×6, first 2 shown]
	v_xor_b32_e32 v4, 0x80000000, v4
	ds_bpermute_b32 v21, v34, v8
	ds_bpermute_b32 v23, v34, v9
	;; [unrolled: 1-line block ×9, first 2 shown]
	s_waitcnt lgkmcnt(16)
	v_cndmask_b32_e64 v1, 0, v1, s1
	ds_bpermute_b32 v47, v36, v4
	s_waitcnt lgkmcnt(16)
	v_cndmask_b32_e64 v2, 0, v2, s1
	ds_bpermute_b32 v48, v37, v7
	ds_bpermute_b32 v49, v37, v6
	s_waitcnt lgkmcnt(17)
	v_cndmask_b32_e64 v1, v1, v3, s2
	s_waitcnt lgkmcnt(15)
	v_cndmask_b32_e64 v3, 0, v22, s1
	v_cndmask_b32_e64 v2, v2, v20, s2
	s_waitcnt lgkmcnt(14)
	v_cndmask_b32_e64 v20, 0, v25, s1
	ds_bpermute_b32 v22, v38, v0
	ds_bpermute_b32 v51, v37, v9
	s_waitcnt lgkmcnt(15)
	v_cndmask_b32_e64 v0, v3, v27, s2
	s_waitcnt lgkmcnt(12)
	v_cndmask_b32_e64 v1, v1, v23, s3
	v_cndmask_b32_e64 v3, v20, v28, s2
	;; [unrolled: 1-line block ×3, first 2 shown]
	ds_bpermute_b32 v5, v38, v5
	s_waitcnt lgkmcnt(9)
	v_cndmask_b32_e64 v23, v0, v30, s3
	v_cndmask_b32_e64 v1, v1, v26, s4
	;; [unrolled: 1-line block ×4, first 2 shown]
	ds_bpermute_b32 v7, v38, v7
	ds_bpermute_b32 v26, v34, v14
	;; [unrolled: 1-line block ×3, first 2 shown]
	s_waitcnt lgkmcnt(11)
	v_cndmask_b32_e64 v2, v25, v46, s4
	ds_bpermute_b32 v25, v34, v15
	s_waitcnt lgkmcnt(11)
	v_cndmask_b32_e64 v20, 0, v31, s1
	ds_bpermute_b32 v24, v37, v4
	ds_bpermute_b32 v6, v38, v6
	;; [unrolled: 1-line block ×4, first 2 shown]
	s_waitcnt lgkmcnt(14)
	v_cndmask_b32_e64 v21, 0, v32, s1
	s_waitcnt lgkmcnt(12)
	v_cndmask_b32_e64 v20, v20, v48, s2
	v_cndmask_b32_e64 v3, v23, v47, s4
	ds_bpermute_b32 v9, v38, v9
	ds_bpermute_b32 v8, v38, v8
	;; [unrolled: 1-line block ×5, first 2 shown]
	s_waitcnt lgkmcnt(16)
	v_cndmask_b32_e64 v21, v21, v49, s2
	s_waitcnt lgkmcnt(14)
	v_cndmask_b32_e64 v20, v20, v51, s3
	ds_bpermute_b32 v23, v37, v19
	v_cndmask_b32_e64 v22, 0, v22, s1
	ds_bpermute_b32 v30, v38, v4
	ds_bpermute_b32 v48, v34, v13
	;; [unrolled: 1-line block ×4, first 2 shown]
	s_waitcnt lgkmcnt(18)
	v_cndmask_b32_e64 v29, 0, v5, s1
	ds_bpermute_b32 v46, v36, v15
	s_waitcnt lgkmcnt(18)
	v_cndmask_b32_e64 v4, v22, v7, s2
	s_waitcnt lgkmcnt(15)
	v_cndmask_b32_e64 v7, 0, v25, s1
	v_cndmask_b32_e64 v22, 0, v26, s1
	v_cndmask_b32_e64 v21, v21, v50, s3
	ds_bpermute_b32 v19, v38, v19
	ds_bpermute_b32 v50, v36, v17
	s_waitcnt lgkmcnt(16)
	v_cndmask_b32_e64 v5, v20, v24, s4
	s_waitcnt lgkmcnt(15)
	v_cndmask_b32_e64 v6, v29, v6, s2
	;; [unrolled: 2-line block ×5, first 2 shown]
	ds_bpermute_b32 v25, v37, v17
	s_waitcnt lgkmcnt(12)
	v_cndmask_b32_e64 v6, v6, v8, s3
	s_waitcnt lgkmcnt(11)
	v_cndmask_b32_e64 v8, v20, v31, s3
	s_waitcnt lgkmcnt(10)
	v_cndmask_b32_e64 v20, v22, v32, s3
	s_waitcnt lgkmcnt(9)
	v_cndmask_b32_e64 v22, 0, v47, s1
	s_waitcnt lgkmcnt(8)
	v_cndmask_b32_e64 v4, v21, v23, s4
	s_waitcnt lgkmcnt(7)
	v_cndmask_b32_e64 v7, v9, v30, s4
	s_waitcnt lgkmcnt(6)
	v_cndmask_b32_e64 v9, v8, v48, s4
	s_waitcnt lgkmcnt(5)
	v_cndmask_b32_e64 v8, v20, v49, s4
	s_waitcnt lgkmcnt(4)
	v_cndmask_b32_e64 v20, v22, v51, s2
	ds_bpermute_b32 v22, v37, v15
	ds_bpermute_b32 v23, v37, v14
	;; [unrolled: 1-line block ×4, first 2 shown]
	s_waitcnt lgkmcnt(7)
	v_cndmask_b32_e64 v21, 0, v46, s1
	ds_bpermute_b32 v26, v37, v16
	ds_bpermute_b32 v17, v38, v17
	;; [unrolled: 1-line block ×3, first 2 shown]
	s_waitcnt lgkmcnt(9)
	v_cndmask_b32_e64 v6, v6, v19, s4
	s_waitcnt lgkmcnt(8)
	v_cndmask_b32_e64 v19, v21, v50, s2
	ds_bpermute_b32 v21, v36, v11
	ds_bpermute_b32 v24, v36, v10
	ds_bpermute_b32 v28, v37, v11
	ds_bpermute_b32 v29, v37, v10
	ds_bpermute_b32 v30, v38, v11
	ds_bpermute_b32 v10, v38, v10
	ds_bpermute_b32 v27, v36, v13
	ds_bpermute_b32 v31, v36, v12
	ds_bpermute_b32 v32, v37, v13
	ds_bpermute_b32 v46, v37, v12
	ds_bpermute_b32 v47, v38, v13
	ds_bpermute_b32 v48, v38, v12
	s_waitcnt lgkmcnt(18)
	v_cndmask_b32_e64 v12, 0, v22, s1
	s_waitcnt lgkmcnt(17)
	v_cndmask_b32_e64 v13, 0, v23, s1
	;; [unrolled: 2-line block ×4, first 2 shown]
	s_mov_b32 s27, 8
	v_cndmask_b32_e64 v12, v12, v25, s2
	s_waitcnt lgkmcnt(14)
	v_cndmask_b32_e64 v13, v13, v26, s2
	s_waitcnt lgkmcnt(13)
	;; [unrolled: 2-line block ×15, first 2 shown]
	v_cndmask_b32_e64 v14, v14, v48, s4
	s_mov_b32 s28, 32
	s_mov_b32 s29, 0
	s_barrier
	s_branch .LBB349_4
.LBB349_3:                              ;   in Loop: Header=BB349_4 Depth=2
	s_barrier
	buffer_gl0_inv
	ds_store_b64 v46, v[16:17]
	ds_store_b64 v47, v[29:30]
	;; [unrolled: 1-line block ×4, first 2 shown]
	s_waitcnt lgkmcnt(0)
	s_barrier
	buffer_gl0_inv
	ds_load_2addr_b64 v[0:3], v44 offset1:32
	ds_load_2addr_b64 v[4:7], v44 offset0:64 offset1:96
	s_waitcnt lgkmcnt(0)
	s_barrier
	buffer_gl0_inv
	ds_store_b64 v46, v[21:22]
	ds_store_b64 v47, v[19:20]
	;; [unrolled: 1-line block ×4, first 2 shown]
	s_waitcnt lgkmcnt(0)
	s_barrier
	buffer_gl0_inv
	ds_load_2addr_b64 v[8:11], v44 offset1:32
	ds_load_2addr_b64 v[12:15], v44 offset0:64 offset1:96
	s_add_i32 s28, s28, -8
	s_add_i32 s27, s27, 8
	s_add_i32 s29, s29, 8
	s_waitcnt lgkmcnt(0)
	s_barrier
	s_cbranch_execz .LBB349_1
.LBB349_4:                              ;   Parent Loop BB349_2 Depth=1
                                        ; =>  This Inner Loop Header: Depth=2
	s_min_i32 s16, s27, 32
	s_cmp_lt_u32 s29, 32
	v_dual_mov_b32 v17, v1 :: v_dual_mov_b32 v16, v0
	s_cselect_b32 vcc_lo, -1, 0
	s_cmp_gt_u32 s29, 24
	v_mov_b32_e32 v28, v7
	s_cselect_b32 s15, -1, 0
	s_sub_i32 s16, s16, 32
	v_lshrrev_b32_e32 v1, s29, v17
	s_add_i32 s17, s16, s28
	v_mov_b32_e32 v32, v5
	s_lshl_b32 s17, -1, s17
	buffer_gl0_inv
	s_not_b32 s17, s17
	s_cmp_lg_u32 s16, s29
	v_mov_b32_e32 v30, v3
	s_cselect_b32 s30, s17, -1
	s_max_i32 s31, s28, 0
	s_max_i32 s16, s29, 32
	v_and_b32_e32 v1, s30, v1
	s_sub_i32 s17, s16, s31
	s_sub_i32 s33, s16, 32
	;; [unrolled: 1-line block ×3, first 2 shown]
	v_lshrrev_b32_e32 v0, s33, v16
	s_min_i32 s16, s17, 32
	v_cndmask_b32_e32 v1, 0, v1, vcc_lo
	s_sub_i32 s16, s16, s33
	v_mov_b32_e32 v29, v2
	s_lshl_b32 s17, -1, s16
	v_mov_b32_e32 v27, v6
	s_not_b32 s17, s17
	s_cmp_lg_u32 s16, 32
	v_mov_b32_e32 v31, v4
	s_cselect_b32 s34, s17, -1
	s_delay_alu instid0(SALU_CYCLE_1) | instskip(NEXT) | instid1(VALU_DEP_1)
	v_and_b32_e32 v0, s34, v0
	v_lshlrev_b32_e32 v0, s31, v0
	s_delay_alu instid0(VALU_DEP_1) | instskip(NEXT) | instid1(VALU_DEP_1)
	v_cndmask_b32_e64 v0, 0, v0, s15
	v_or_b32_e32 v46, v1, v0
	s_delay_alu instid0(VALU_DEP_1)
	v_and_b32_e32 v0, 1, v46
	v_lshlrev_b32_e32 v1, 30, v46
	v_lshlrev_b32_e32 v19, 29, v46
	;; [unrolled: 1-line block ×4, first 2 shown]
	v_add_co_u32 v0, s16, v0, -1
	s_delay_alu instid0(VALU_DEP_1)
	v_cndmask_b32_e64 v21, 0, 1, s16
	v_not_b32_e32 v25, v1
	v_cmp_gt_i32_e64 s17, 0, v1
	v_lshlrev_b32_e32 v23, 26, v46
	v_lshlrev_b32_e32 v24, 25, v46
	v_cmp_ne_u32_e64 s16, 0, v21
	v_ashrrev_i32_e32 v25, 31, v25
	v_lshlrev_b32_e32 v21, 24, v46
	s_delay_alu instid0(VALU_DEP_3) | instskip(NEXT) | instid1(VALU_DEP_3)
	v_xor_b32_e32 v0, s16, v0
	v_xor_b32_e32 v25, s17, v25
	s_delay_alu instid0(VALU_DEP_2) | instskip(NEXT) | instid1(VALU_DEP_1)
	v_and_b32_e32 v0, exec_lo, v0
	v_and_b32_e32 v0, v0, v25
	v_mov_b32_e32 v26, v13
	v_not_b32_e32 v1, v19
	v_cmp_gt_i32_e64 s16, 0, v19
	v_mov_b32_e32 v25, v12
	v_not_b32_e32 v19, v20
	v_cmp_gt_i32_e64 s17, 0, v20
	v_ashrrev_i32_e32 v1, 31, v1
	v_not_b32_e32 v20, v22
	s_delay_alu instid0(VALU_DEP_4) | instskip(NEXT) | instid1(VALU_DEP_3)
	v_ashrrev_i32_e32 v19, 31, v19
	v_xor_b32_e32 v1, s16, v1
	v_cmp_gt_i32_e64 s16, 0, v22
	v_not_b32_e32 v22, v23
	v_ashrrev_i32_e32 v20, 31, v20
	v_xor_b32_e32 v19, s17, v19
	v_and_b32_e32 v0, v0, v1
	v_cmp_gt_i32_e64 s17, 0, v23
	v_not_b32_e32 v1, v24
	v_ashrrev_i32_e32 v22, 31, v22
	v_xor_b32_e32 v20, s16, v20
	v_and_b32_e32 v0, v0, v19
	;; [unrolled: 5-line block ×3, first 2 shown]
	v_cmp_gt_i32_e64 s17, 0, v21
	v_ashrrev_i32_e32 v23, 31, v19
	v_xor_b32_e32 v1, s16, v1
	v_mov_b32_e32 v20, v11
	v_and_b32_e32 v0, v0, v22
	v_dual_mov_b32 v22, v9 :: v_dual_mov_b32 v21, v8
	v_xor_b32_e32 v8, s17, v23
	s_delay_alu instid0(VALU_DEP_3) | instskip(SKIP_3) | instid1(VALU_DEP_4)
	v_dual_mov_b32 v19, v10 :: v_dual_and_b32 v0, v0, v1
	v_mov_b32_e32 v1, s22
	v_dual_mov_b32 v9, s24 :: v_dual_mov_b32 v2, s23
	v_mov_b32_e32 v10, s25
	v_and_b32_e32 v0, v0, v8
	ds_store_2addr_b64 v33, v[1:2], v[9:10] offset0:2 offset1:3
	ds_store_2addr_b64 v39, v[1:2], v[9:10] offset0:2 offset1:3
	v_mbcnt_lo_u32_b32 v8, v0, 0
	v_lshl_add_u32 v1, v46, 2, v45
	v_cmp_ne_u32_e64 s17, 0, v0
	v_dual_mov_b32 v24, v15 :: v_dual_mov_b32 v23, v14
	s_delay_alu instid0(VALU_DEP_4) | instskip(NEXT) | instid1(VALU_DEP_4)
	v_cmp_eq_u32_e64 s16, 0, v8
	v_lshl_add_u32 v9, v1, 2, 16
	s_waitcnt lgkmcnt(0)
	s_barrier
	buffer_gl0_inv
	s_and_b32 s17, s16, s17
	; wave barrier
	s_delay_alu instid0(SALU_CYCLE_1)
	s_and_saveexec_b32 s16, s17
	s_cbranch_execz .LBB349_6
; %bb.5:                                ;   in Loop: Header=BB349_4 Depth=2
	v_bcnt_u32_b32 v0, v0, 0
	ds_store_b32 v9, v0
.LBB349_6:                              ;   in Loop: Header=BB349_4 Depth=2
	s_or_b32 exec_lo, exec_lo, s16
	v_lshrrev_b32_e32 v0, s33, v29
	v_lshrrev_b32_e32 v1, s29, v30
	; wave barrier
	s_delay_alu instid0(VALU_DEP_1) | instskip(NEXT) | instid1(VALU_DEP_1)
	v_and_b32_e32 v1, s30, v1
	v_dual_cndmask_b32 v1, 0, v1 :: v_dual_and_b32 v0, s34, v0
	s_delay_alu instid0(VALU_DEP_1) | instskip(NEXT) | instid1(VALU_DEP_1)
	v_lshlrev_b32_e32 v0, s31, v0
	v_cndmask_b32_e64 v0, 0, v0, s15
	s_delay_alu instid0(VALU_DEP_1) | instskip(NEXT) | instid1(VALU_DEP_1)
	v_or_b32_e32 v0, v1, v0
	v_and_b32_e32 v1, 1, v0
	v_lshlrev_b32_e32 v2, 30, v0
	v_lshlrev_b32_e32 v3, 29, v0
	;; [unrolled: 1-line block ×4, first 2 shown]
	v_add_co_u32 v1, s16, v1, -1
	s_delay_alu instid0(VALU_DEP_1)
	v_cndmask_b32_e64 v5, 0, 1, s16
	v_not_b32_e32 v11, v2
	v_cmp_gt_i32_e64 s17, 0, v2
	v_not_b32_e32 v2, v3
	v_lshlrev_b32_e32 v7, 26, v0
	v_cmp_ne_u32_e64 s16, 0, v5
	v_ashrrev_i32_e32 v11, 31, v11
	v_lshlrev_b32_e32 v10, 25, v0
	v_ashrrev_i32_e32 v2, 31, v2
	v_lshlrev_b32_e32 v5, 24, v0
	v_xor_b32_e32 v1, s16, v1
	v_cmp_gt_i32_e64 s16, 0, v3
	v_not_b32_e32 v3, v4
	v_xor_b32_e32 v11, s17, v11
	v_cmp_gt_i32_e64 s17, 0, v4
	v_and_b32_e32 v1, exec_lo, v1
	v_not_b32_e32 v4, v6
	v_ashrrev_i32_e32 v3, 31, v3
	v_xor_b32_e32 v2, s16, v2
	v_cmp_gt_i32_e64 s16, 0, v6
	v_and_b32_e32 v1, v1, v11
	v_not_b32_e32 v6, v7
	v_ashrrev_i32_e32 v4, 31, v4
	v_xor_b32_e32 v3, s17, v3
	v_cmp_gt_i32_e64 s17, 0, v7
	v_and_b32_e32 v1, v1, v2
	;; [unrolled: 5-line block ×3, first 2 shown]
	v_not_b32_e32 v3, v5
	v_ashrrev_i32_e32 v2, 31, v2
	v_xor_b32_e32 v6, s17, v6
	v_lshlrev_b32_e32 v0, 2, v0
	v_and_b32_e32 v1, v1, v4
	v_cmp_gt_i32_e64 s17, 0, v5
	v_ashrrev_i32_e32 v3, 31, v3
	v_xor_b32_e32 v2, s16, v2
	v_add_lshl_u32 v4, v0, v45, 2
	v_and_b32_e32 v1, v1, v6
	s_delay_alu instid0(VALU_DEP_4) | instskip(SKIP_3) | instid1(VALU_DEP_2)
	v_xor_b32_e32 v0, s17, v3
	ds_load_b32 v10, v4 offset:16
	v_and_b32_e32 v1, v1, v2
	v_add_nc_u32_e32 v12, 16, v4
	; wave barrier
	v_and_b32_e32 v0, v1, v0
	s_delay_alu instid0(VALU_DEP_1) | instskip(SKIP_1) | instid1(VALU_DEP_2)
	v_mbcnt_lo_u32_b32 v11, v0, 0
	v_cmp_ne_u32_e64 s17, 0, v0
	v_cmp_eq_u32_e64 s16, 0, v11
	s_delay_alu instid0(VALU_DEP_1) | instskip(NEXT) | instid1(SALU_CYCLE_1)
	s_and_b32 s17, s16, s17
	s_and_saveexec_b32 s16, s17
	s_cbranch_execz .LBB349_8
; %bb.7:                                ;   in Loop: Header=BB349_4 Depth=2
	s_waitcnt lgkmcnt(0)
	v_bcnt_u32_b32 v0, v0, v10
	ds_store_b32 v12, v0
.LBB349_8:                              ;   in Loop: Header=BB349_4 Depth=2
	s_or_b32 exec_lo, exec_lo, s16
	v_lshrrev_b32_e32 v0, s33, v31
	v_lshrrev_b32_e32 v1, s29, v32
	; wave barrier
	s_delay_alu instid0(VALU_DEP_1) | instskip(NEXT) | instid1(VALU_DEP_1)
	v_and_b32_e32 v1, s30, v1
	v_dual_cndmask_b32 v1, 0, v1 :: v_dual_and_b32 v0, s34, v0
	s_delay_alu instid0(VALU_DEP_1) | instskip(NEXT) | instid1(VALU_DEP_1)
	v_lshlrev_b32_e32 v0, s31, v0
	v_cndmask_b32_e64 v0, 0, v0, s15
	s_delay_alu instid0(VALU_DEP_1) | instskip(NEXT) | instid1(VALU_DEP_1)
	v_or_b32_e32 v0, v1, v0
	v_and_b32_e32 v1, 1, v0
	v_lshlrev_b32_e32 v2, 30, v0
	v_lshlrev_b32_e32 v3, 29, v0
	v_lshlrev_b32_e32 v4, 28, v0
	v_lshlrev_b32_e32 v6, 27, v0
	v_add_co_u32 v1, s16, v1, -1
	s_delay_alu instid0(VALU_DEP_1)
	v_cndmask_b32_e64 v5, 0, 1, s16
	v_not_b32_e32 v14, v2
	v_cmp_gt_i32_e64 s17, 0, v2
	v_not_b32_e32 v2, v3
	v_lshlrev_b32_e32 v7, 26, v0
	v_cmp_ne_u32_e64 s16, 0, v5
	v_ashrrev_i32_e32 v14, 31, v14
	v_lshlrev_b32_e32 v13, 25, v0
	v_ashrrev_i32_e32 v2, 31, v2
	v_lshlrev_b32_e32 v5, 24, v0
	v_xor_b32_e32 v1, s16, v1
	v_cmp_gt_i32_e64 s16, 0, v3
	v_not_b32_e32 v3, v4
	v_xor_b32_e32 v14, s17, v14
	v_cmp_gt_i32_e64 s17, 0, v4
	v_and_b32_e32 v1, exec_lo, v1
	v_not_b32_e32 v4, v6
	v_ashrrev_i32_e32 v3, 31, v3
	v_xor_b32_e32 v2, s16, v2
	v_cmp_gt_i32_e64 s16, 0, v6
	v_and_b32_e32 v1, v1, v14
	v_not_b32_e32 v6, v7
	v_ashrrev_i32_e32 v4, 31, v4
	v_xor_b32_e32 v3, s17, v3
	v_cmp_gt_i32_e64 s17, 0, v7
	v_and_b32_e32 v1, v1, v2
	;; [unrolled: 5-line block ×3, first 2 shown]
	v_not_b32_e32 v3, v5
	v_ashrrev_i32_e32 v2, 31, v2
	v_xor_b32_e32 v6, s17, v6
	v_lshlrev_b32_e32 v0, 2, v0
	v_and_b32_e32 v1, v1, v4
	v_cmp_gt_i32_e64 s17, 0, v5
	v_ashrrev_i32_e32 v3, 31, v3
	v_xor_b32_e32 v2, s16, v2
	v_add_lshl_u32 v4, v0, v45, 2
	v_and_b32_e32 v1, v1, v6
	s_delay_alu instid0(VALU_DEP_4) | instskip(SKIP_3) | instid1(VALU_DEP_2)
	v_xor_b32_e32 v0, s17, v3
	ds_load_b32 v13, v4 offset:16
	v_and_b32_e32 v1, v1, v2
	v_add_nc_u32_e32 v15, 16, v4
	; wave barrier
	v_and_b32_e32 v0, v1, v0
	s_delay_alu instid0(VALU_DEP_1) | instskip(SKIP_1) | instid1(VALU_DEP_2)
	v_mbcnt_lo_u32_b32 v14, v0, 0
	v_cmp_ne_u32_e64 s17, 0, v0
	v_cmp_eq_u32_e64 s16, 0, v14
	s_delay_alu instid0(VALU_DEP_1) | instskip(NEXT) | instid1(SALU_CYCLE_1)
	s_and_b32 s17, s16, s17
	s_and_saveexec_b32 s16, s17
	s_cbranch_execz .LBB349_10
; %bb.9:                                ;   in Loop: Header=BB349_4 Depth=2
	s_waitcnt lgkmcnt(0)
	v_bcnt_u32_b32 v0, v0, v13
	ds_store_b32 v15, v0
.LBB349_10:                             ;   in Loop: Header=BB349_4 Depth=2
	s_or_b32 exec_lo, exec_lo, s16
	v_lshrrev_b32_e32 v0, s33, v27
	v_lshrrev_b32_e32 v1, s29, v28
	; wave barrier
	s_delay_alu instid0(VALU_DEP_1) | instskip(NEXT) | instid1(VALU_DEP_1)
	v_and_b32_e32 v1, s30, v1
	v_dual_cndmask_b32 v1, 0, v1 :: v_dual_and_b32 v0, s34, v0
	s_delay_alu instid0(VALU_DEP_1) | instskip(NEXT) | instid1(VALU_DEP_1)
	v_lshlrev_b32_e32 v0, s31, v0
	v_cndmask_b32_e64 v0, 0, v0, s15
	s_delay_alu instid0(VALU_DEP_1) | instskip(NEXT) | instid1(VALU_DEP_1)
	v_or_b32_e32 v0, v1, v0
	v_and_b32_e32 v1, 1, v0
	v_lshlrev_b32_e32 v2, 30, v0
	v_lshlrev_b32_e32 v3, 29, v0
	v_lshlrev_b32_e32 v4, 28, v0
	v_lshlrev_b32_e32 v6, 27, v0
	v_add_co_u32 v1, s15, v1, -1
	s_delay_alu instid0(VALU_DEP_1)
	v_cndmask_b32_e64 v5, 0, 1, s15
	v_not_b32_e32 v47, v2
	v_cmp_gt_i32_e64 s15, 0, v2
	v_not_b32_e32 v2, v3
	v_lshlrev_b32_e32 v7, 26, v0
	v_cmp_ne_u32_e32 vcc_lo, 0, v5
	v_ashrrev_i32_e32 v47, 31, v47
	v_lshlrev_b32_e32 v46, 25, v0
	v_ashrrev_i32_e32 v2, 31, v2
	v_lshlrev_b32_e32 v5, 24, v0
	v_xor_b32_e32 v1, vcc_lo, v1
	v_cmp_gt_i32_e32 vcc_lo, 0, v3
	v_not_b32_e32 v3, v4
	v_xor_b32_e32 v47, s15, v47
	v_cmp_gt_i32_e64 s15, 0, v4
	v_and_b32_e32 v1, exec_lo, v1
	v_not_b32_e32 v4, v6
	v_ashrrev_i32_e32 v3, 31, v3
	v_xor_b32_e32 v2, vcc_lo, v2
	v_cmp_gt_i32_e32 vcc_lo, 0, v6
	v_and_b32_e32 v1, v1, v47
	v_not_b32_e32 v6, v7
	v_ashrrev_i32_e32 v4, 31, v4
	v_xor_b32_e32 v3, s15, v3
	v_cmp_gt_i32_e64 s15, 0, v7
	v_and_b32_e32 v1, v1, v2
	v_not_b32_e32 v2, v46
	v_ashrrev_i32_e32 v6, 31, v6
	v_xor_b32_e32 v4, vcc_lo, v4
	v_cmp_gt_i32_e32 vcc_lo, 0, v46
	v_and_b32_e32 v1, v1, v3
	v_not_b32_e32 v3, v5
	v_ashrrev_i32_e32 v2, 31, v2
	v_xor_b32_e32 v6, s15, v6
	v_lshlrev_b32_e32 v0, 2, v0
	v_and_b32_e32 v1, v1, v4
	v_cmp_gt_i32_e64 s15, 0, v5
	v_ashrrev_i32_e32 v3, 31, v3
	v_xor_b32_e32 v2, vcc_lo, v2
	v_add_lshl_u32 v4, v0, v45, 2
	v_and_b32_e32 v1, v1, v6
	s_delay_alu instid0(VALU_DEP_4) | instskip(SKIP_3) | instid1(VALU_DEP_2)
	v_xor_b32_e32 v0, s15, v3
	ds_load_b32 v46, v4 offset:16
	v_and_b32_e32 v1, v1, v2
	v_add_nc_u32_e32 v48, 16, v4
	; wave barrier
	v_and_b32_e32 v0, v1, v0
	s_delay_alu instid0(VALU_DEP_1) | instskip(SKIP_1) | instid1(VALU_DEP_2)
	v_mbcnt_lo_u32_b32 v47, v0, 0
	v_cmp_ne_u32_e64 s15, 0, v0
	v_cmp_eq_u32_e32 vcc_lo, 0, v47
	s_delay_alu instid0(VALU_DEP_2) | instskip(NEXT) | instid1(SALU_CYCLE_1)
	s_and_b32 s16, vcc_lo, s15
	s_and_saveexec_b32 s15, s16
	s_cbranch_execz .LBB349_12
; %bb.11:                               ;   in Loop: Header=BB349_4 Depth=2
	s_waitcnt lgkmcnt(0)
	v_bcnt_u32_b32 v0, v0, v46
	ds_store_b32 v48, v0
.LBB349_12:                             ;   in Loop: Header=BB349_4 Depth=2
	s_or_b32 exec_lo, exec_lo, s15
	; wave barrier
	s_waitcnt lgkmcnt(0)
	s_barrier
	buffer_gl0_inv
	ds_load_2addr_b64 v[4:7], v33 offset0:2 offset1:3
	ds_load_2addr_b64 v[0:3], v39 offset0:2 offset1:3
	s_waitcnt lgkmcnt(1)
	v_add_nc_u32_e32 v49, v5, v4
	s_delay_alu instid0(VALU_DEP_1) | instskip(SKIP_1) | instid1(VALU_DEP_1)
	v_add3_u32 v49, v49, v6, v7
	s_waitcnt lgkmcnt(0)
	v_add3_u32 v49, v49, v0, v1
	s_delay_alu instid0(VALU_DEP_1) | instskip(NEXT) | instid1(VALU_DEP_1)
	v_add3_u32 v3, v49, v2, v3
	v_mov_b32_dpp v49, v3 row_shr:1 row_mask:0xf bank_mask:0xf
	s_delay_alu instid0(VALU_DEP_1) | instskip(NEXT) | instid1(VALU_DEP_1)
	v_cndmask_b32_e64 v49, v49, 0, s5
	v_add_nc_u32_e32 v3, v49, v3
	s_delay_alu instid0(VALU_DEP_1) | instskip(NEXT) | instid1(VALU_DEP_1)
	v_mov_b32_dpp v49, v3 row_shr:2 row_mask:0xf bank_mask:0xf
	v_cndmask_b32_e64 v49, 0, v49, s6
	s_delay_alu instid0(VALU_DEP_1) | instskip(NEXT) | instid1(VALU_DEP_1)
	v_add_nc_u32_e32 v3, v3, v49
	v_mov_b32_dpp v49, v3 row_shr:4 row_mask:0xf bank_mask:0xf
	s_delay_alu instid0(VALU_DEP_1) | instskip(NEXT) | instid1(VALU_DEP_1)
	v_cndmask_b32_e64 v49, 0, v49, s7
	v_add_nc_u32_e32 v3, v3, v49
	s_delay_alu instid0(VALU_DEP_1) | instskip(NEXT) | instid1(VALU_DEP_1)
	v_mov_b32_dpp v49, v3 row_shr:8 row_mask:0xf bank_mask:0xf
	v_cndmask_b32_e64 v49, 0, v49, s8
	s_delay_alu instid0(VALU_DEP_1) | instskip(SKIP_3) | instid1(VALU_DEP_1)
	v_add_nc_u32_e32 v3, v3, v49
	ds_swizzle_b32 v49, v3 offset:swizzle(BROADCAST,32,15)
	s_waitcnt lgkmcnt(0)
	v_cndmask_b32_e64 v49, v49, 0, s9
	v_add_nc_u32_e32 v3, v3, v49
	s_and_saveexec_b32 s15, s14
	s_cbranch_execz .LBB349_14
; %bb.13:                               ;   in Loop: Header=BB349_4 Depth=2
	ds_store_b32 v40, v3
.LBB349_14:                             ;   in Loop: Header=BB349_4 Depth=2
	s_or_b32 exec_lo, exec_lo, s15
	s_waitcnt lgkmcnt(0)
	s_barrier
	buffer_gl0_inv
	s_and_saveexec_b32 s15, s10
	s_cbranch_execz .LBB349_16
; %bb.15:                               ;   in Loop: Header=BB349_4 Depth=2
	ds_load_b32 v49, v42
	s_waitcnt lgkmcnt(0)
	v_mov_b32_dpp v50, v49 row_shr:1 row_mask:0xf bank_mask:0xf
	s_delay_alu instid0(VALU_DEP_1) | instskip(NEXT) | instid1(VALU_DEP_1)
	v_cndmask_b32_e64 v50, v50, 0, s1
	v_add_nc_u32_e32 v49, v50, v49
	s_delay_alu instid0(VALU_DEP_1) | instskip(NEXT) | instid1(VALU_DEP_1)
	v_mov_b32_dpp v50, v49 row_shr:2 row_mask:0xf bank_mask:0xf
	v_cndmask_b32_e64 v50, 0, v50, s13
	s_delay_alu instid0(VALU_DEP_1)
	v_add_nc_u32_e32 v49, v49, v50
	ds_store_b32 v42, v49
.LBB349_16:                             ;   in Loop: Header=BB349_4 Depth=2
	s_or_b32 exec_lo, exec_lo, s15
	v_mov_b32_e32 v49, 0
	s_waitcnt lgkmcnt(0)
	s_barrier
	buffer_gl0_inv
	s_and_saveexec_b32 s15, s11
	s_cbranch_execz .LBB349_18
; %bb.17:                               ;   in Loop: Header=BB349_4 Depth=2
	ds_load_b32 v49, v43
.LBB349_18:                             ;   in Loop: Header=BB349_4 Depth=2
	s_or_b32 exec_lo, exec_lo, s15
	s_waitcnt lgkmcnt(0)
	v_add_nc_u32_e32 v3, v49, v3
	s_cmp_gt_u32 s29, 55
	ds_bpermute_b32 v3, v41, v3
	s_waitcnt lgkmcnt(0)
	v_cndmask_b32_e64 v3, v3, v49, s0
	s_delay_alu instid0(VALU_DEP_1) | instskip(NEXT) | instid1(VALU_DEP_1)
	v_cndmask_b32_e64 v3, v3, 0, s12
	v_add_nc_u32_e32 v4, v3, v4
	s_delay_alu instid0(VALU_DEP_1) | instskip(NEXT) | instid1(VALU_DEP_1)
	v_add_nc_u32_e32 v5, v4, v5
	v_add_nc_u32_e32 v6, v5, v6
	s_delay_alu instid0(VALU_DEP_1) | instskip(SKIP_1) | instid1(VALU_DEP_2)
	v_add_nc_u32_e32 v49, v6, v7
	v_lshlrev_b32_e32 v7, 3, v14
	v_add_nc_u32_e32 v50, v49, v0
	s_delay_alu instid0(VALU_DEP_1) | instskip(NEXT) | instid1(VALU_DEP_1)
	v_add_nc_u32_e32 v0, v50, v1
	v_add_nc_u32_e32 v1, v0, v2
	ds_store_2addr_b64 v33, v[3:4], v[5:6] offset0:2 offset1:3
	ds_store_2addr_b64 v39, v[49:50], v[0:1] offset0:2 offset1:3
	s_waitcnt lgkmcnt(0)
	s_barrier
	buffer_gl0_inv
	ds_load_b32 v0, v12
	ds_load_b32 v1, v15
	;; [unrolled: 1-line block ×4, first 2 shown]
	v_lshlrev_b32_e32 v4, 3, v8
	v_lshlrev_b32_e32 v5, 3, v11
	;; [unrolled: 1-line block ×6, first 2 shown]
	s_waitcnt lgkmcnt(0)
	v_lshlrev_b32_e32 v0, 3, v0
	v_lshlrev_b32_e32 v1, 3, v1
	;; [unrolled: 1-line block ×3, first 2 shown]
	v_lshl_add_u32 v46, v3, 3, v4
	s_delay_alu instid0(VALU_DEP_4) | instskip(NEXT) | instid1(VALU_DEP_4)
	v_add3_u32 v47, v5, v6, v0
	v_add3_u32 v48, v7, v8, v1
	s_delay_alu instid0(VALU_DEP_4)
	v_add3_u32 v49, v9, v10, v2
	s_cbranch_scc0 .LBB349_3
; %bb.19:                               ;   in Loop: Header=BB349_2 Depth=1
                                        ; implicit-def: $sgpr29
                                        ; implicit-def: $vgpr8_vgpr9
                                        ; implicit-def: $vgpr12_vgpr13
                                        ; implicit-def: $vgpr0_vgpr1
                                        ; implicit-def: $vgpr4_vgpr5
                                        ; implicit-def: $sgpr28
                                        ; implicit-def: $sgpr27
	s_branch .LBB349_1
.LBB349_20:
	s_waitcnt lgkmcnt(1)
	v_add_nc_u32_e32 v5, v5, v14
	v_add_nc_u32_e32 v6, v6, v15
	v_lshlrev_b32_e32 v9, 3, v18
	v_add_nc_u32_e32 v7, v7, v16
	v_add_nc_u32_e32 v8, v8, v17
	s_waitcnt lgkmcnt(0)
	v_add_nc_u32_e32 v0, v1, v10
	v_add_nc_u32_e32 v1, v2, v11
	s_add_u32 s0, s18, s20
	v_add_nc_u32_e32 v2, v3, v12
	v_add_nc_u32_e32 v3, v4, v13
	s_addc_u32 s1, s19, s21
	s_clause 0x3
	global_store_b64 v9, v[5:6], s[0:1]
	global_store_b64 v9, v[7:8], s[0:1] offset:1024
	global_store_b64 v9, v[0:1], s[0:1] offset:2048
	global_store_b64 v9, v[2:3], s[0:1] offset:3072
	s_nop 0
	s_sendmsg sendmsg(MSG_DEALLOC_VGPRS)
	s_endpgm
	.section	.rodata,"a",@progbits
	.p2align	6, 0x0
	.amdhsa_kernel _Z17sort_pairs_kernelI22helper_blocked_stripedN15benchmark_utils11custom_typeIiiEELj128ELj4ELj10EEvPKT0_PS4_
		.amdhsa_group_segment_fixed_size 4112
		.amdhsa_private_segment_fixed_size 0
		.amdhsa_kernarg_size 272
		.amdhsa_user_sgpr_count 15
		.amdhsa_user_sgpr_dispatch_ptr 0
		.amdhsa_user_sgpr_queue_ptr 0
		.amdhsa_user_sgpr_kernarg_segment_ptr 1
		.amdhsa_user_sgpr_dispatch_id 0
		.amdhsa_user_sgpr_private_segment_size 0
		.amdhsa_wavefront_size32 1
		.amdhsa_uses_dynamic_stack 0
		.amdhsa_enable_private_segment 0
		.amdhsa_system_sgpr_workgroup_id_x 1
		.amdhsa_system_sgpr_workgroup_id_y 0
		.amdhsa_system_sgpr_workgroup_id_z 0
		.amdhsa_system_sgpr_workgroup_info 0
		.amdhsa_system_vgpr_workitem_id 2
		.amdhsa_next_free_vgpr 52
		.amdhsa_next_free_sgpr 35
		.amdhsa_reserve_vcc 1
		.amdhsa_float_round_mode_32 0
		.amdhsa_float_round_mode_16_64 0
		.amdhsa_float_denorm_mode_32 3
		.amdhsa_float_denorm_mode_16_64 3
		.amdhsa_dx10_clamp 1
		.amdhsa_ieee_mode 1
		.amdhsa_fp16_overflow 0
		.amdhsa_workgroup_processor_mode 1
		.amdhsa_memory_ordered 1
		.amdhsa_forward_progress 0
		.amdhsa_shared_vgpr_count 0
		.amdhsa_exception_fp_ieee_invalid_op 0
		.amdhsa_exception_fp_denorm_src 0
		.amdhsa_exception_fp_ieee_div_zero 0
		.amdhsa_exception_fp_ieee_overflow 0
		.amdhsa_exception_fp_ieee_underflow 0
		.amdhsa_exception_fp_ieee_inexact 0
		.amdhsa_exception_int_div_zero 0
	.end_amdhsa_kernel
	.section	.text._Z17sort_pairs_kernelI22helper_blocked_stripedN15benchmark_utils11custom_typeIiiEELj128ELj4ELj10EEvPKT0_PS4_,"axG",@progbits,_Z17sort_pairs_kernelI22helper_blocked_stripedN15benchmark_utils11custom_typeIiiEELj128ELj4ELj10EEvPKT0_PS4_,comdat
.Lfunc_end349:
	.size	_Z17sort_pairs_kernelI22helper_blocked_stripedN15benchmark_utils11custom_typeIiiEELj128ELj4ELj10EEvPKT0_PS4_, .Lfunc_end349-_Z17sort_pairs_kernelI22helper_blocked_stripedN15benchmark_utils11custom_typeIiiEELj128ELj4ELj10EEvPKT0_PS4_
                                        ; -- End function
	.section	.AMDGPU.csdata,"",@progbits
; Kernel info:
; codeLenInByte = 4564
; NumSgprs: 37
; NumVgprs: 52
; ScratchSize: 0
; MemoryBound: 0
; FloatMode: 240
; IeeeMode: 1
; LDSByteSize: 4112 bytes/workgroup (compile time only)
; SGPRBlocks: 4
; VGPRBlocks: 6
; NumSGPRsForWavesPerEU: 37
; NumVGPRsForWavesPerEU: 52
; Occupancy: 16
; WaveLimiterHint : 1
; COMPUTE_PGM_RSRC2:SCRATCH_EN: 0
; COMPUTE_PGM_RSRC2:USER_SGPR: 15
; COMPUTE_PGM_RSRC2:TRAP_HANDLER: 0
; COMPUTE_PGM_RSRC2:TGID_X_EN: 1
; COMPUTE_PGM_RSRC2:TGID_Y_EN: 0
; COMPUTE_PGM_RSRC2:TGID_Z_EN: 0
; COMPUTE_PGM_RSRC2:TIDIG_COMP_CNT: 2
	.section	.text._Z16sort_keys_kernelI22helper_blocked_stripedN15benchmark_utils11custom_typeIiiEELj128ELj8ELj10EEvPKT0_PS4_,"axG",@progbits,_Z16sort_keys_kernelI22helper_blocked_stripedN15benchmark_utils11custom_typeIiiEELj128ELj8ELj10EEvPKT0_PS4_,comdat
	.protected	_Z16sort_keys_kernelI22helper_blocked_stripedN15benchmark_utils11custom_typeIiiEELj128ELj8ELj10EEvPKT0_PS4_ ; -- Begin function _Z16sort_keys_kernelI22helper_blocked_stripedN15benchmark_utils11custom_typeIiiEELj128ELj8ELj10EEvPKT0_PS4_
	.globl	_Z16sort_keys_kernelI22helper_blocked_stripedN15benchmark_utils11custom_typeIiiEELj128ELj8ELj10EEvPKT0_PS4_
	.p2align	8
	.type	_Z16sort_keys_kernelI22helper_blocked_stripedN15benchmark_utils11custom_typeIiiEELj128ELj8ELj10EEvPKT0_PS4_,@function
_Z16sort_keys_kernelI22helper_blocked_stripedN15benchmark_utils11custom_typeIiiEELj128ELj8ELj10EEvPKT0_PS4_: ; @_Z16sort_keys_kernelI22helper_blocked_stripedN15benchmark_utils11custom_typeIiiEELj128ELj8ELj10EEvPKT0_PS4_
; %bb.0:
	s_clause 0x1
	s_load_b128 s[16:19], s[0:1], 0x0
	s_load_b32 s2, s[0:1], 0x1c
	v_and_b32_e32 v17, 0x3ff, v0
	s_mov_b32 s21, 0
	s_lshl_b32 s20, s15, 10
	v_mbcnt_lo_u32_b32 v20, -1, 0
	s_lshl_b64 s[22:23], s[20:21], 3
	v_lshlrev_b32_e32 v18, 6, v17
	v_lshlrev_b32_e32 v32, 3, v17
	;; [unrolled: 1-line block ×3, first 2 shown]
	v_cmp_gt_u32_e64 s6, 4, v17
	v_cmp_lt_u32_e64 s7, 31, v17
	v_cmp_eq_u32_e64 s9, 0, v17
	v_cmp_eq_u32_e64 s8, 0, v20
	v_mad_i32_i24 v40, 0xffffffe4, v17, v33
	v_or_b32_e32 v36, 16, v33
	s_mov_b32 s20, s21
	s_mov_b32 s15, s21
	s_waitcnt lgkmcnt(0)
	s_add_u32 s0, s16, s22
	s_addc_u32 s1, s17, s23
	s_mov_b32 s16, s21
	s_clause 0x4
	global_load_b128 v[1:4], v18, s[0:1] offset:48
	global_load_b128 v[5:8], v18, s[0:1] offset:32
	;; [unrolled: 1-line block ×3, first 2 shown]
	global_load_b128 v[13:16], v18, s[0:1]
	global_load_b64 v[13:14], v18, s[0:1]
	v_bfe_u32 v18, v0, 10, 10
	v_bfe_u32 v0, v0, 20, 10
	s_lshr_b32 s0, s2, 16
	s_mov_b32 s17, s21
	s_delay_alu instid0(VALU_DEP_1)
	v_mad_u32_u24 v0, v0, s0, v18
	s_and_b32 s0, s2, 0xffff
	s_delay_alu instid0(VALU_DEP_1) | instid1(SALU_CYCLE_1)
	v_mad_u64_u32 v[18:19], null, v0, s0, v[17:18]
	v_and_or_b32 v0, 0x300, v32, v20
	v_and_b32_e32 v19, 15, v20
	s_delay_alu instid0(VALU_DEP_2) | instskip(NEXT) | instid1(VALU_DEP_4)
	v_lshlrev_b32_e32 v35, 3, v0
	v_lshrrev_b32_e32 v37, 5, v18
	v_add_nc_u32_e32 v18, -1, v20
	v_and_b32_e32 v0, 16, v20
	v_cmp_eq_u32_e64 s0, 0, v19
	v_cmp_lt_u32_e64 s1, 1, v19
	v_cmp_lt_u32_e64 s2, 3, v19
	v_cmp_gt_i32_e32 vcc_lo, 0, v18
	v_and_b32_e32 v21, 0x60, v17
	v_cmp_eq_u32_e64 s4, 0, v0
	v_cmp_lt_u32_e64 s3, 7, v19
	v_cndmask_b32_e32 v0, v18, v20, vcc_lo
	s_delay_alu instid0(VALU_DEP_4) | instskip(SKIP_2) | instid1(VALU_DEP_4)
	v_or_b32_e32 v22, v20, v21
	v_or_b32_e32 v21, 31, v21
	v_lshrrev_b32_e32 v18, 3, v17
	v_lshlrev_b32_e32 v38, 2, v0
	v_and_b32_e32 v0, 3, v20
	s_delay_alu instid0(VALU_DEP_4) | instskip(NEXT) | instid1(VALU_DEP_4)
	v_cmp_eq_u32_e64 s5, v21, v17
	v_and_b32_e32 v39, 12, v18
	v_lshlrev_b32_e32 v17, 2, v17
	v_lshlrev_b32_e32 v34, 6, v22
	v_cmp_eq_u32_e64 s10, 0, v0
	v_cmp_lt_u32_e64 s11, 1, v0
	v_add_nc_u32_e32 v41, -4, v39
	v_add_nc_u32_e32 v42, v40, v17
	s_branch .LBB350_2
.LBB350_1:                              ;   in Loop: Header=BB350_2 Depth=1
	s_barrier
	buffer_gl0_inv
	ds_store_b64 v43, v[16:17]
	ds_store_b64 v44, v[20:21]
	ds_store_b64 v45, v[18:19]
	ds_store_b64 v46, v[26:27]
	ds_store_b64 v47, v[24:25]
	ds_store_b64 v48, v[22:23]
	ds_store_b64 v49, v[30:31]
	ds_store_b64 v50, v[28:29]
	s_waitcnt lgkmcnt(0)
	s_barrier
	buffer_gl0_inv
	ds_load_2addr_stride64_b64 v[0:3], v42 offset1:2
	ds_load_2addr_stride64_b64 v[4:7], v42 offset0:4 offset1:6
	ds_load_2addr_stride64_b64 v[17:20], v42 offset0:8 offset1:10
	;; [unrolled: 1-line block ×3, first 2 shown]
	s_add_i32 s15, s15, 1
	s_delay_alu instid0(SALU_CYCLE_1)
	s_cmp_eq_u32 s15, 10
	s_waitcnt lgkmcnt(3)
	v_xor_b32_e32 v13, 0x80000000, v0
	v_xor_b32_e32 v14, 0x80000000, v1
	v_xor_b32_e32 v15, 0x80000000, v2
	v_xor_b32_e32 v16, 0x80000000, v3
	s_waitcnt lgkmcnt(2)
	v_xor_b32_e32 v9, 0x80000000, v4
	v_xor_b32_e32 v10, 0x80000000, v5
	v_xor_b32_e32 v11, 0x80000000, v6
	v_xor_b32_e32 v12, 0x80000000, v7
	;; [unrolled: 5-line block ×4, first 2 shown]
	s_cbranch_scc1 .LBB350_28
.LBB350_2:                              ; =>This Loop Header: Depth=1
                                        ;     Child Loop BB350_4 Depth 2
	s_waitcnt vmcnt(0)
	v_xor_b32_e32 v14, 0x80000000, v14
	v_xor_b32_e32 v13, 0x80000000, v13
	;; [unrolled: 1-line block ×16, first 2 shown]
	ds_store_2addr_b64 v34, v[13:14], v[15:16] offset1:1
	ds_store_2addr_b64 v34, v[9:10], v[11:12] offset0:2 offset1:3
	ds_store_2addr_b64 v34, v[5:6], v[7:8] offset0:4 offset1:5
	;; [unrolled: 1-line block ×3, first 2 shown]
	; wave barrier
	ds_load_2addr_b64 v[0:3], v35 offset1:32
	ds_load_2addr_b64 v[4:7], v35 offset0:64 offset1:96
	ds_load_2addr_b64 v[8:11], v35 offset0:128 offset1:160
	;; [unrolled: 1-line block ×3, first 2 shown]
	s_mov_b32 s24, 8
	s_mov_b32 s25, 32
	;; [unrolled: 1-line block ×3, first 2 shown]
	s_waitcnt lgkmcnt(0)
	s_barrier
	buffer_gl0_inv
	; wave barrier
	s_barrier
	s_branch .LBB350_4
.LBB350_3:                              ;   in Loop: Header=BB350_4 Depth=2
	s_barrier
	buffer_gl0_inv
	ds_store_b64 v43, v[16:17]
	ds_store_b64 v44, v[20:21]
	;; [unrolled: 1-line block ×8, first 2 shown]
	s_waitcnt lgkmcnt(0)
	s_barrier
	buffer_gl0_inv
	ds_load_2addr_b64 v[0:3], v35 offset1:32
	ds_load_2addr_b64 v[4:7], v35 offset0:64 offset1:96
	ds_load_2addr_b64 v[8:11], v35 offset0:128 offset1:160
	;; [unrolled: 1-line block ×3, first 2 shown]
	s_add_i32 s25, s25, -8
	s_add_i32 s24, s24, 8
	s_add_i32 s26, s26, 8
	s_waitcnt lgkmcnt(0)
	s_barrier
	s_cbranch_execz .LBB350_1
.LBB350_4:                              ;   Parent Loop BB350_2 Depth=1
                                        ; =>  This Inner Loop Header: Depth=2
	s_min_i32 s13, s24, 32
	s_cmp_lt_u32 s26, 32
	v_dual_mov_b32 v17, v1 :: v_dual_mov_b32 v16, v0
	s_cselect_b32 vcc_lo, -1, 0
	s_cmp_gt_u32 s26, 24
	buffer_gl0_inv
	s_cselect_b32 s12, -1, 0
	s_sub_i32 s13, s13, 32
	v_lshrrev_b32_e32 v1, s26, v17
	s_add_i32 s14, s13, s25
	v_mov_b32_e32 v27, v7
	s_lshl_b32 s14, -1, s14
	v_mov_b32_e32 v26, v6
	s_not_b32 s14, s14
	s_cmp_lg_u32 s13, s26
	v_mov_b32_e32 v31, v13
	s_cselect_b32 s27, s14, -1
	s_max_i32 s28, s25, 0
	s_max_i32 s13, s26, 32
	v_and_b32_e32 v1, s27, v1
	s_sub_i32 s14, s13, s28
	s_sub_i32 s29, s13, 32
	;; [unrolled: 1-line block ×3, first 2 shown]
	v_lshrrev_b32_e32 v0, s29, v16
	s_min_i32 s13, s14, 32
	v_cndmask_b32_e32 v1, 0, v1, vcc_lo
	s_sub_i32 s13, s13, s29
	v_mov_b32_e32 v30, v12
	s_lshl_b32 s14, -1, s13
	v_mov_b32_e32 v29, v15
	s_not_b32 s14, s14
	s_cmp_lg_u32 s13, 32
	v_mov_b32_e32 v28, v14
	s_cselect_b32 s30, s14, -1
	s_delay_alu instid0(SALU_CYCLE_1) | instskip(NEXT) | instid1(VALU_DEP_1)
	v_and_b32_e32 v0, s30, v0
	v_lshlrev_b32_e32 v0, s28, v0
	s_delay_alu instid0(VALU_DEP_1) | instskip(NEXT) | instid1(VALU_DEP_1)
	v_cndmask_b32_e64 v0, 0, v0, s12
	v_or_b32_e32 v43, v1, v0
	s_delay_alu instid0(VALU_DEP_1)
	v_and_b32_e32 v0, 1, v43
	v_lshlrev_b32_e32 v1, 30, v43
	v_lshlrev_b32_e32 v18, 29, v43
	v_lshlrev_b32_e32 v19, 28, v43
	v_lshlrev_b32_e32 v21, 27, v43
	v_add_co_u32 v0, s13, v0, -1
	s_delay_alu instid0(VALU_DEP_1)
	v_cndmask_b32_e64 v20, 0, 1, s13
	v_not_b32_e32 v24, v1
	v_cmp_gt_i32_e64 s14, 0, v1
	v_not_b32_e32 v1, v18
	v_lshlrev_b32_e32 v22, 26, v43
	v_cmp_ne_u32_e64 s13, 0, v20
	v_ashrrev_i32_e32 v24, 31, v24
	v_lshlrev_b32_e32 v23, 25, v43
	v_ashrrev_i32_e32 v1, 31, v1
	v_lshlrev_b32_e32 v20, 24, v43
	v_xor_b32_e32 v0, s13, v0
	v_xor_b32_e32 v24, s14, v24
	v_cmp_gt_i32_e64 s13, 0, v18
	v_not_b32_e32 v18, v19
	v_cmp_gt_i32_e64 s14, 0, v19
	v_and_b32_e32 v0, exec_lo, v0
	s_delay_alu instid0(VALU_DEP_4) | instskip(NEXT) | instid1(VALU_DEP_4)
	v_xor_b32_e32 v1, s13, v1
	v_ashrrev_i32_e32 v18, 31, v18
	s_delay_alu instid0(VALU_DEP_3)
	v_dual_mov_b32 v25, v9 :: v_dual_and_b32 v0, v0, v24
	v_mov_b32_e32 v24, v8
	v_not_b32_e32 v19, v21
	v_cmp_gt_i32_e64 s13, 0, v21
	v_not_b32_e32 v21, v22
	v_xor_b32_e32 v18, s14, v18
	v_and_b32_e32 v0, v0, v1
	v_ashrrev_i32_e32 v19, 31, v19
	v_cmp_gt_i32_e64 s14, 0, v22
	v_not_b32_e32 v1, v23
	v_ashrrev_i32_e32 v21, 31, v21
	v_and_b32_e32 v0, v0, v18
	v_xor_b32_e32 v19, s13, v19
	v_cmp_gt_i32_e64 s13, 0, v23
	v_not_b32_e32 v18, v20
	v_ashrrev_i32_e32 v1, 31, v1
	v_xor_b32_e32 v21, s14, v21
	v_and_b32_e32 v0, v0, v19
	v_cmp_gt_i32_e64 s14, 0, v20
	v_ashrrev_i32_e32 v22, 31, v18
	v_xor_b32_e32 v1, s13, v1
	s_delay_alu instid0(VALU_DEP_4) | instskip(SKIP_1) | instid1(VALU_DEP_4)
	v_dual_mov_b32 v19, v5 :: v_dual_and_b32 v0, v0, v21
	v_dual_mov_b32 v21, v3 :: v_dual_mov_b32 v20, v2
	v_xor_b32_e32 v3, s14, v22
	v_mov_b32_e32 v18, v4
	s_delay_alu instid0(VALU_DEP_4) | instskip(SKIP_2) | instid1(VALU_DEP_3)
	v_dual_mov_b32 v1, s20 :: v_dual_and_b32 v0, v0, v1
	v_dual_mov_b32 v2, s21 :: v_dual_mov_b32 v23, v11
	v_mov_b32_e32 v22, v10
	v_dual_mov_b32 v3, s16 :: v_dual_and_b32 v0, v0, v3
	v_mov_b32_e32 v4, s17
	ds_store_2addr_b64 v33, v[1:2], v[3:4] offset0:2 offset1:3
	ds_store_2addr_b64 v36, v[1:2], v[3:4] offset0:2 offset1:3
	v_mbcnt_lo_u32_b32 v9, v0, 0
	v_lshl_add_u32 v1, v43, 2, v37
	v_cmp_ne_u32_e64 s14, 0, v0
	s_waitcnt lgkmcnt(0)
	s_barrier
	v_cmp_eq_u32_e64 s13, 0, v9
	v_lshl_add_u32 v8, v1, 2, 16
	buffer_gl0_inv
	; wave barrier
	s_and_b32 s14, s13, s14
	s_delay_alu instid0(SALU_CYCLE_1)
	s_and_saveexec_b32 s13, s14
	s_cbranch_execz .LBB350_6
; %bb.5:                                ;   in Loop: Header=BB350_4 Depth=2
	v_bcnt_u32_b32 v0, v0, 0
	ds_store_b32 v8, v0
.LBB350_6:                              ;   in Loop: Header=BB350_4 Depth=2
	s_or_b32 exec_lo, exec_lo, s13
	v_lshrrev_b32_e32 v0, s29, v20
	v_lshrrev_b32_e32 v1, s26, v21
	; wave barrier
	s_delay_alu instid0(VALU_DEP_1) | instskip(NEXT) | instid1(VALU_DEP_1)
	v_and_b32_e32 v1, s27, v1
	v_dual_cndmask_b32 v1, 0, v1 :: v_dual_and_b32 v0, s30, v0
	s_delay_alu instid0(VALU_DEP_1) | instskip(NEXT) | instid1(VALU_DEP_1)
	v_lshlrev_b32_e32 v0, s28, v0
	v_cndmask_b32_e64 v0, 0, v0, s12
	s_delay_alu instid0(VALU_DEP_1) | instskip(NEXT) | instid1(VALU_DEP_1)
	v_or_b32_e32 v0, v1, v0
	v_and_b32_e32 v1, 1, v0
	v_lshlrev_b32_e32 v2, 30, v0
	v_lshlrev_b32_e32 v3, 29, v0
	;; [unrolled: 1-line block ×4, first 2 shown]
	v_add_co_u32 v1, s13, v1, -1
	s_delay_alu instid0(VALU_DEP_1)
	v_cndmask_b32_e64 v5, 0, 1, s13
	v_not_b32_e32 v11, v2
	v_cmp_gt_i32_e64 s14, 0, v2
	v_not_b32_e32 v2, v3
	v_lshlrev_b32_e32 v7, 26, v0
	v_cmp_ne_u32_e64 s13, 0, v5
	v_ashrrev_i32_e32 v11, 31, v11
	v_lshlrev_b32_e32 v10, 25, v0
	v_ashrrev_i32_e32 v2, 31, v2
	v_lshlrev_b32_e32 v5, 24, v0
	v_xor_b32_e32 v1, s13, v1
	v_cmp_gt_i32_e64 s13, 0, v3
	v_not_b32_e32 v3, v4
	v_xor_b32_e32 v11, s14, v11
	v_cmp_gt_i32_e64 s14, 0, v4
	v_and_b32_e32 v1, exec_lo, v1
	v_not_b32_e32 v4, v6
	v_ashrrev_i32_e32 v3, 31, v3
	v_xor_b32_e32 v2, s13, v2
	v_cmp_gt_i32_e64 s13, 0, v6
	v_and_b32_e32 v1, v1, v11
	v_not_b32_e32 v6, v7
	v_ashrrev_i32_e32 v4, 31, v4
	v_xor_b32_e32 v3, s14, v3
	v_cmp_gt_i32_e64 s14, 0, v7
	v_and_b32_e32 v1, v1, v2
	v_not_b32_e32 v2, v10
	v_ashrrev_i32_e32 v6, 31, v6
	v_xor_b32_e32 v4, s13, v4
	v_cmp_gt_i32_e64 s13, 0, v10
	v_and_b32_e32 v1, v1, v3
	v_not_b32_e32 v3, v5
	v_ashrrev_i32_e32 v2, 31, v2
	v_xor_b32_e32 v6, s14, v6
	v_lshlrev_b32_e32 v0, 2, v0
	v_and_b32_e32 v1, v1, v4
	v_cmp_gt_i32_e64 s14, 0, v5
	v_ashrrev_i32_e32 v3, 31, v3
	v_xor_b32_e32 v2, s13, v2
	v_add_lshl_u32 v4, v0, v37, 2
	v_and_b32_e32 v1, v1, v6
	s_delay_alu instid0(VALU_DEP_4) | instskip(SKIP_3) | instid1(VALU_DEP_2)
	v_xor_b32_e32 v0, s14, v3
	ds_load_b32 v10, v4 offset:16
	v_and_b32_e32 v1, v1, v2
	v_add_nc_u32_e32 v11, 16, v4
	; wave barrier
	v_and_b32_e32 v0, v1, v0
	s_delay_alu instid0(VALU_DEP_1) | instskip(SKIP_1) | instid1(VALU_DEP_2)
	v_mbcnt_lo_u32_b32 v12, v0, 0
	v_cmp_ne_u32_e64 s14, 0, v0
	v_cmp_eq_u32_e64 s13, 0, v12
	s_delay_alu instid0(VALU_DEP_1) | instskip(NEXT) | instid1(SALU_CYCLE_1)
	s_and_b32 s14, s13, s14
	s_and_saveexec_b32 s13, s14
	s_cbranch_execz .LBB350_8
; %bb.7:                                ;   in Loop: Header=BB350_4 Depth=2
	s_waitcnt lgkmcnt(0)
	v_bcnt_u32_b32 v0, v0, v10
	ds_store_b32 v11, v0
.LBB350_8:                              ;   in Loop: Header=BB350_4 Depth=2
	s_or_b32 exec_lo, exec_lo, s13
	v_lshrrev_b32_e32 v0, s29, v18
	v_lshrrev_b32_e32 v1, s26, v19
	; wave barrier
	s_delay_alu instid0(VALU_DEP_1) | instskip(NEXT) | instid1(VALU_DEP_1)
	v_and_b32_e32 v1, s27, v1
	v_dual_cndmask_b32 v1, 0, v1 :: v_dual_and_b32 v0, s30, v0
	s_delay_alu instid0(VALU_DEP_1) | instskip(NEXT) | instid1(VALU_DEP_1)
	v_lshlrev_b32_e32 v0, s28, v0
	v_cndmask_b32_e64 v0, 0, v0, s12
	s_delay_alu instid0(VALU_DEP_1) | instskip(NEXT) | instid1(VALU_DEP_1)
	v_or_b32_e32 v0, v1, v0
	v_and_b32_e32 v1, 1, v0
	v_lshlrev_b32_e32 v2, 30, v0
	v_lshlrev_b32_e32 v3, 29, v0
	;; [unrolled: 1-line block ×4, first 2 shown]
	v_add_co_u32 v1, s13, v1, -1
	s_delay_alu instid0(VALU_DEP_1)
	v_cndmask_b32_e64 v5, 0, 1, s13
	v_not_b32_e32 v14, v2
	v_cmp_gt_i32_e64 s14, 0, v2
	v_not_b32_e32 v2, v3
	v_lshlrev_b32_e32 v7, 26, v0
	v_cmp_ne_u32_e64 s13, 0, v5
	v_ashrrev_i32_e32 v14, 31, v14
	v_lshlrev_b32_e32 v13, 25, v0
	v_ashrrev_i32_e32 v2, 31, v2
	v_lshlrev_b32_e32 v5, 24, v0
	v_xor_b32_e32 v1, s13, v1
	v_cmp_gt_i32_e64 s13, 0, v3
	v_not_b32_e32 v3, v4
	v_xor_b32_e32 v14, s14, v14
	v_cmp_gt_i32_e64 s14, 0, v4
	v_and_b32_e32 v1, exec_lo, v1
	v_not_b32_e32 v4, v6
	v_ashrrev_i32_e32 v3, 31, v3
	v_xor_b32_e32 v2, s13, v2
	v_cmp_gt_i32_e64 s13, 0, v6
	v_and_b32_e32 v1, v1, v14
	v_not_b32_e32 v6, v7
	v_ashrrev_i32_e32 v4, 31, v4
	v_xor_b32_e32 v3, s14, v3
	v_cmp_gt_i32_e64 s14, 0, v7
	v_and_b32_e32 v1, v1, v2
	v_not_b32_e32 v2, v13
	v_ashrrev_i32_e32 v6, 31, v6
	v_xor_b32_e32 v4, s13, v4
	v_cmp_gt_i32_e64 s13, 0, v13
	v_and_b32_e32 v1, v1, v3
	v_not_b32_e32 v3, v5
	v_ashrrev_i32_e32 v2, 31, v2
	v_xor_b32_e32 v6, s14, v6
	v_lshlrev_b32_e32 v0, 2, v0
	v_and_b32_e32 v1, v1, v4
	v_cmp_gt_i32_e64 s14, 0, v5
	v_ashrrev_i32_e32 v3, 31, v3
	v_xor_b32_e32 v2, s13, v2
	v_add_lshl_u32 v4, v0, v37, 2
	v_and_b32_e32 v1, v1, v6
	s_delay_alu instid0(VALU_DEP_4) | instskip(SKIP_3) | instid1(VALU_DEP_2)
	v_xor_b32_e32 v0, s14, v3
	ds_load_b32 v13, v4 offset:16
	v_and_b32_e32 v1, v1, v2
	v_add_nc_u32_e32 v15, 16, v4
	; wave barrier
	v_and_b32_e32 v0, v1, v0
	s_delay_alu instid0(VALU_DEP_1) | instskip(SKIP_1) | instid1(VALU_DEP_2)
	v_mbcnt_lo_u32_b32 v14, v0, 0
	v_cmp_ne_u32_e64 s14, 0, v0
	v_cmp_eq_u32_e64 s13, 0, v14
	s_delay_alu instid0(VALU_DEP_1) | instskip(NEXT) | instid1(SALU_CYCLE_1)
	s_and_b32 s14, s13, s14
	s_and_saveexec_b32 s13, s14
	s_cbranch_execz .LBB350_10
; %bb.9:                                ;   in Loop: Header=BB350_4 Depth=2
	s_waitcnt lgkmcnt(0)
	v_bcnt_u32_b32 v0, v0, v13
	ds_store_b32 v15, v0
.LBB350_10:                             ;   in Loop: Header=BB350_4 Depth=2
	s_or_b32 exec_lo, exec_lo, s13
	v_lshrrev_b32_e32 v0, s29, v26
	v_lshrrev_b32_e32 v1, s26, v27
	; wave barrier
	s_delay_alu instid0(VALU_DEP_1) | instskip(NEXT) | instid1(VALU_DEP_1)
	v_and_b32_e32 v1, s27, v1
	v_dual_cndmask_b32 v1, 0, v1 :: v_dual_and_b32 v0, s30, v0
	s_delay_alu instid0(VALU_DEP_1) | instskip(NEXT) | instid1(VALU_DEP_1)
	v_lshlrev_b32_e32 v0, s28, v0
	v_cndmask_b32_e64 v0, 0, v0, s12
	s_delay_alu instid0(VALU_DEP_1) | instskip(NEXT) | instid1(VALU_DEP_1)
	v_or_b32_e32 v0, v1, v0
	v_and_b32_e32 v1, 1, v0
	v_lshlrev_b32_e32 v2, 30, v0
	v_lshlrev_b32_e32 v3, 29, v0
	;; [unrolled: 1-line block ×4, first 2 shown]
	v_add_co_u32 v1, s13, v1, -1
	s_delay_alu instid0(VALU_DEP_1)
	v_cndmask_b32_e64 v5, 0, 1, s13
	v_not_b32_e32 v44, v2
	v_cmp_gt_i32_e64 s14, 0, v2
	v_not_b32_e32 v2, v3
	v_lshlrev_b32_e32 v7, 26, v0
	v_cmp_ne_u32_e64 s13, 0, v5
	v_ashrrev_i32_e32 v44, 31, v44
	v_lshlrev_b32_e32 v43, 25, v0
	v_ashrrev_i32_e32 v2, 31, v2
	v_lshlrev_b32_e32 v5, 24, v0
	v_xor_b32_e32 v1, s13, v1
	v_cmp_gt_i32_e64 s13, 0, v3
	v_not_b32_e32 v3, v4
	v_xor_b32_e32 v44, s14, v44
	v_cmp_gt_i32_e64 s14, 0, v4
	v_and_b32_e32 v1, exec_lo, v1
	v_not_b32_e32 v4, v6
	v_ashrrev_i32_e32 v3, 31, v3
	v_xor_b32_e32 v2, s13, v2
	v_cmp_gt_i32_e64 s13, 0, v6
	v_and_b32_e32 v1, v1, v44
	v_not_b32_e32 v6, v7
	v_ashrrev_i32_e32 v4, 31, v4
	v_xor_b32_e32 v3, s14, v3
	v_cmp_gt_i32_e64 s14, 0, v7
	v_and_b32_e32 v1, v1, v2
	;; [unrolled: 5-line block ×3, first 2 shown]
	v_not_b32_e32 v3, v5
	v_ashrrev_i32_e32 v2, 31, v2
	v_xor_b32_e32 v6, s14, v6
	v_lshlrev_b32_e32 v0, 2, v0
	v_and_b32_e32 v1, v1, v4
	v_cmp_gt_i32_e64 s14, 0, v5
	v_ashrrev_i32_e32 v3, 31, v3
	v_xor_b32_e32 v2, s13, v2
	v_add_lshl_u32 v4, v0, v37, 2
	v_and_b32_e32 v1, v1, v6
	s_delay_alu instid0(VALU_DEP_4) | instskip(SKIP_3) | instid1(VALU_DEP_2)
	v_xor_b32_e32 v0, s14, v3
	ds_load_b32 v43, v4 offset:16
	v_and_b32_e32 v1, v1, v2
	v_add_nc_u32_e32 v45, 16, v4
	; wave barrier
	v_and_b32_e32 v0, v1, v0
	s_delay_alu instid0(VALU_DEP_1) | instskip(SKIP_1) | instid1(VALU_DEP_2)
	v_mbcnt_lo_u32_b32 v44, v0, 0
	v_cmp_ne_u32_e64 s14, 0, v0
	v_cmp_eq_u32_e64 s13, 0, v44
	s_delay_alu instid0(VALU_DEP_1) | instskip(NEXT) | instid1(SALU_CYCLE_1)
	s_and_b32 s14, s13, s14
	s_and_saveexec_b32 s13, s14
	s_cbranch_execz .LBB350_12
; %bb.11:                               ;   in Loop: Header=BB350_4 Depth=2
	s_waitcnt lgkmcnt(0)
	v_bcnt_u32_b32 v0, v0, v43
	ds_store_b32 v45, v0
.LBB350_12:                             ;   in Loop: Header=BB350_4 Depth=2
	s_or_b32 exec_lo, exec_lo, s13
	v_lshrrev_b32_e32 v0, s29, v24
	v_lshrrev_b32_e32 v1, s26, v25
	; wave barrier
	s_delay_alu instid0(VALU_DEP_1) | instskip(NEXT) | instid1(VALU_DEP_1)
	v_and_b32_e32 v1, s27, v1
	v_dual_cndmask_b32 v1, 0, v1 :: v_dual_and_b32 v0, s30, v0
	s_delay_alu instid0(VALU_DEP_1) | instskip(NEXT) | instid1(VALU_DEP_1)
	v_lshlrev_b32_e32 v0, s28, v0
	v_cndmask_b32_e64 v0, 0, v0, s12
	s_delay_alu instid0(VALU_DEP_1) | instskip(NEXT) | instid1(VALU_DEP_1)
	v_or_b32_e32 v0, v1, v0
	v_and_b32_e32 v1, 1, v0
	v_lshlrev_b32_e32 v2, 30, v0
	v_lshlrev_b32_e32 v3, 29, v0
	v_lshlrev_b32_e32 v4, 28, v0
	v_lshlrev_b32_e32 v6, 27, v0
	v_add_co_u32 v1, s13, v1, -1
	s_delay_alu instid0(VALU_DEP_1)
	v_cndmask_b32_e64 v5, 0, 1, s13
	v_not_b32_e32 v47, v2
	v_cmp_gt_i32_e64 s14, 0, v2
	v_not_b32_e32 v2, v3
	v_lshlrev_b32_e32 v7, 26, v0
	v_cmp_ne_u32_e64 s13, 0, v5
	v_ashrrev_i32_e32 v47, 31, v47
	v_lshlrev_b32_e32 v46, 25, v0
	v_ashrrev_i32_e32 v2, 31, v2
	v_lshlrev_b32_e32 v5, 24, v0
	v_xor_b32_e32 v1, s13, v1
	v_cmp_gt_i32_e64 s13, 0, v3
	v_not_b32_e32 v3, v4
	v_xor_b32_e32 v47, s14, v47
	v_cmp_gt_i32_e64 s14, 0, v4
	v_and_b32_e32 v1, exec_lo, v1
	v_not_b32_e32 v4, v6
	v_ashrrev_i32_e32 v3, 31, v3
	v_xor_b32_e32 v2, s13, v2
	v_cmp_gt_i32_e64 s13, 0, v6
	v_and_b32_e32 v1, v1, v47
	v_not_b32_e32 v6, v7
	v_ashrrev_i32_e32 v4, 31, v4
	v_xor_b32_e32 v3, s14, v3
	v_cmp_gt_i32_e64 s14, 0, v7
	v_and_b32_e32 v1, v1, v2
	;; [unrolled: 5-line block ×3, first 2 shown]
	v_not_b32_e32 v3, v5
	v_ashrrev_i32_e32 v2, 31, v2
	v_xor_b32_e32 v6, s14, v6
	v_lshlrev_b32_e32 v0, 2, v0
	v_and_b32_e32 v1, v1, v4
	v_cmp_gt_i32_e64 s14, 0, v5
	v_ashrrev_i32_e32 v3, 31, v3
	v_xor_b32_e32 v2, s13, v2
	v_add_lshl_u32 v4, v0, v37, 2
	v_and_b32_e32 v1, v1, v6
	s_delay_alu instid0(VALU_DEP_4) | instskip(SKIP_3) | instid1(VALU_DEP_2)
	v_xor_b32_e32 v0, s14, v3
	ds_load_b32 v46, v4 offset:16
	v_and_b32_e32 v1, v1, v2
	v_add_nc_u32_e32 v48, 16, v4
	; wave barrier
	v_and_b32_e32 v0, v1, v0
	s_delay_alu instid0(VALU_DEP_1) | instskip(SKIP_1) | instid1(VALU_DEP_2)
	v_mbcnt_lo_u32_b32 v47, v0, 0
	v_cmp_ne_u32_e64 s14, 0, v0
	v_cmp_eq_u32_e64 s13, 0, v47
	s_delay_alu instid0(VALU_DEP_1) | instskip(NEXT) | instid1(SALU_CYCLE_1)
	s_and_b32 s14, s13, s14
	s_and_saveexec_b32 s13, s14
	s_cbranch_execz .LBB350_14
; %bb.13:                               ;   in Loop: Header=BB350_4 Depth=2
	s_waitcnt lgkmcnt(0)
	v_bcnt_u32_b32 v0, v0, v46
	ds_store_b32 v48, v0
.LBB350_14:                             ;   in Loop: Header=BB350_4 Depth=2
	s_or_b32 exec_lo, exec_lo, s13
	v_lshrrev_b32_e32 v0, s29, v22
	v_lshrrev_b32_e32 v1, s26, v23
	; wave barrier
	s_delay_alu instid0(VALU_DEP_1) | instskip(NEXT) | instid1(VALU_DEP_1)
	v_and_b32_e32 v1, s27, v1
	v_dual_cndmask_b32 v1, 0, v1 :: v_dual_and_b32 v0, s30, v0
	s_delay_alu instid0(VALU_DEP_1) | instskip(NEXT) | instid1(VALU_DEP_1)
	v_lshlrev_b32_e32 v0, s28, v0
	v_cndmask_b32_e64 v0, 0, v0, s12
	s_delay_alu instid0(VALU_DEP_1) | instskip(NEXT) | instid1(VALU_DEP_1)
	v_or_b32_e32 v0, v1, v0
	v_and_b32_e32 v1, 1, v0
	v_lshlrev_b32_e32 v2, 30, v0
	v_lshlrev_b32_e32 v3, 29, v0
	;; [unrolled: 1-line block ×4, first 2 shown]
	v_add_co_u32 v1, s13, v1, -1
	s_delay_alu instid0(VALU_DEP_1)
	v_cndmask_b32_e64 v5, 0, 1, s13
	v_not_b32_e32 v50, v2
	v_cmp_gt_i32_e64 s14, 0, v2
	v_not_b32_e32 v2, v3
	v_lshlrev_b32_e32 v7, 26, v0
	v_cmp_ne_u32_e64 s13, 0, v5
	v_ashrrev_i32_e32 v50, 31, v50
	v_lshlrev_b32_e32 v49, 25, v0
	v_ashrrev_i32_e32 v2, 31, v2
	v_lshlrev_b32_e32 v5, 24, v0
	v_xor_b32_e32 v1, s13, v1
	v_cmp_gt_i32_e64 s13, 0, v3
	v_not_b32_e32 v3, v4
	v_xor_b32_e32 v50, s14, v50
	v_cmp_gt_i32_e64 s14, 0, v4
	v_and_b32_e32 v1, exec_lo, v1
	v_not_b32_e32 v4, v6
	v_ashrrev_i32_e32 v3, 31, v3
	v_xor_b32_e32 v2, s13, v2
	v_cmp_gt_i32_e64 s13, 0, v6
	v_and_b32_e32 v1, v1, v50
	v_not_b32_e32 v6, v7
	v_ashrrev_i32_e32 v4, 31, v4
	v_xor_b32_e32 v3, s14, v3
	v_cmp_gt_i32_e64 s14, 0, v7
	v_and_b32_e32 v1, v1, v2
	;; [unrolled: 5-line block ×3, first 2 shown]
	v_not_b32_e32 v3, v5
	v_ashrrev_i32_e32 v2, 31, v2
	v_xor_b32_e32 v6, s14, v6
	v_lshlrev_b32_e32 v0, 2, v0
	v_and_b32_e32 v1, v1, v4
	v_cmp_gt_i32_e64 s14, 0, v5
	v_ashrrev_i32_e32 v3, 31, v3
	v_xor_b32_e32 v2, s13, v2
	v_add_lshl_u32 v4, v0, v37, 2
	v_and_b32_e32 v1, v1, v6
	s_delay_alu instid0(VALU_DEP_4) | instskip(SKIP_3) | instid1(VALU_DEP_2)
	v_xor_b32_e32 v0, s14, v3
	ds_load_b32 v49, v4 offset:16
	v_and_b32_e32 v1, v1, v2
	v_add_nc_u32_e32 v51, 16, v4
	; wave barrier
	v_and_b32_e32 v0, v1, v0
	s_delay_alu instid0(VALU_DEP_1) | instskip(SKIP_1) | instid1(VALU_DEP_2)
	v_mbcnt_lo_u32_b32 v50, v0, 0
	v_cmp_ne_u32_e64 s14, 0, v0
	v_cmp_eq_u32_e64 s13, 0, v50
	s_delay_alu instid0(VALU_DEP_1) | instskip(NEXT) | instid1(SALU_CYCLE_1)
	s_and_b32 s14, s13, s14
	s_and_saveexec_b32 s13, s14
	s_cbranch_execz .LBB350_16
; %bb.15:                               ;   in Loop: Header=BB350_4 Depth=2
	s_waitcnt lgkmcnt(0)
	v_bcnt_u32_b32 v0, v0, v49
	ds_store_b32 v51, v0
.LBB350_16:                             ;   in Loop: Header=BB350_4 Depth=2
	s_or_b32 exec_lo, exec_lo, s13
	v_lshrrev_b32_e32 v0, s29, v30
	v_lshrrev_b32_e32 v1, s26, v31
	; wave barrier
	s_delay_alu instid0(VALU_DEP_1) | instskip(NEXT) | instid1(VALU_DEP_1)
	v_and_b32_e32 v1, s27, v1
	v_dual_cndmask_b32 v1, 0, v1 :: v_dual_and_b32 v0, s30, v0
	s_delay_alu instid0(VALU_DEP_1) | instskip(NEXT) | instid1(VALU_DEP_1)
	v_lshlrev_b32_e32 v0, s28, v0
	v_cndmask_b32_e64 v0, 0, v0, s12
	s_delay_alu instid0(VALU_DEP_1) | instskip(NEXT) | instid1(VALU_DEP_1)
	v_or_b32_e32 v0, v1, v0
	v_and_b32_e32 v1, 1, v0
	v_lshlrev_b32_e32 v2, 30, v0
	v_lshlrev_b32_e32 v3, 29, v0
	;; [unrolled: 1-line block ×4, first 2 shown]
	v_add_co_u32 v1, s13, v1, -1
	s_delay_alu instid0(VALU_DEP_1)
	v_cndmask_b32_e64 v5, 0, 1, s13
	v_not_b32_e32 v53, v2
	v_cmp_gt_i32_e64 s14, 0, v2
	v_not_b32_e32 v2, v3
	v_lshlrev_b32_e32 v7, 26, v0
	v_cmp_ne_u32_e64 s13, 0, v5
	v_ashrrev_i32_e32 v53, 31, v53
	v_lshlrev_b32_e32 v52, 25, v0
	v_ashrrev_i32_e32 v2, 31, v2
	v_lshlrev_b32_e32 v5, 24, v0
	v_xor_b32_e32 v1, s13, v1
	v_cmp_gt_i32_e64 s13, 0, v3
	v_not_b32_e32 v3, v4
	v_xor_b32_e32 v53, s14, v53
	v_cmp_gt_i32_e64 s14, 0, v4
	v_and_b32_e32 v1, exec_lo, v1
	v_not_b32_e32 v4, v6
	v_ashrrev_i32_e32 v3, 31, v3
	v_xor_b32_e32 v2, s13, v2
	v_cmp_gt_i32_e64 s13, 0, v6
	v_and_b32_e32 v1, v1, v53
	v_not_b32_e32 v6, v7
	v_ashrrev_i32_e32 v4, 31, v4
	v_xor_b32_e32 v3, s14, v3
	v_cmp_gt_i32_e64 s14, 0, v7
	v_and_b32_e32 v1, v1, v2
	;; [unrolled: 5-line block ×3, first 2 shown]
	v_not_b32_e32 v3, v5
	v_ashrrev_i32_e32 v2, 31, v2
	v_xor_b32_e32 v6, s14, v6
	v_lshlrev_b32_e32 v0, 2, v0
	v_and_b32_e32 v1, v1, v4
	v_cmp_gt_i32_e64 s14, 0, v5
	v_ashrrev_i32_e32 v3, 31, v3
	v_xor_b32_e32 v2, s13, v2
	v_add_lshl_u32 v4, v0, v37, 2
	v_and_b32_e32 v1, v1, v6
	s_delay_alu instid0(VALU_DEP_4) | instskip(SKIP_3) | instid1(VALU_DEP_2)
	v_xor_b32_e32 v0, s14, v3
	ds_load_b32 v52, v4 offset:16
	v_and_b32_e32 v1, v1, v2
	v_add_nc_u32_e32 v54, 16, v4
	; wave barrier
	v_and_b32_e32 v0, v1, v0
	s_delay_alu instid0(VALU_DEP_1) | instskip(SKIP_1) | instid1(VALU_DEP_2)
	v_mbcnt_lo_u32_b32 v53, v0, 0
	v_cmp_ne_u32_e64 s14, 0, v0
	v_cmp_eq_u32_e64 s13, 0, v53
	s_delay_alu instid0(VALU_DEP_1) | instskip(NEXT) | instid1(SALU_CYCLE_1)
	s_and_b32 s14, s13, s14
	s_and_saveexec_b32 s13, s14
	s_cbranch_execz .LBB350_18
; %bb.17:                               ;   in Loop: Header=BB350_4 Depth=2
	s_waitcnt lgkmcnt(0)
	v_bcnt_u32_b32 v0, v0, v52
	ds_store_b32 v54, v0
.LBB350_18:                             ;   in Loop: Header=BB350_4 Depth=2
	s_or_b32 exec_lo, exec_lo, s13
	v_lshrrev_b32_e32 v0, s29, v28
	v_lshrrev_b32_e32 v1, s26, v29
	; wave barrier
	s_delay_alu instid0(VALU_DEP_1) | instskip(NEXT) | instid1(VALU_DEP_1)
	v_and_b32_e32 v1, s27, v1
	v_dual_cndmask_b32 v1, 0, v1 :: v_dual_and_b32 v0, s30, v0
	s_delay_alu instid0(VALU_DEP_1) | instskip(NEXT) | instid1(VALU_DEP_1)
	v_lshlrev_b32_e32 v0, s28, v0
	v_cndmask_b32_e64 v0, 0, v0, s12
	s_delay_alu instid0(VALU_DEP_1) | instskip(NEXT) | instid1(VALU_DEP_1)
	v_or_b32_e32 v0, v1, v0
	v_and_b32_e32 v1, 1, v0
	v_lshlrev_b32_e32 v2, 30, v0
	v_lshlrev_b32_e32 v3, 29, v0
	;; [unrolled: 1-line block ×4, first 2 shown]
	v_add_co_u32 v1, s12, v1, -1
	s_delay_alu instid0(VALU_DEP_1)
	v_cndmask_b32_e64 v5, 0, 1, s12
	v_not_b32_e32 v56, v2
	v_cmp_gt_i32_e64 s12, 0, v2
	v_not_b32_e32 v2, v3
	v_lshlrev_b32_e32 v7, 26, v0
	v_cmp_ne_u32_e32 vcc_lo, 0, v5
	v_ashrrev_i32_e32 v56, 31, v56
	v_lshlrev_b32_e32 v55, 25, v0
	v_ashrrev_i32_e32 v2, 31, v2
	v_lshlrev_b32_e32 v5, 24, v0
	v_xor_b32_e32 v1, vcc_lo, v1
	v_cmp_gt_i32_e32 vcc_lo, 0, v3
	v_not_b32_e32 v3, v4
	v_xor_b32_e32 v56, s12, v56
	v_cmp_gt_i32_e64 s12, 0, v4
	v_and_b32_e32 v1, exec_lo, v1
	v_not_b32_e32 v4, v6
	v_ashrrev_i32_e32 v3, 31, v3
	v_xor_b32_e32 v2, vcc_lo, v2
	v_cmp_gt_i32_e32 vcc_lo, 0, v6
	v_and_b32_e32 v1, v1, v56
	v_not_b32_e32 v6, v7
	v_ashrrev_i32_e32 v4, 31, v4
	v_xor_b32_e32 v3, s12, v3
	v_cmp_gt_i32_e64 s12, 0, v7
	v_and_b32_e32 v1, v1, v2
	v_not_b32_e32 v2, v55
	v_ashrrev_i32_e32 v6, 31, v6
	v_xor_b32_e32 v4, vcc_lo, v4
	v_cmp_gt_i32_e32 vcc_lo, 0, v55
	v_and_b32_e32 v1, v1, v3
	v_not_b32_e32 v3, v5
	v_ashrrev_i32_e32 v2, 31, v2
	v_xor_b32_e32 v6, s12, v6
	v_lshlrev_b32_e32 v0, 2, v0
	v_and_b32_e32 v1, v1, v4
	v_cmp_gt_i32_e64 s12, 0, v5
	v_ashrrev_i32_e32 v3, 31, v3
	v_xor_b32_e32 v2, vcc_lo, v2
	v_add_lshl_u32 v4, v0, v37, 2
	v_and_b32_e32 v1, v1, v6
	s_delay_alu instid0(VALU_DEP_4) | instskip(SKIP_3) | instid1(VALU_DEP_2)
	v_xor_b32_e32 v0, s12, v3
	ds_load_b32 v55, v4 offset:16
	v_and_b32_e32 v1, v1, v2
	v_add_nc_u32_e32 v57, 16, v4
	; wave barrier
	v_and_b32_e32 v0, v1, v0
	s_delay_alu instid0(VALU_DEP_1) | instskip(SKIP_1) | instid1(VALU_DEP_2)
	v_mbcnt_lo_u32_b32 v56, v0, 0
	v_cmp_ne_u32_e64 s12, 0, v0
	v_cmp_eq_u32_e32 vcc_lo, 0, v56
	s_delay_alu instid0(VALU_DEP_2) | instskip(NEXT) | instid1(SALU_CYCLE_1)
	s_and_b32 s13, vcc_lo, s12
	s_and_saveexec_b32 s12, s13
	s_cbranch_execz .LBB350_20
; %bb.19:                               ;   in Loop: Header=BB350_4 Depth=2
	s_waitcnt lgkmcnt(0)
	v_bcnt_u32_b32 v0, v0, v55
	ds_store_b32 v57, v0
.LBB350_20:                             ;   in Loop: Header=BB350_4 Depth=2
	s_or_b32 exec_lo, exec_lo, s12
	; wave barrier
	s_waitcnt lgkmcnt(0)
	s_barrier
	buffer_gl0_inv
	ds_load_2addr_b64 v[4:7], v33 offset0:2 offset1:3
	ds_load_2addr_b64 v[0:3], v36 offset0:2 offset1:3
	s_waitcnt lgkmcnt(1)
	v_add_nc_u32_e32 v58, v5, v4
	s_delay_alu instid0(VALU_DEP_1) | instskip(SKIP_1) | instid1(VALU_DEP_1)
	v_add3_u32 v58, v58, v6, v7
	s_waitcnt lgkmcnt(0)
	v_add3_u32 v58, v58, v0, v1
	s_delay_alu instid0(VALU_DEP_1) | instskip(NEXT) | instid1(VALU_DEP_1)
	v_add3_u32 v3, v58, v2, v3
	v_mov_b32_dpp v58, v3 row_shr:1 row_mask:0xf bank_mask:0xf
	s_delay_alu instid0(VALU_DEP_1) | instskip(NEXT) | instid1(VALU_DEP_1)
	v_cndmask_b32_e64 v58, v58, 0, s0
	v_add_nc_u32_e32 v3, v58, v3
	s_delay_alu instid0(VALU_DEP_1) | instskip(NEXT) | instid1(VALU_DEP_1)
	v_mov_b32_dpp v58, v3 row_shr:2 row_mask:0xf bank_mask:0xf
	v_cndmask_b32_e64 v58, 0, v58, s1
	s_delay_alu instid0(VALU_DEP_1) | instskip(NEXT) | instid1(VALU_DEP_1)
	v_add_nc_u32_e32 v3, v3, v58
	v_mov_b32_dpp v58, v3 row_shr:4 row_mask:0xf bank_mask:0xf
	s_delay_alu instid0(VALU_DEP_1) | instskip(NEXT) | instid1(VALU_DEP_1)
	v_cndmask_b32_e64 v58, 0, v58, s2
	v_add_nc_u32_e32 v3, v3, v58
	s_delay_alu instid0(VALU_DEP_1) | instskip(NEXT) | instid1(VALU_DEP_1)
	v_mov_b32_dpp v58, v3 row_shr:8 row_mask:0xf bank_mask:0xf
	v_cndmask_b32_e64 v58, 0, v58, s3
	s_delay_alu instid0(VALU_DEP_1) | instskip(SKIP_3) | instid1(VALU_DEP_1)
	v_add_nc_u32_e32 v3, v3, v58
	ds_swizzle_b32 v58, v3 offset:swizzle(BROADCAST,32,15)
	s_waitcnt lgkmcnt(0)
	v_cndmask_b32_e64 v58, v58, 0, s4
	v_add_nc_u32_e32 v3, v3, v58
	s_and_saveexec_b32 s12, s5
	s_cbranch_execz .LBB350_22
; %bb.21:                               ;   in Loop: Header=BB350_4 Depth=2
	ds_store_b32 v39, v3
.LBB350_22:                             ;   in Loop: Header=BB350_4 Depth=2
	s_or_b32 exec_lo, exec_lo, s12
	s_waitcnt lgkmcnt(0)
	s_barrier
	buffer_gl0_inv
	s_and_saveexec_b32 s12, s6
	s_cbranch_execz .LBB350_24
; %bb.23:                               ;   in Loop: Header=BB350_4 Depth=2
	ds_load_b32 v58, v40
	s_waitcnt lgkmcnt(0)
	v_mov_b32_dpp v59, v58 row_shr:1 row_mask:0xf bank_mask:0xf
	s_delay_alu instid0(VALU_DEP_1) | instskip(NEXT) | instid1(VALU_DEP_1)
	v_cndmask_b32_e64 v59, v59, 0, s10
	v_add_nc_u32_e32 v58, v59, v58
	s_delay_alu instid0(VALU_DEP_1) | instskip(NEXT) | instid1(VALU_DEP_1)
	v_mov_b32_dpp v59, v58 row_shr:2 row_mask:0xf bank_mask:0xf
	v_cndmask_b32_e64 v59, 0, v59, s11
	s_delay_alu instid0(VALU_DEP_1)
	v_add_nc_u32_e32 v58, v58, v59
	ds_store_b32 v40, v58
.LBB350_24:                             ;   in Loop: Header=BB350_4 Depth=2
	s_or_b32 exec_lo, exec_lo, s12
	v_mov_b32_e32 v58, 0
	s_waitcnt lgkmcnt(0)
	s_barrier
	buffer_gl0_inv
	s_and_saveexec_b32 s12, s7
	s_cbranch_execz .LBB350_26
; %bb.25:                               ;   in Loop: Header=BB350_4 Depth=2
	ds_load_b32 v58, v41
.LBB350_26:                             ;   in Loop: Header=BB350_4 Depth=2
	s_or_b32 exec_lo, exec_lo, s12
	s_waitcnt lgkmcnt(0)
	v_add_nc_u32_e32 v3, v58, v3
	v_lshlrev_b32_e32 v49, 3, v49
	s_cmp_gt_u32 s26, 55
	ds_bpermute_b32 v3, v38, v3
	s_waitcnt lgkmcnt(0)
	v_cndmask_b32_e64 v3, v3, v58, s8
	s_delay_alu instid0(VALU_DEP_1) | instskip(NEXT) | instid1(VALU_DEP_1)
	v_cndmask_b32_e64 v3, v3, 0, s9
	v_add_nc_u32_e32 v4, v3, v4
	s_delay_alu instid0(VALU_DEP_1) | instskip(NEXT) | instid1(VALU_DEP_1)
	v_add_nc_u32_e32 v5, v4, v5
	v_add_nc_u32_e32 v6, v5, v6
	s_delay_alu instid0(VALU_DEP_1) | instskip(SKIP_3) | instid1(VALU_DEP_4)
	v_add_nc_u32_e32 v58, v6, v7
	v_lshlrev_b32_e32 v7, 3, v12
	v_lshlrev_b32_e32 v12, 3, v13
	;; [unrolled: 1-line block ×3, first 2 shown]
	v_add_nc_u32_e32 v59, v58, v0
	s_delay_alu instid0(VALU_DEP_1) | instskip(NEXT) | instid1(VALU_DEP_1)
	v_add_nc_u32_e32 v0, v59, v1
	v_add_nc_u32_e32 v1, v0, v2
	v_lshlrev_b32_e32 v2, 3, v9
	v_lshlrev_b32_e32 v9, 3, v10
	ds_store_2addr_b64 v33, v[3:4], v[5:6] offset0:2 offset1:3
	ds_store_2addr_b64 v36, v[58:59], v[0:1] offset0:2 offset1:3
	s_waitcnt lgkmcnt(0)
	s_barrier
	buffer_gl0_inv
	ds_load_b32 v0, v8
	ds_load_b32 v1, v11
	;; [unrolled: 1-line block ×8, first 2 shown]
	v_lshlrev_b32_e32 v11, 3, v14
	v_lshlrev_b32_e32 v14, 3, v43
	;; [unrolled: 1-line block ×9, first 2 shown]
	s_waitcnt lgkmcnt(0)
	v_lshl_add_u32 v43, v0, 3, v2
	v_lshlrev_b32_e32 v0, 3, v1
	v_lshlrev_b32_e32 v1, 3, v3
	;; [unrolled: 1-line block ×7, first 2 shown]
	v_add3_u32 v44, v7, v9, v0
	v_add3_u32 v45, v11, v12, v1
	;; [unrolled: 1-line block ×7, first 2 shown]
	s_cbranch_scc0 .LBB350_3
; %bb.27:                               ;   in Loop: Header=BB350_2 Depth=1
                                        ; implicit-def: $sgpr26
                                        ; implicit-def: $vgpr0_vgpr1
                                        ; implicit-def: $vgpr4_vgpr5
                                        ; implicit-def: $vgpr8_vgpr9
                                        ; implicit-def: $vgpr12_vgpr13
                                        ; implicit-def: $sgpr25
                                        ; implicit-def: $sgpr24
	s_branch .LBB350_1
.LBB350_28:
	s_add_u32 s0, s18, s22
	s_addc_u32 s1, s19, s23
	v_add_co_u32 v0, s2, s0, v32
	s_delay_alu instid0(VALU_DEP_1) | instskip(NEXT) | instid1(VALU_DEP_2)
	v_add_co_ci_u32_e64 v18, null, s1, 0, s2
	v_add_co_u32 v17, vcc_lo, 0x1000, v0
	s_delay_alu instid0(VALU_DEP_2)
	v_add_co_ci_u32_e32 v18, vcc_lo, 0, v18, vcc_lo
	s_clause 0x7
	global_store_b64 v32, v[13:14], s[0:1]
	global_store_b64 v32, v[15:16], s[0:1] offset:1024
	global_store_b64 v32, v[9:10], s[0:1] offset:2048
	;; [unrolled: 1-line block ×3, first 2 shown]
	global_store_b64 v[17:18], v[5:6], off
	global_store_b64 v[17:18], v[7:8], off offset:1024
	global_store_b64 v[17:18], v[1:2], off offset:2048
	;; [unrolled: 1-line block ×3, first 2 shown]
	s_nop 0
	s_sendmsg sendmsg(MSG_DEALLOC_VGPRS)
	s_endpgm
	.section	.rodata,"a",@progbits
	.p2align	6, 0x0
	.amdhsa_kernel _Z16sort_keys_kernelI22helper_blocked_stripedN15benchmark_utils11custom_typeIiiEELj128ELj8ELj10EEvPKT0_PS4_
		.amdhsa_group_segment_fixed_size 8192
		.amdhsa_private_segment_fixed_size 0
		.amdhsa_kernarg_size 272
		.amdhsa_user_sgpr_count 15
		.amdhsa_user_sgpr_dispatch_ptr 0
		.amdhsa_user_sgpr_queue_ptr 0
		.amdhsa_user_sgpr_kernarg_segment_ptr 1
		.amdhsa_user_sgpr_dispatch_id 0
		.amdhsa_user_sgpr_private_segment_size 0
		.amdhsa_wavefront_size32 1
		.amdhsa_uses_dynamic_stack 0
		.amdhsa_enable_private_segment 0
		.amdhsa_system_sgpr_workgroup_id_x 1
		.amdhsa_system_sgpr_workgroup_id_y 0
		.amdhsa_system_sgpr_workgroup_id_z 0
		.amdhsa_system_sgpr_workgroup_info 0
		.amdhsa_system_vgpr_workitem_id 2
		.amdhsa_next_free_vgpr 60
		.amdhsa_next_free_sgpr 31
		.amdhsa_reserve_vcc 1
		.amdhsa_float_round_mode_32 0
		.amdhsa_float_round_mode_16_64 0
		.amdhsa_float_denorm_mode_32 3
		.amdhsa_float_denorm_mode_16_64 3
		.amdhsa_dx10_clamp 1
		.amdhsa_ieee_mode 1
		.amdhsa_fp16_overflow 0
		.amdhsa_workgroup_processor_mode 1
		.amdhsa_memory_ordered 1
		.amdhsa_forward_progress 0
		.amdhsa_shared_vgpr_count 0
		.amdhsa_exception_fp_ieee_invalid_op 0
		.amdhsa_exception_fp_denorm_src 0
		.amdhsa_exception_fp_ieee_div_zero 0
		.amdhsa_exception_fp_ieee_overflow 0
		.amdhsa_exception_fp_ieee_underflow 0
		.amdhsa_exception_fp_ieee_inexact 0
		.amdhsa_exception_int_div_zero 0
	.end_amdhsa_kernel
	.section	.text._Z16sort_keys_kernelI22helper_blocked_stripedN15benchmark_utils11custom_typeIiiEELj128ELj8ELj10EEvPKT0_PS4_,"axG",@progbits,_Z16sort_keys_kernelI22helper_blocked_stripedN15benchmark_utils11custom_typeIiiEELj128ELj8ELj10EEvPKT0_PS4_,comdat
.Lfunc_end350:
	.size	_Z16sort_keys_kernelI22helper_blocked_stripedN15benchmark_utils11custom_typeIiiEELj128ELj8ELj10EEvPKT0_PS4_, .Lfunc_end350-_Z16sort_keys_kernelI22helper_blocked_stripedN15benchmark_utils11custom_typeIiiEELj128ELj8ELj10EEvPKT0_PS4_
                                        ; -- End function
	.section	.AMDGPU.csdata,"",@progbits
; Kernel info:
; codeLenInByte = 5124
; NumSgprs: 33
; NumVgprs: 60
; ScratchSize: 0
; MemoryBound: 0
; FloatMode: 240
; IeeeMode: 1
; LDSByteSize: 8192 bytes/workgroup (compile time only)
; SGPRBlocks: 4
; VGPRBlocks: 7
; NumSGPRsForWavesPerEU: 33
; NumVGPRsForWavesPerEU: 60
; Occupancy: 16
; WaveLimiterHint : 1
; COMPUTE_PGM_RSRC2:SCRATCH_EN: 0
; COMPUTE_PGM_RSRC2:USER_SGPR: 15
; COMPUTE_PGM_RSRC2:TRAP_HANDLER: 0
; COMPUTE_PGM_RSRC2:TGID_X_EN: 1
; COMPUTE_PGM_RSRC2:TGID_Y_EN: 0
; COMPUTE_PGM_RSRC2:TGID_Z_EN: 0
; COMPUTE_PGM_RSRC2:TIDIG_COMP_CNT: 2
	.section	.text._Z17sort_pairs_kernelI22helper_blocked_stripedN15benchmark_utils11custom_typeIiiEELj128ELj8ELj10EEvPKT0_PS4_,"axG",@progbits,_Z17sort_pairs_kernelI22helper_blocked_stripedN15benchmark_utils11custom_typeIiiEELj128ELj8ELj10EEvPKT0_PS4_,comdat
	.protected	_Z17sort_pairs_kernelI22helper_blocked_stripedN15benchmark_utils11custom_typeIiiEELj128ELj8ELj10EEvPKT0_PS4_ ; -- Begin function _Z17sort_pairs_kernelI22helper_blocked_stripedN15benchmark_utils11custom_typeIiiEELj128ELj8ELj10EEvPKT0_PS4_
	.globl	_Z17sort_pairs_kernelI22helper_blocked_stripedN15benchmark_utils11custom_typeIiiEELj128ELj8ELj10EEvPKT0_PS4_
	.p2align	8
	.type	_Z17sort_pairs_kernelI22helper_blocked_stripedN15benchmark_utils11custom_typeIiiEELj128ELj8ELj10EEvPKT0_PS4_,@function
_Z17sort_pairs_kernelI22helper_blocked_stripedN15benchmark_utils11custom_typeIiiEELj128ELj8ELj10EEvPKT0_PS4_: ; @_Z17sort_pairs_kernelI22helper_blocked_stripedN15benchmark_utils11custom_typeIiiEELj128ELj8ELj10EEvPKT0_PS4_
; %bb.0:
	s_clause 0x1
	s_load_b128 s[16:19], s[0:1], 0x0
	s_load_b32 s11, s[0:1], 0x1c
	v_mbcnt_lo_u32_b32 v18, -1, 0
	s_mov_b32 s23, 0
	s_lshl_b32 s22, s15, 10
	v_bfe_u32 v19, v0, 10, 10
	s_lshl_b64 s[20:21], s[22:23], 3
	v_add_nc_u32_e32 v22, -1, v18
	v_and_b32_e32 v20, 15, v18
	v_and_b32_e32 v21, 16, v18
	;; [unrolled: 1-line block ×3, first 2 shown]
	s_mov_b32 s22, s23
	v_cmp_gt_i32_e32 vcc_lo, 0, v22
	v_and_b32_e32 v17, 0x3ff, v0
	v_bfe_u32 v0, v0, 20, 10
	v_cmp_lt_u32_e64 s2, 1, v20
	v_cmp_lt_u32_e64 s3, 3, v20
	;; [unrolled: 1-line block ×3, first 2 shown]
	v_lshlrev_b32_e32 v1, 6, v17
	v_cmp_eq_u32_e64 s5, 0, v21
	s_waitcnt lgkmcnt(0)
	s_add_u32 s0, s16, s20
	s_addc_u32 s1, s17, s21
	s_lshr_b32 s12, s11, 16
	s_clause 0x3
	global_load_b128 v[5:8], v1, s[0:1]
	global_load_b128 v[9:12], v1, s[0:1] offset:16
	global_load_b128 v[13:16], v1, s[0:1] offset:32
	;; [unrolled: 1-line block ×3, first 2 shown]
	v_cmp_eq_u32_e64 s1, 0, v20
	v_cndmask_b32_e32 v20, v22, v18, vcc_lo
	v_lshlrev_b32_e32 v64, 3, v17
	v_and_b32_e32 v24, 0x60, v17
	v_mad_u32_u24 v0, v0, s12, v19
	v_lshlrev_b32_e32 v65, 5, v17
	v_lshrrev_b32_e32 v21, 3, v17
	s_and_b32 s11, s11, 0xffff
	v_cmp_eq_u32_e64 s0, 0, v18
	v_cmp_eq_u32_e64 s9, 0, v23
	v_cmp_lt_u32_e64 s10, 1, v23
	v_or_b32_e32 v22, v18, v24
	v_and_or_b32 v23, 0x300, v64, v18
	v_mad_u64_u32 v[18:19], null, v0, s11, v[17:18]
	v_lshlrev_b32_e32 v33, 2, v17
	v_or_b32_e32 v24, 31, v24
	v_and_b32_e32 v68, 12, v21
	v_mad_i32_i24 v69, 0xffffffe4, v17, v65
	v_cmp_gt_u32_e64 s6, 4, v17
	v_cmp_lt_u32_e64 s7, 31, v17
	v_cmp_eq_u32_e64 s8, 0, v17
	v_or_b32_e32 v66, 16, v65
	v_lshlrev_b32_e32 v67, 2, v20
	v_lshlrev_b32_e32 v70, 6, v22
	;; [unrolled: 1-line block ×3, first 2 shown]
	v_cmp_eq_u32_e64 s11, v24, v17
	v_add_nc_u32_e32 v72, -4, v68
	v_lshrrev_b32_e32 v73, 5, v18
	v_add_nc_u32_e32 v74, v69, v33
	s_mov_b32 s16, s23
	s_mov_b32 s17, s23
	;; [unrolled: 1-line block ×3, first 2 shown]
	s_waitcnt vmcnt(3)
	v_add_nc_u32_e32 v30, 1, v6
	v_add_nc_u32_e32 v29, 1, v5
	v_add_nc_u32_e32 v32, 1, v8
	v_add_nc_u32_e32 v31, 1, v7
	s_waitcnt vmcnt(2)
	v_add_nc_u32_e32 v26, 1, v10
	v_add_nc_u32_e32 v25, 1, v9
	v_add_nc_u32_e32 v28, 1, v12
	v_add_nc_u32_e32 v27, 1, v11
	;; [unrolled: 5-line block ×4, first 2 shown]
	s_branch .LBB351_2
.LBB351_1:                              ;   in Loop: Header=BB351_2 Depth=1
	s_barrier
	buffer_gl0_inv
	ds_store_b64 v75, v[44:45]
	ds_store_b64 v76, v[52:53]
	ds_store_b64 v77, v[50:51]
	ds_store_b64 v78, v[58:59]
	ds_store_b64 v79, v[56:57]
	ds_store_b64 v80, v[54:55]
	ds_store_b64 v81, v[62:63]
	ds_store_b64 v82, v[60:61]
	s_waitcnt lgkmcnt(0)
	s_barrier
	buffer_gl0_inv
	ds_load_2addr_stride64_b64 v[0:3], v74 offset1:2
	ds_load_2addr_stride64_b64 v[9:12], v74 offset0:4 offset1:6
	ds_load_2addr_stride64_b64 v[13:16], v74 offset0:8 offset1:10
	;; [unrolled: 1-line block ×3, first 2 shown]
	s_waitcnt lgkmcnt(0)
	s_barrier
	buffer_gl0_inv
	ds_store_b64 v75, v[34:35]
	ds_store_b64 v76, v[32:33]
	;; [unrolled: 1-line block ×8, first 2 shown]
	s_waitcnt lgkmcnt(0)
	s_barrier
	buffer_gl0_inv
	ds_load_2addr_stride64_b64 v[29:32], v74 offset1:2
	ds_load_2addr_stride64_b64 v[25:28], v74 offset0:4 offset1:6
	ds_load_2addr_stride64_b64 v[21:24], v74 offset0:8 offset1:10
	;; [unrolled: 1-line block ×3, first 2 shown]
	s_add_i32 s15, s15, 1
	s_delay_alu instid0(SALU_CYCLE_1)
	s_cmp_lg_u32 s15, 10
	v_xor_b32_e32 v5, 0x80000000, v0
	v_xor_b32_e32 v6, 0x80000000, v1
	;; [unrolled: 1-line block ×16, first 2 shown]
	s_cbranch_scc0 .LBB351_28
.LBB351_2:                              ; =>This Loop Header: Depth=1
                                        ;     Child Loop BB351_4 Depth 2
	v_xor_b32_e32 v6, 0x80000000, v6
	v_xor_b32_e32 v5, 0x80000000, v5
	;; [unrolled: 1-line block ×16, first 2 shown]
	ds_store_2addr_b64 v70, v[5:6], v[7:8] offset1:1
	ds_store_2addr_b64 v70, v[9:10], v[11:12] offset0:2 offset1:3
	ds_store_2addr_b64 v70, v[13:14], v[15:16] offset0:4 offset1:5
	;; [unrolled: 1-line block ×3, first 2 shown]
	; wave barrier
	ds_load_2addr_b64 v[0:3], v71 offset1:32
	ds_load_2addr_b64 v[4:7], v71 offset0:64 offset1:96
	ds_load_2addr_b64 v[8:11], v71 offset0:128 offset1:160
	;; [unrolled: 1-line block ×3, first 2 shown]
	; wave barrier
	s_waitcnt lgkmcnt(11)
	ds_store_2addr_b64 v70, v[29:30], v[31:32] offset1:1
	s_waitcnt lgkmcnt(11)
	ds_store_2addr_b64 v70, v[25:26], v[27:28] offset0:2 offset1:3
	s_waitcnt lgkmcnt(11)
	ds_store_2addr_b64 v70, v[21:22], v[23:24] offset0:4 offset1:5
	;; [unrolled: 2-line block ×3, first 2 shown]
	; wave barrier
	ds_load_2addr_b64 v[20:23], v71 offset1:32
	ds_load_2addr_b64 v[24:27], v71 offset0:64 offset1:96
	ds_load_2addr_b64 v[28:31], v71 offset0:128 offset1:160
	;; [unrolled: 1-line block ×3, first 2 shown]
	s_mov_b32 s24, 8
	s_mov_b32 s25, 32
	;; [unrolled: 1-line block ×3, first 2 shown]
	s_waitcnt lgkmcnt(0)
	s_barrier
	s_branch .LBB351_4
.LBB351_3:                              ;   in Loop: Header=BB351_4 Depth=2
	s_barrier
	buffer_gl0_inv
	ds_store_b64 v75, v[44:45]
	ds_store_b64 v76, v[52:53]
	;; [unrolled: 1-line block ×8, first 2 shown]
	s_waitcnt lgkmcnt(0)
	s_barrier
	buffer_gl0_inv
	ds_load_2addr_b64 v[0:3], v71 offset1:32
	ds_load_2addr_b64 v[4:7], v71 offset0:64 offset1:96
	ds_load_2addr_b64 v[8:11], v71 offset0:128 offset1:160
	;; [unrolled: 1-line block ×3, first 2 shown]
	s_waitcnt lgkmcnt(0)
	s_barrier
	buffer_gl0_inv
	ds_store_b64 v75, v[34:35]
	ds_store_b64 v76, v[32:33]
	;; [unrolled: 1-line block ×8, first 2 shown]
	s_waitcnt lgkmcnt(0)
	s_barrier
	buffer_gl0_inv
	ds_load_2addr_b64 v[20:23], v71 offset1:32
	ds_load_2addr_b64 v[24:27], v71 offset0:64 offset1:96
	ds_load_2addr_b64 v[28:31], v71 offset0:128 offset1:160
	;; [unrolled: 1-line block ×3, first 2 shown]
	s_add_i32 s25, s25, -8
	s_add_i32 s24, s24, 8
	s_add_i32 s26, s26, 8
	s_waitcnt lgkmcnt(0)
	s_barrier
	s_cbranch_execz .LBB351_1
.LBB351_4:                              ;   Parent Loop BB351_2 Depth=1
                                        ; =>  This Inner Loop Header: Depth=2
	s_min_i32 s13, s24, 32
	s_cmp_lt_u32 s26, 32
	v_dual_mov_b32 v45, v1 :: v_dual_mov_b32 v44, v0
	s_cselect_b32 vcc_lo, -1, 0
	s_cmp_gt_u32 s26, 24
	v_mov_b32_e32 v35, v21
	s_cselect_b32 s12, -1, 0
	s_sub_i32 s13, s13, 32
	v_lshrrev_b32_e32 v1, s26, v45
	s_add_i32 s14, s13, s25
	v_dual_mov_b32 v41, v27 :: v_dual_mov_b32 v40, v26
	s_lshl_b32 s14, -1, s14
	v_dual_mov_b32 v43, v25 :: v_dual_mov_b32 v42, v24
	s_not_b32 s14, s14
	s_cmp_lg_u32 s13, s26
	v_mov_b32_e32 v34, v20
	s_cselect_b32 s27, s14, -1
	s_max_i32 s28, s25, 0
	s_max_i32 s13, s26, 32
	v_and_b32_e32 v1, s27, v1
	s_sub_i32 s14, s13, s28
	s_sub_i32 s29, s13, 32
	s_sub_i32 s14, s14, 24
	v_lshrrev_b32_e32 v0, s29, v44
	s_min_i32 s13, s14, 32
	buffer_gl0_inv
	s_sub_i32 s13, s13, s29
	v_dual_mov_b32 v39, v29 :: v_dual_mov_b32 v38, v28
	s_lshl_b32 s14, -1, s13
	v_cndmask_b32_e32 v1, 0, v1, vcc_lo
	s_not_b32 s14, s14
	s_cmp_lg_u32 s13, 32
	v_mov_b32_e32 v33, v23
	s_cselect_b32 s30, s14, -1
	v_mov_b32_e32 v32, v22
	v_dual_mov_b32 v37, v31 :: v_dual_and_b32 v0, s30, v0
	v_dual_mov_b32 v36, v30 :: v_dual_mov_b32 v47, v17
	s_delay_alu instid0(VALU_DEP_2) | instskip(SKIP_3) | instid1(VALU_DEP_4)
	v_dual_mov_b32 v49, v19 :: v_dual_lshlrev_b32 v0, s28, v0
	v_mov_b32_e32 v53, v3
	v_dual_mov_b32 v51, v5 :: v_dual_mov_b32 v46, v16
	v_mov_b32_e32 v48, v18
	v_cndmask_b32_e64 v0, 0, v0, s12
	v_mov_b32_e32 v52, v2
	v_dual_mov_b32 v50, v4 :: v_dual_mov_b32 v59, v7
	v_mov_b32_e32 v58, v6
	s_delay_alu instid0(VALU_DEP_4) | instskip(SKIP_2) | instid1(VALU_DEP_3)
	v_or_b32_e32 v20, v1, v0
	v_dual_mov_b32 v57, v9 :: v_dual_mov_b32 v56, v8
	v_dual_mov_b32 v55, v11 :: v_dual_mov_b32 v54, v10
	v_and_b32_e32 v0, 1, v20
	v_lshlrev_b32_e32 v1, 30, v20
	v_lshlrev_b32_e32 v21, 29, v20
	;; [unrolled: 1-line block ×4, first 2 shown]
	v_add_co_u32 v0, s13, v0, -1
	s_delay_alu instid0(VALU_DEP_1)
	v_cndmask_b32_e64 v23, 0, 1, s13
	v_not_b32_e32 v27, v1
	v_cmp_gt_i32_e64 s14, 0, v1
	v_not_b32_e32 v1, v21
	v_lshlrev_b32_e32 v25, 26, v20
	v_cmp_ne_u32_e64 s13, 0, v23
	v_ashrrev_i32_e32 v27, 31, v27
	v_lshlrev_b32_e32 v26, 25, v20
	v_ashrrev_i32_e32 v1, 31, v1
	v_lshlrev_b32_e32 v23, 24, v20
	v_xor_b32_e32 v0, s13, v0
	v_cmp_gt_i32_e64 s13, 0, v21
	v_not_b32_e32 v21, v22
	v_xor_b32_e32 v27, s14, v27
	v_cmp_gt_i32_e64 s14, 0, v22
	v_and_b32_e32 v0, exec_lo, v0
	v_not_b32_e32 v22, v24
	v_ashrrev_i32_e32 v21, 31, v21
	v_xor_b32_e32 v1, s13, v1
	v_cmp_gt_i32_e64 s13, 0, v24
	v_and_b32_e32 v0, v0, v27
	v_not_b32_e32 v24, v25
	v_ashrrev_i32_e32 v22, 31, v22
	v_xor_b32_e32 v21, s14, v21
	v_cmp_gt_i32_e64 s14, 0, v25
	v_and_b32_e32 v0, v0, v1
	;; [unrolled: 5-line block ×4, first 2 shown]
	v_ashrrev_i32_e32 v16, 31, v21
	v_xor_b32_e32 v1, s13, v1
	v_mov_b32_e32 v63, v13
	s_delay_alu instid0(VALU_DEP_4) | instskip(NEXT) | instid1(VALU_DEP_4)
	v_dual_mov_b32 v61, v15 :: v_dual_and_b32 v0, v0, v24
	v_xor_b32_e32 v3, s14, v16
	v_mov_b32_e32 v62, v12
	v_mov_b32_e32 v60, v14
	s_delay_alu instid0(VALU_DEP_4) | instskip(SKIP_1) | instid1(VALU_DEP_2)
	v_dual_mov_b32 v1, s22 :: v_dual_and_b32 v0, v0, v1
	v_mov_b32_e32 v2, s23
	v_dual_mov_b32 v3, s16 :: v_dual_and_b32 v0, v0, v3
	v_mov_b32_e32 v4, s17
	ds_store_2addr_b64 v65, v[1:2], v[3:4] offset0:2 offset1:3
	ds_store_2addr_b64 v66, v[1:2], v[3:4] offset0:2 offset1:3
	v_mbcnt_lo_u32_b32 v9, v0, 0
	v_lshl_add_u32 v1, v20, 2, v73
	v_cmp_ne_u32_e64 s14, 0, v0
	s_waitcnt lgkmcnt(0)
	s_barrier
	v_cmp_eq_u32_e64 s13, 0, v9
	v_lshl_add_u32 v8, v1, 2, 16
	buffer_gl0_inv
	; wave barrier
	s_and_b32 s14, s13, s14
	s_delay_alu instid0(SALU_CYCLE_1)
	s_and_saveexec_b32 s13, s14
	s_cbranch_execz .LBB351_6
; %bb.5:                                ;   in Loop: Header=BB351_4 Depth=2
	v_bcnt_u32_b32 v0, v0, 0
	ds_store_b32 v8, v0
.LBB351_6:                              ;   in Loop: Header=BB351_4 Depth=2
	s_or_b32 exec_lo, exec_lo, s13
	v_lshrrev_b32_e32 v0, s29, v52
	v_lshrrev_b32_e32 v1, s26, v53
	; wave barrier
	s_delay_alu instid0(VALU_DEP_1) | instskip(NEXT) | instid1(VALU_DEP_1)
	v_and_b32_e32 v1, s27, v1
	v_dual_cndmask_b32 v1, 0, v1 :: v_dual_and_b32 v0, s30, v0
	s_delay_alu instid0(VALU_DEP_1) | instskip(NEXT) | instid1(VALU_DEP_1)
	v_lshlrev_b32_e32 v0, s28, v0
	v_cndmask_b32_e64 v0, 0, v0, s12
	s_delay_alu instid0(VALU_DEP_1) | instskip(NEXT) | instid1(VALU_DEP_1)
	v_or_b32_e32 v0, v1, v0
	v_and_b32_e32 v1, 1, v0
	v_lshlrev_b32_e32 v2, 30, v0
	v_lshlrev_b32_e32 v3, 29, v0
	;; [unrolled: 1-line block ×4, first 2 shown]
	v_add_co_u32 v1, s13, v1, -1
	s_delay_alu instid0(VALU_DEP_1)
	v_cndmask_b32_e64 v5, 0, 1, s13
	v_not_b32_e32 v11, v2
	v_cmp_gt_i32_e64 s14, 0, v2
	v_not_b32_e32 v2, v3
	v_lshlrev_b32_e32 v7, 26, v0
	v_cmp_ne_u32_e64 s13, 0, v5
	v_ashrrev_i32_e32 v11, 31, v11
	v_lshlrev_b32_e32 v10, 25, v0
	v_ashrrev_i32_e32 v2, 31, v2
	v_lshlrev_b32_e32 v5, 24, v0
	v_xor_b32_e32 v1, s13, v1
	v_cmp_gt_i32_e64 s13, 0, v3
	v_not_b32_e32 v3, v4
	v_xor_b32_e32 v11, s14, v11
	v_cmp_gt_i32_e64 s14, 0, v4
	v_and_b32_e32 v1, exec_lo, v1
	v_not_b32_e32 v4, v6
	v_ashrrev_i32_e32 v3, 31, v3
	v_xor_b32_e32 v2, s13, v2
	v_cmp_gt_i32_e64 s13, 0, v6
	v_and_b32_e32 v1, v1, v11
	v_not_b32_e32 v6, v7
	v_ashrrev_i32_e32 v4, 31, v4
	v_xor_b32_e32 v3, s14, v3
	v_cmp_gt_i32_e64 s14, 0, v7
	v_and_b32_e32 v1, v1, v2
	;; [unrolled: 5-line block ×3, first 2 shown]
	v_not_b32_e32 v3, v5
	v_ashrrev_i32_e32 v2, 31, v2
	v_xor_b32_e32 v6, s14, v6
	v_lshlrev_b32_e32 v0, 2, v0
	v_and_b32_e32 v1, v1, v4
	v_cmp_gt_i32_e64 s14, 0, v5
	v_ashrrev_i32_e32 v3, 31, v3
	v_xor_b32_e32 v2, s13, v2
	v_add_lshl_u32 v4, v0, v73, 2
	v_and_b32_e32 v1, v1, v6
	s_delay_alu instid0(VALU_DEP_4) | instskip(SKIP_3) | instid1(VALU_DEP_2)
	v_xor_b32_e32 v0, s14, v3
	ds_load_b32 v10, v4 offset:16
	v_and_b32_e32 v1, v1, v2
	v_add_nc_u32_e32 v11, 16, v4
	; wave barrier
	v_and_b32_e32 v0, v1, v0
	s_delay_alu instid0(VALU_DEP_1) | instskip(SKIP_1) | instid1(VALU_DEP_2)
	v_mbcnt_lo_u32_b32 v12, v0, 0
	v_cmp_ne_u32_e64 s14, 0, v0
	v_cmp_eq_u32_e64 s13, 0, v12
	s_delay_alu instid0(VALU_DEP_1) | instskip(NEXT) | instid1(SALU_CYCLE_1)
	s_and_b32 s14, s13, s14
	s_and_saveexec_b32 s13, s14
	s_cbranch_execz .LBB351_8
; %bb.7:                                ;   in Loop: Header=BB351_4 Depth=2
	s_waitcnt lgkmcnt(0)
	v_bcnt_u32_b32 v0, v0, v10
	ds_store_b32 v11, v0
.LBB351_8:                              ;   in Loop: Header=BB351_4 Depth=2
	s_or_b32 exec_lo, exec_lo, s13
	v_lshrrev_b32_e32 v0, s29, v50
	v_lshrrev_b32_e32 v1, s26, v51
	; wave barrier
	s_delay_alu instid0(VALU_DEP_1) | instskip(NEXT) | instid1(VALU_DEP_1)
	v_and_b32_e32 v1, s27, v1
	v_dual_cndmask_b32 v1, 0, v1 :: v_dual_and_b32 v0, s30, v0
	s_delay_alu instid0(VALU_DEP_1) | instskip(NEXT) | instid1(VALU_DEP_1)
	v_lshlrev_b32_e32 v0, s28, v0
	v_cndmask_b32_e64 v0, 0, v0, s12
	s_delay_alu instid0(VALU_DEP_1) | instskip(NEXT) | instid1(VALU_DEP_1)
	v_or_b32_e32 v0, v1, v0
	v_and_b32_e32 v1, 1, v0
	v_lshlrev_b32_e32 v2, 30, v0
	v_lshlrev_b32_e32 v3, 29, v0
	;; [unrolled: 1-line block ×4, first 2 shown]
	v_add_co_u32 v1, s13, v1, -1
	s_delay_alu instid0(VALU_DEP_1)
	v_cndmask_b32_e64 v5, 0, 1, s13
	v_not_b32_e32 v14, v2
	v_cmp_gt_i32_e64 s14, 0, v2
	v_not_b32_e32 v2, v3
	v_lshlrev_b32_e32 v7, 26, v0
	v_cmp_ne_u32_e64 s13, 0, v5
	v_ashrrev_i32_e32 v14, 31, v14
	v_lshlrev_b32_e32 v13, 25, v0
	v_ashrrev_i32_e32 v2, 31, v2
	v_lshlrev_b32_e32 v5, 24, v0
	v_xor_b32_e32 v1, s13, v1
	v_cmp_gt_i32_e64 s13, 0, v3
	v_not_b32_e32 v3, v4
	v_xor_b32_e32 v14, s14, v14
	v_cmp_gt_i32_e64 s14, 0, v4
	v_and_b32_e32 v1, exec_lo, v1
	v_not_b32_e32 v4, v6
	v_ashrrev_i32_e32 v3, 31, v3
	v_xor_b32_e32 v2, s13, v2
	v_cmp_gt_i32_e64 s13, 0, v6
	v_and_b32_e32 v1, v1, v14
	v_not_b32_e32 v6, v7
	v_ashrrev_i32_e32 v4, 31, v4
	v_xor_b32_e32 v3, s14, v3
	v_cmp_gt_i32_e64 s14, 0, v7
	v_and_b32_e32 v1, v1, v2
	;; [unrolled: 5-line block ×3, first 2 shown]
	v_not_b32_e32 v3, v5
	v_ashrrev_i32_e32 v2, 31, v2
	v_xor_b32_e32 v6, s14, v6
	v_lshlrev_b32_e32 v0, 2, v0
	v_and_b32_e32 v1, v1, v4
	v_cmp_gt_i32_e64 s14, 0, v5
	v_ashrrev_i32_e32 v3, 31, v3
	v_xor_b32_e32 v2, s13, v2
	v_add_lshl_u32 v4, v0, v73, 2
	v_and_b32_e32 v1, v1, v6
	s_delay_alu instid0(VALU_DEP_4) | instskip(SKIP_3) | instid1(VALU_DEP_2)
	v_xor_b32_e32 v0, s14, v3
	ds_load_b32 v13, v4 offset:16
	v_and_b32_e32 v1, v1, v2
	v_add_nc_u32_e32 v15, 16, v4
	; wave barrier
	v_and_b32_e32 v0, v1, v0
	s_delay_alu instid0(VALU_DEP_1) | instskip(SKIP_1) | instid1(VALU_DEP_2)
	v_mbcnt_lo_u32_b32 v14, v0, 0
	v_cmp_ne_u32_e64 s14, 0, v0
	v_cmp_eq_u32_e64 s13, 0, v14
	s_delay_alu instid0(VALU_DEP_1) | instskip(NEXT) | instid1(SALU_CYCLE_1)
	s_and_b32 s14, s13, s14
	s_and_saveexec_b32 s13, s14
	s_cbranch_execz .LBB351_10
; %bb.9:                                ;   in Loop: Header=BB351_4 Depth=2
	s_waitcnt lgkmcnt(0)
	v_bcnt_u32_b32 v0, v0, v13
	ds_store_b32 v15, v0
.LBB351_10:                             ;   in Loop: Header=BB351_4 Depth=2
	s_or_b32 exec_lo, exec_lo, s13
	v_lshrrev_b32_e32 v0, s29, v58
	v_lshrrev_b32_e32 v1, s26, v59
	; wave barrier
	s_delay_alu instid0(VALU_DEP_1) | instskip(NEXT) | instid1(VALU_DEP_1)
	v_and_b32_e32 v1, s27, v1
	v_dual_cndmask_b32 v1, 0, v1 :: v_dual_and_b32 v0, s30, v0
	s_delay_alu instid0(VALU_DEP_1) | instskip(NEXT) | instid1(VALU_DEP_1)
	v_lshlrev_b32_e32 v0, s28, v0
	v_cndmask_b32_e64 v0, 0, v0, s12
	s_delay_alu instid0(VALU_DEP_1) | instskip(NEXT) | instid1(VALU_DEP_1)
	v_or_b32_e32 v0, v1, v0
	v_and_b32_e32 v1, 1, v0
	v_lshlrev_b32_e32 v2, 30, v0
	v_lshlrev_b32_e32 v3, 29, v0
	;; [unrolled: 1-line block ×4, first 2 shown]
	v_add_co_u32 v1, s13, v1, -1
	s_delay_alu instid0(VALU_DEP_1)
	v_cndmask_b32_e64 v5, 0, 1, s13
	v_not_b32_e32 v17, v2
	v_cmp_gt_i32_e64 s14, 0, v2
	v_not_b32_e32 v2, v3
	v_lshlrev_b32_e32 v7, 26, v0
	v_cmp_ne_u32_e64 s13, 0, v5
	v_ashrrev_i32_e32 v17, 31, v17
	v_lshlrev_b32_e32 v16, 25, v0
	v_ashrrev_i32_e32 v2, 31, v2
	v_lshlrev_b32_e32 v5, 24, v0
	v_xor_b32_e32 v1, s13, v1
	v_cmp_gt_i32_e64 s13, 0, v3
	v_not_b32_e32 v3, v4
	v_xor_b32_e32 v17, s14, v17
	v_cmp_gt_i32_e64 s14, 0, v4
	v_and_b32_e32 v1, exec_lo, v1
	v_not_b32_e32 v4, v6
	v_ashrrev_i32_e32 v3, 31, v3
	v_xor_b32_e32 v2, s13, v2
	v_cmp_gt_i32_e64 s13, 0, v6
	v_and_b32_e32 v1, v1, v17
	v_not_b32_e32 v6, v7
	v_ashrrev_i32_e32 v4, 31, v4
	v_xor_b32_e32 v3, s14, v3
	v_cmp_gt_i32_e64 s14, 0, v7
	v_and_b32_e32 v1, v1, v2
	;; [unrolled: 5-line block ×3, first 2 shown]
	v_not_b32_e32 v3, v5
	v_ashrrev_i32_e32 v2, 31, v2
	v_xor_b32_e32 v6, s14, v6
	v_lshlrev_b32_e32 v0, 2, v0
	v_and_b32_e32 v1, v1, v4
	v_cmp_gt_i32_e64 s14, 0, v5
	v_ashrrev_i32_e32 v3, 31, v3
	v_xor_b32_e32 v2, s13, v2
	v_add_lshl_u32 v4, v0, v73, 2
	v_and_b32_e32 v1, v1, v6
	s_delay_alu instid0(VALU_DEP_4) | instskip(SKIP_3) | instid1(VALU_DEP_2)
	v_xor_b32_e32 v0, s14, v3
	ds_load_b32 v16, v4 offset:16
	v_and_b32_e32 v1, v1, v2
	v_add_nc_u32_e32 v18, 16, v4
	; wave barrier
	v_and_b32_e32 v0, v1, v0
	s_delay_alu instid0(VALU_DEP_1) | instskip(SKIP_1) | instid1(VALU_DEP_2)
	v_mbcnt_lo_u32_b32 v17, v0, 0
	v_cmp_ne_u32_e64 s14, 0, v0
	v_cmp_eq_u32_e64 s13, 0, v17
	s_delay_alu instid0(VALU_DEP_1) | instskip(NEXT) | instid1(SALU_CYCLE_1)
	s_and_b32 s14, s13, s14
	s_and_saveexec_b32 s13, s14
	s_cbranch_execz .LBB351_12
; %bb.11:                               ;   in Loop: Header=BB351_4 Depth=2
	s_waitcnt lgkmcnt(0)
	v_bcnt_u32_b32 v0, v0, v16
	ds_store_b32 v18, v0
.LBB351_12:                             ;   in Loop: Header=BB351_4 Depth=2
	s_or_b32 exec_lo, exec_lo, s13
	v_lshrrev_b32_e32 v0, s29, v56
	v_lshrrev_b32_e32 v1, s26, v57
	; wave barrier
	s_delay_alu instid0(VALU_DEP_1) | instskip(NEXT) | instid1(VALU_DEP_1)
	v_and_b32_e32 v1, s27, v1
	v_dual_cndmask_b32 v1, 0, v1 :: v_dual_and_b32 v0, s30, v0
	s_delay_alu instid0(VALU_DEP_1) | instskip(NEXT) | instid1(VALU_DEP_1)
	v_lshlrev_b32_e32 v0, s28, v0
	v_cndmask_b32_e64 v0, 0, v0, s12
	s_delay_alu instid0(VALU_DEP_1) | instskip(NEXT) | instid1(VALU_DEP_1)
	v_or_b32_e32 v0, v1, v0
	v_and_b32_e32 v1, 1, v0
	v_lshlrev_b32_e32 v2, 30, v0
	v_lshlrev_b32_e32 v3, 29, v0
	v_lshlrev_b32_e32 v4, 28, v0
	v_lshlrev_b32_e32 v6, 27, v0
	v_add_co_u32 v1, s13, v1, -1
	s_delay_alu instid0(VALU_DEP_1)
	v_cndmask_b32_e64 v5, 0, 1, s13
	v_not_b32_e32 v20, v2
	v_cmp_gt_i32_e64 s14, 0, v2
	v_not_b32_e32 v2, v3
	v_lshlrev_b32_e32 v7, 26, v0
	v_cmp_ne_u32_e64 s13, 0, v5
	v_ashrrev_i32_e32 v20, 31, v20
	v_lshlrev_b32_e32 v19, 25, v0
	v_ashrrev_i32_e32 v2, 31, v2
	v_lshlrev_b32_e32 v5, 24, v0
	v_xor_b32_e32 v1, s13, v1
	v_cmp_gt_i32_e64 s13, 0, v3
	v_not_b32_e32 v3, v4
	v_xor_b32_e32 v20, s14, v20
	v_cmp_gt_i32_e64 s14, 0, v4
	v_and_b32_e32 v1, exec_lo, v1
	v_not_b32_e32 v4, v6
	v_ashrrev_i32_e32 v3, 31, v3
	v_xor_b32_e32 v2, s13, v2
	v_cmp_gt_i32_e64 s13, 0, v6
	v_and_b32_e32 v1, v1, v20
	v_not_b32_e32 v6, v7
	v_ashrrev_i32_e32 v4, 31, v4
	v_xor_b32_e32 v3, s14, v3
	v_cmp_gt_i32_e64 s14, 0, v7
	v_and_b32_e32 v1, v1, v2
	;; [unrolled: 5-line block ×3, first 2 shown]
	v_not_b32_e32 v3, v5
	v_ashrrev_i32_e32 v2, 31, v2
	v_xor_b32_e32 v6, s14, v6
	v_lshlrev_b32_e32 v0, 2, v0
	v_and_b32_e32 v1, v1, v4
	v_cmp_gt_i32_e64 s14, 0, v5
	v_ashrrev_i32_e32 v3, 31, v3
	v_xor_b32_e32 v2, s13, v2
	v_add_lshl_u32 v4, v0, v73, 2
	v_and_b32_e32 v1, v1, v6
	s_delay_alu instid0(VALU_DEP_4) | instskip(SKIP_3) | instid1(VALU_DEP_2)
	v_xor_b32_e32 v0, s14, v3
	ds_load_b32 v19, v4 offset:16
	v_and_b32_e32 v1, v1, v2
	v_add_nc_u32_e32 v21, 16, v4
	; wave barrier
	v_and_b32_e32 v0, v1, v0
	s_delay_alu instid0(VALU_DEP_1) | instskip(SKIP_1) | instid1(VALU_DEP_2)
	v_mbcnt_lo_u32_b32 v20, v0, 0
	v_cmp_ne_u32_e64 s14, 0, v0
	v_cmp_eq_u32_e64 s13, 0, v20
	s_delay_alu instid0(VALU_DEP_1) | instskip(NEXT) | instid1(SALU_CYCLE_1)
	s_and_b32 s14, s13, s14
	s_and_saveexec_b32 s13, s14
	s_cbranch_execz .LBB351_14
; %bb.13:                               ;   in Loop: Header=BB351_4 Depth=2
	s_waitcnt lgkmcnt(0)
	v_bcnt_u32_b32 v0, v0, v19
	ds_store_b32 v21, v0
.LBB351_14:                             ;   in Loop: Header=BB351_4 Depth=2
	s_or_b32 exec_lo, exec_lo, s13
	v_lshrrev_b32_e32 v0, s29, v54
	v_lshrrev_b32_e32 v1, s26, v55
	; wave barrier
	s_delay_alu instid0(VALU_DEP_1) | instskip(NEXT) | instid1(VALU_DEP_1)
	v_and_b32_e32 v1, s27, v1
	v_dual_cndmask_b32 v1, 0, v1 :: v_dual_and_b32 v0, s30, v0
	s_delay_alu instid0(VALU_DEP_1) | instskip(NEXT) | instid1(VALU_DEP_1)
	v_lshlrev_b32_e32 v0, s28, v0
	v_cndmask_b32_e64 v0, 0, v0, s12
	s_delay_alu instid0(VALU_DEP_1) | instskip(NEXT) | instid1(VALU_DEP_1)
	v_or_b32_e32 v0, v1, v0
	v_and_b32_e32 v1, 1, v0
	v_lshlrev_b32_e32 v2, 30, v0
	v_lshlrev_b32_e32 v3, 29, v0
	;; [unrolled: 1-line block ×4, first 2 shown]
	v_add_co_u32 v1, s13, v1, -1
	s_delay_alu instid0(VALU_DEP_1)
	v_cndmask_b32_e64 v5, 0, 1, s13
	v_not_b32_e32 v23, v2
	v_cmp_gt_i32_e64 s14, 0, v2
	v_not_b32_e32 v2, v3
	v_lshlrev_b32_e32 v7, 26, v0
	v_cmp_ne_u32_e64 s13, 0, v5
	v_ashrrev_i32_e32 v23, 31, v23
	v_lshlrev_b32_e32 v22, 25, v0
	v_ashrrev_i32_e32 v2, 31, v2
	v_lshlrev_b32_e32 v5, 24, v0
	v_xor_b32_e32 v1, s13, v1
	v_cmp_gt_i32_e64 s13, 0, v3
	v_not_b32_e32 v3, v4
	v_xor_b32_e32 v23, s14, v23
	v_cmp_gt_i32_e64 s14, 0, v4
	v_and_b32_e32 v1, exec_lo, v1
	v_not_b32_e32 v4, v6
	v_ashrrev_i32_e32 v3, 31, v3
	v_xor_b32_e32 v2, s13, v2
	v_cmp_gt_i32_e64 s13, 0, v6
	v_and_b32_e32 v1, v1, v23
	v_not_b32_e32 v6, v7
	v_ashrrev_i32_e32 v4, 31, v4
	v_xor_b32_e32 v3, s14, v3
	v_cmp_gt_i32_e64 s14, 0, v7
	v_and_b32_e32 v1, v1, v2
	;; [unrolled: 5-line block ×3, first 2 shown]
	v_not_b32_e32 v3, v5
	v_ashrrev_i32_e32 v2, 31, v2
	v_xor_b32_e32 v6, s14, v6
	v_lshlrev_b32_e32 v0, 2, v0
	v_and_b32_e32 v1, v1, v4
	v_cmp_gt_i32_e64 s14, 0, v5
	v_ashrrev_i32_e32 v3, 31, v3
	v_xor_b32_e32 v2, s13, v2
	v_add_lshl_u32 v4, v0, v73, 2
	v_and_b32_e32 v1, v1, v6
	s_delay_alu instid0(VALU_DEP_4) | instskip(SKIP_3) | instid1(VALU_DEP_2)
	v_xor_b32_e32 v0, s14, v3
	ds_load_b32 v22, v4 offset:16
	v_and_b32_e32 v1, v1, v2
	v_add_nc_u32_e32 v24, 16, v4
	; wave barrier
	v_and_b32_e32 v0, v1, v0
	s_delay_alu instid0(VALU_DEP_1) | instskip(SKIP_1) | instid1(VALU_DEP_2)
	v_mbcnt_lo_u32_b32 v23, v0, 0
	v_cmp_ne_u32_e64 s14, 0, v0
	v_cmp_eq_u32_e64 s13, 0, v23
	s_delay_alu instid0(VALU_DEP_1) | instskip(NEXT) | instid1(SALU_CYCLE_1)
	s_and_b32 s14, s13, s14
	s_and_saveexec_b32 s13, s14
	s_cbranch_execz .LBB351_16
; %bb.15:                               ;   in Loop: Header=BB351_4 Depth=2
	s_waitcnt lgkmcnt(0)
	v_bcnt_u32_b32 v0, v0, v22
	ds_store_b32 v24, v0
.LBB351_16:                             ;   in Loop: Header=BB351_4 Depth=2
	s_or_b32 exec_lo, exec_lo, s13
	v_lshrrev_b32_e32 v0, s29, v62
	v_lshrrev_b32_e32 v1, s26, v63
	; wave barrier
	s_delay_alu instid0(VALU_DEP_1) | instskip(NEXT) | instid1(VALU_DEP_1)
	v_and_b32_e32 v1, s27, v1
	v_dual_cndmask_b32 v1, 0, v1 :: v_dual_and_b32 v0, s30, v0
	s_delay_alu instid0(VALU_DEP_1) | instskip(NEXT) | instid1(VALU_DEP_1)
	v_lshlrev_b32_e32 v0, s28, v0
	v_cndmask_b32_e64 v0, 0, v0, s12
	s_delay_alu instid0(VALU_DEP_1) | instskip(NEXT) | instid1(VALU_DEP_1)
	v_or_b32_e32 v0, v1, v0
	v_and_b32_e32 v1, 1, v0
	v_lshlrev_b32_e32 v2, 30, v0
	v_lshlrev_b32_e32 v3, 29, v0
	;; [unrolled: 1-line block ×4, first 2 shown]
	v_add_co_u32 v1, s13, v1, -1
	s_delay_alu instid0(VALU_DEP_1)
	v_cndmask_b32_e64 v5, 0, 1, s13
	v_not_b32_e32 v26, v2
	v_cmp_gt_i32_e64 s14, 0, v2
	v_not_b32_e32 v2, v3
	v_lshlrev_b32_e32 v7, 26, v0
	v_cmp_ne_u32_e64 s13, 0, v5
	v_ashrrev_i32_e32 v26, 31, v26
	v_lshlrev_b32_e32 v25, 25, v0
	v_ashrrev_i32_e32 v2, 31, v2
	v_lshlrev_b32_e32 v5, 24, v0
	v_xor_b32_e32 v1, s13, v1
	v_cmp_gt_i32_e64 s13, 0, v3
	v_not_b32_e32 v3, v4
	v_xor_b32_e32 v26, s14, v26
	v_cmp_gt_i32_e64 s14, 0, v4
	v_and_b32_e32 v1, exec_lo, v1
	v_not_b32_e32 v4, v6
	v_ashrrev_i32_e32 v3, 31, v3
	v_xor_b32_e32 v2, s13, v2
	v_cmp_gt_i32_e64 s13, 0, v6
	v_and_b32_e32 v1, v1, v26
	v_not_b32_e32 v6, v7
	v_ashrrev_i32_e32 v4, 31, v4
	v_xor_b32_e32 v3, s14, v3
	v_cmp_gt_i32_e64 s14, 0, v7
	v_and_b32_e32 v1, v1, v2
	;; [unrolled: 5-line block ×3, first 2 shown]
	v_not_b32_e32 v3, v5
	v_ashrrev_i32_e32 v2, 31, v2
	v_xor_b32_e32 v6, s14, v6
	v_lshlrev_b32_e32 v0, 2, v0
	v_and_b32_e32 v1, v1, v4
	v_cmp_gt_i32_e64 s14, 0, v5
	v_ashrrev_i32_e32 v3, 31, v3
	v_xor_b32_e32 v2, s13, v2
	v_add_lshl_u32 v4, v0, v73, 2
	v_and_b32_e32 v1, v1, v6
	s_delay_alu instid0(VALU_DEP_4) | instskip(SKIP_3) | instid1(VALU_DEP_2)
	v_xor_b32_e32 v0, s14, v3
	ds_load_b32 v25, v4 offset:16
	v_and_b32_e32 v1, v1, v2
	v_add_nc_u32_e32 v27, 16, v4
	; wave barrier
	v_and_b32_e32 v0, v1, v0
	s_delay_alu instid0(VALU_DEP_1) | instskip(SKIP_1) | instid1(VALU_DEP_2)
	v_mbcnt_lo_u32_b32 v26, v0, 0
	v_cmp_ne_u32_e64 s14, 0, v0
	v_cmp_eq_u32_e64 s13, 0, v26
	s_delay_alu instid0(VALU_DEP_1) | instskip(NEXT) | instid1(SALU_CYCLE_1)
	s_and_b32 s14, s13, s14
	s_and_saveexec_b32 s13, s14
	s_cbranch_execz .LBB351_18
; %bb.17:                               ;   in Loop: Header=BB351_4 Depth=2
	s_waitcnt lgkmcnt(0)
	v_bcnt_u32_b32 v0, v0, v25
	ds_store_b32 v27, v0
.LBB351_18:                             ;   in Loop: Header=BB351_4 Depth=2
	s_or_b32 exec_lo, exec_lo, s13
	v_lshrrev_b32_e32 v0, s29, v60
	v_lshrrev_b32_e32 v1, s26, v61
	; wave barrier
	s_delay_alu instid0(VALU_DEP_1) | instskip(NEXT) | instid1(VALU_DEP_1)
	v_and_b32_e32 v1, s27, v1
	v_dual_cndmask_b32 v1, 0, v1 :: v_dual_and_b32 v0, s30, v0
	s_delay_alu instid0(VALU_DEP_1) | instskip(NEXT) | instid1(VALU_DEP_1)
	v_lshlrev_b32_e32 v0, s28, v0
	v_cndmask_b32_e64 v0, 0, v0, s12
	s_delay_alu instid0(VALU_DEP_1) | instskip(NEXT) | instid1(VALU_DEP_1)
	v_or_b32_e32 v0, v1, v0
	v_and_b32_e32 v1, 1, v0
	v_lshlrev_b32_e32 v2, 30, v0
	v_lshlrev_b32_e32 v3, 29, v0
	;; [unrolled: 1-line block ×4, first 2 shown]
	v_add_co_u32 v1, s12, v1, -1
	s_delay_alu instid0(VALU_DEP_1)
	v_cndmask_b32_e64 v5, 0, 1, s12
	v_not_b32_e32 v29, v2
	v_cmp_gt_i32_e64 s12, 0, v2
	v_not_b32_e32 v2, v3
	v_lshlrev_b32_e32 v7, 26, v0
	v_cmp_ne_u32_e32 vcc_lo, 0, v5
	v_ashrrev_i32_e32 v29, 31, v29
	v_lshlrev_b32_e32 v28, 25, v0
	v_ashrrev_i32_e32 v2, 31, v2
	v_lshlrev_b32_e32 v5, 24, v0
	v_xor_b32_e32 v1, vcc_lo, v1
	v_cmp_gt_i32_e32 vcc_lo, 0, v3
	v_not_b32_e32 v3, v4
	v_xor_b32_e32 v29, s12, v29
	v_cmp_gt_i32_e64 s12, 0, v4
	v_and_b32_e32 v1, exec_lo, v1
	v_not_b32_e32 v4, v6
	v_ashrrev_i32_e32 v3, 31, v3
	v_xor_b32_e32 v2, vcc_lo, v2
	v_cmp_gt_i32_e32 vcc_lo, 0, v6
	v_and_b32_e32 v1, v1, v29
	v_not_b32_e32 v6, v7
	v_ashrrev_i32_e32 v4, 31, v4
	v_xor_b32_e32 v3, s12, v3
	v_cmp_gt_i32_e64 s12, 0, v7
	v_and_b32_e32 v1, v1, v2
	v_not_b32_e32 v2, v28
	v_ashrrev_i32_e32 v6, 31, v6
	v_xor_b32_e32 v4, vcc_lo, v4
	v_cmp_gt_i32_e32 vcc_lo, 0, v28
	v_and_b32_e32 v1, v1, v3
	v_not_b32_e32 v3, v5
	v_ashrrev_i32_e32 v2, 31, v2
	v_xor_b32_e32 v6, s12, v6
	v_lshlrev_b32_e32 v0, 2, v0
	v_and_b32_e32 v1, v1, v4
	v_cmp_gt_i32_e64 s12, 0, v5
	v_ashrrev_i32_e32 v3, 31, v3
	v_xor_b32_e32 v2, vcc_lo, v2
	v_add_lshl_u32 v4, v0, v73, 2
	v_and_b32_e32 v1, v1, v6
	s_delay_alu instid0(VALU_DEP_4) | instskip(SKIP_3) | instid1(VALU_DEP_2)
	v_xor_b32_e32 v0, s12, v3
	ds_load_b32 v28, v4 offset:16
	v_and_b32_e32 v1, v1, v2
	v_add_nc_u32_e32 v30, 16, v4
	; wave barrier
	v_and_b32_e32 v0, v1, v0
	s_delay_alu instid0(VALU_DEP_1) | instskip(SKIP_1) | instid1(VALU_DEP_2)
	v_mbcnt_lo_u32_b32 v29, v0, 0
	v_cmp_ne_u32_e64 s12, 0, v0
	v_cmp_eq_u32_e32 vcc_lo, 0, v29
	s_delay_alu instid0(VALU_DEP_2) | instskip(NEXT) | instid1(SALU_CYCLE_1)
	s_and_b32 s13, vcc_lo, s12
	s_and_saveexec_b32 s12, s13
	s_cbranch_execz .LBB351_20
; %bb.19:                               ;   in Loop: Header=BB351_4 Depth=2
	s_waitcnt lgkmcnt(0)
	v_bcnt_u32_b32 v0, v0, v28
	ds_store_b32 v30, v0
.LBB351_20:                             ;   in Loop: Header=BB351_4 Depth=2
	s_or_b32 exec_lo, exec_lo, s12
	; wave barrier
	s_waitcnt lgkmcnt(0)
	s_barrier
	buffer_gl0_inv
	ds_load_2addr_b64 v[4:7], v65 offset0:2 offset1:3
	ds_load_2addr_b64 v[0:3], v66 offset0:2 offset1:3
	s_waitcnt lgkmcnt(1)
	v_add_nc_u32_e32 v31, v5, v4
	s_delay_alu instid0(VALU_DEP_1) | instskip(SKIP_1) | instid1(VALU_DEP_1)
	v_add3_u32 v31, v31, v6, v7
	s_waitcnt lgkmcnt(0)
	v_add3_u32 v31, v31, v0, v1
	s_delay_alu instid0(VALU_DEP_1) | instskip(NEXT) | instid1(VALU_DEP_1)
	v_add3_u32 v3, v31, v2, v3
	v_mov_b32_dpp v31, v3 row_shr:1 row_mask:0xf bank_mask:0xf
	s_delay_alu instid0(VALU_DEP_1) | instskip(NEXT) | instid1(VALU_DEP_1)
	v_cndmask_b32_e64 v31, v31, 0, s1
	v_add_nc_u32_e32 v3, v31, v3
	s_delay_alu instid0(VALU_DEP_1) | instskip(NEXT) | instid1(VALU_DEP_1)
	v_mov_b32_dpp v31, v3 row_shr:2 row_mask:0xf bank_mask:0xf
	v_cndmask_b32_e64 v31, 0, v31, s2
	s_delay_alu instid0(VALU_DEP_1) | instskip(NEXT) | instid1(VALU_DEP_1)
	v_add_nc_u32_e32 v3, v3, v31
	v_mov_b32_dpp v31, v3 row_shr:4 row_mask:0xf bank_mask:0xf
	s_delay_alu instid0(VALU_DEP_1) | instskip(NEXT) | instid1(VALU_DEP_1)
	v_cndmask_b32_e64 v31, 0, v31, s3
	v_add_nc_u32_e32 v3, v3, v31
	s_delay_alu instid0(VALU_DEP_1) | instskip(NEXT) | instid1(VALU_DEP_1)
	v_mov_b32_dpp v31, v3 row_shr:8 row_mask:0xf bank_mask:0xf
	v_cndmask_b32_e64 v31, 0, v31, s4
	s_delay_alu instid0(VALU_DEP_1) | instskip(SKIP_3) | instid1(VALU_DEP_1)
	v_add_nc_u32_e32 v3, v3, v31
	ds_swizzle_b32 v31, v3 offset:swizzle(BROADCAST,32,15)
	s_waitcnt lgkmcnt(0)
	v_cndmask_b32_e64 v31, v31, 0, s5
	v_add_nc_u32_e32 v3, v3, v31
	s_and_saveexec_b32 s12, s11
	s_cbranch_execz .LBB351_22
; %bb.21:                               ;   in Loop: Header=BB351_4 Depth=2
	ds_store_b32 v68, v3
.LBB351_22:                             ;   in Loop: Header=BB351_4 Depth=2
	s_or_b32 exec_lo, exec_lo, s12
	s_waitcnt lgkmcnt(0)
	s_barrier
	buffer_gl0_inv
	s_and_saveexec_b32 s12, s6
	s_cbranch_execz .LBB351_24
; %bb.23:                               ;   in Loop: Header=BB351_4 Depth=2
	ds_load_b32 v31, v69
	s_waitcnt lgkmcnt(0)
	v_mov_b32_dpp v75, v31 row_shr:1 row_mask:0xf bank_mask:0xf
	s_delay_alu instid0(VALU_DEP_1) | instskip(NEXT) | instid1(VALU_DEP_1)
	v_cndmask_b32_e64 v75, v75, 0, s9
	v_add_nc_u32_e32 v31, v75, v31
	s_delay_alu instid0(VALU_DEP_1) | instskip(NEXT) | instid1(VALU_DEP_1)
	v_mov_b32_dpp v75, v31 row_shr:2 row_mask:0xf bank_mask:0xf
	v_cndmask_b32_e64 v75, 0, v75, s10
	s_delay_alu instid0(VALU_DEP_1)
	v_add_nc_u32_e32 v31, v31, v75
	ds_store_b32 v69, v31
.LBB351_24:                             ;   in Loop: Header=BB351_4 Depth=2
	s_or_b32 exec_lo, exec_lo, s12
	v_mov_b32_e32 v31, 0
	s_waitcnt lgkmcnt(0)
	s_barrier
	buffer_gl0_inv
	s_and_saveexec_b32 s12, s7
	s_cbranch_execz .LBB351_26
; %bb.25:                               ;   in Loop: Header=BB351_4 Depth=2
	ds_load_b32 v31, v72
.LBB351_26:                             ;   in Loop: Header=BB351_4 Depth=2
	s_or_b32 exec_lo, exec_lo, s12
	s_waitcnt lgkmcnt(0)
	v_add_nc_u32_e32 v3, v31, v3
	s_cmp_gt_u32 s26, 55
	ds_bpermute_b32 v3, v67, v3
	s_waitcnt lgkmcnt(0)
	v_cndmask_b32_e64 v3, v3, v31, s0
	s_delay_alu instid0(VALU_DEP_1) | instskip(NEXT) | instid1(VALU_DEP_1)
	v_cndmask_b32_e64 v3, v3, 0, s8
	v_add_nc_u32_e32 v4, v3, v4
	s_delay_alu instid0(VALU_DEP_1) | instskip(NEXT) | instid1(VALU_DEP_1)
	v_add_nc_u32_e32 v5, v4, v5
	v_add_nc_u32_e32 v6, v5, v6
	s_delay_alu instid0(VALU_DEP_1)
	v_add_nc_u32_e32 v75, v6, v7
	v_lshlrev_b32_e32 v7, 3, v12
	v_lshlrev_b32_e32 v12, 3, v13
	;; [unrolled: 1-line block ×4, first 2 shown]
	v_add_nc_u32_e32 v76, v75, v0
	s_delay_alu instid0(VALU_DEP_1) | instskip(NEXT) | instid1(VALU_DEP_1)
	v_add_nc_u32_e32 v0, v76, v1
	v_add_nc_u32_e32 v1, v0, v2
	v_lshlrev_b32_e32 v2, 3, v9
	v_lshlrev_b32_e32 v9, 3, v10
	ds_store_2addr_b64 v65, v[3:4], v[5:6] offset0:2 offset1:3
	ds_store_2addr_b64 v66, v[75:76], v[0:1] offset0:2 offset1:3
	s_waitcnt lgkmcnt(0)
	s_barrier
	buffer_gl0_inv
	ds_load_b32 v0, v8
	ds_load_b32 v1, v11
	;; [unrolled: 1-line block ×8, first 2 shown]
	v_lshlrev_b32_e32 v11, 3, v14
	v_lshlrev_b32_e32 v14, 3, v16
	v_lshlrev_b32_e32 v15, 3, v20
	v_lshlrev_b32_e32 v16, 3, v19
	v_lshlrev_b32_e32 v18, 3, v22
	v_lshlrev_b32_e32 v19, 3, v26
	v_lshlrev_b32_e32 v20, 3, v25
	v_lshlrev_b32_e32 v21, 3, v29
	v_lshlrev_b32_e32 v22, 3, v28
	s_waitcnt lgkmcnt(0)
	v_lshl_add_u32 v75, v0, 3, v2
	v_lshlrev_b32_e32 v0, 3, v1
	v_lshlrev_b32_e32 v1, 3, v3
	;; [unrolled: 1-line block ×7, first 2 shown]
	v_add3_u32 v76, v7, v9, v0
	v_add3_u32 v77, v11, v12, v1
	;; [unrolled: 1-line block ×7, first 2 shown]
	s_cbranch_scc0 .LBB351_3
; %bb.27:                               ;   in Loop: Header=BB351_2 Depth=1
                                        ; implicit-def: $sgpr26
                                        ; implicit-def: $vgpr20_vgpr21
                                        ; implicit-def: $vgpr24_vgpr25
                                        ; implicit-def: $vgpr28_vgpr29
                                        ; implicit-def: $vgpr16_vgpr17
                                        ; implicit-def: $vgpr0_vgpr1
                                        ; implicit-def: $vgpr4_vgpr5
                                        ; implicit-def: $vgpr8_vgpr9
                                        ; implicit-def: $vgpr12_vgpr13
                                        ; implicit-def: $sgpr25
                                        ; implicit-def: $sgpr24
	s_branch .LBB351_1
.LBB351_28:
	s_add_u32 s0, s18, s20
	s_waitcnt lgkmcnt(0)
	v_add_nc_u32_e32 v0, v1, v17
	s_addc_u32 s1, s19, s21
	v_add_co_u32 v17, s2, s0, v64
	v_add_nc_u32_e32 v1, v2, v18
	v_add_co_ci_u32_e64 v18, null, s1, 0, s2
	v_add_nc_u32_e32 v5, v5, v29
	v_add_nc_u32_e32 v6, v6, v30
	;; [unrolled: 1-line block ×6, first 2 shown]
	v_add_co_u32 v17, vcc_lo, 0x1000, v17
	v_add_nc_u32_e32 v11, v11, v27
	v_add_nc_u32_e32 v12, v12, v28
	;; [unrolled: 1-line block ×4, first 2 shown]
	v_add_co_ci_u32_e32 v18, vcc_lo, 0, v18, vcc_lo
	v_add_nc_u32_e32 v15, v15, v23
	v_add_nc_u32_e32 v16, v16, v24
	;; [unrolled: 1-line block ×4, first 2 shown]
	s_clause 0x7
	global_store_b64 v64, v[5:6], s[0:1]
	global_store_b64 v64, v[7:8], s[0:1] offset:1024
	global_store_b64 v64, v[9:10], s[0:1] offset:2048
	;; [unrolled: 1-line block ×3, first 2 shown]
	global_store_b64 v[17:18], v[13:14], off
	global_store_b64 v[17:18], v[15:16], off offset:1024
	global_store_b64 v[17:18], v[0:1], off offset:2048
	global_store_b64 v[17:18], v[2:3], off offset:3072
	s_nop 0
	s_sendmsg sendmsg(MSG_DEALLOC_VGPRS)
	s_endpgm
	.section	.rodata,"a",@progbits
	.p2align	6, 0x0
	.amdhsa_kernel _Z17sort_pairs_kernelI22helper_blocked_stripedN15benchmark_utils11custom_typeIiiEELj128ELj8ELj10EEvPKT0_PS4_
		.amdhsa_group_segment_fixed_size 8192
		.amdhsa_private_segment_fixed_size 0
		.amdhsa_kernarg_size 272
		.amdhsa_user_sgpr_count 15
		.amdhsa_user_sgpr_dispatch_ptr 0
		.amdhsa_user_sgpr_queue_ptr 0
		.amdhsa_user_sgpr_kernarg_segment_ptr 1
		.amdhsa_user_sgpr_dispatch_id 0
		.amdhsa_user_sgpr_private_segment_size 0
		.amdhsa_wavefront_size32 1
		.amdhsa_uses_dynamic_stack 0
		.amdhsa_enable_private_segment 0
		.amdhsa_system_sgpr_workgroup_id_x 1
		.amdhsa_system_sgpr_workgroup_id_y 0
		.amdhsa_system_sgpr_workgroup_id_z 0
		.amdhsa_system_sgpr_workgroup_info 0
		.amdhsa_system_vgpr_workitem_id 2
		.amdhsa_next_free_vgpr 83
		.amdhsa_next_free_sgpr 31
		.amdhsa_reserve_vcc 1
		.amdhsa_float_round_mode_32 0
		.amdhsa_float_round_mode_16_64 0
		.amdhsa_float_denorm_mode_32 3
		.amdhsa_float_denorm_mode_16_64 3
		.amdhsa_dx10_clamp 1
		.amdhsa_ieee_mode 1
		.amdhsa_fp16_overflow 0
		.amdhsa_workgroup_processor_mode 1
		.amdhsa_memory_ordered 1
		.amdhsa_forward_progress 0
		.amdhsa_shared_vgpr_count 0
		.amdhsa_exception_fp_ieee_invalid_op 0
		.amdhsa_exception_fp_denorm_src 0
		.amdhsa_exception_fp_ieee_div_zero 0
		.amdhsa_exception_fp_ieee_overflow 0
		.amdhsa_exception_fp_ieee_underflow 0
		.amdhsa_exception_fp_ieee_inexact 0
		.amdhsa_exception_int_div_zero 0
	.end_amdhsa_kernel
	.section	.text._Z17sort_pairs_kernelI22helper_blocked_stripedN15benchmark_utils11custom_typeIiiEELj128ELj8ELj10EEvPKT0_PS4_,"axG",@progbits,_Z17sort_pairs_kernelI22helper_blocked_stripedN15benchmark_utils11custom_typeIiiEELj128ELj8ELj10EEvPKT0_PS4_,comdat
.Lfunc_end351:
	.size	_Z17sort_pairs_kernelI22helper_blocked_stripedN15benchmark_utils11custom_typeIiiEELj128ELj8ELj10EEvPKT0_PS4_, .Lfunc_end351-_Z17sort_pairs_kernelI22helper_blocked_stripedN15benchmark_utils11custom_typeIiiEELj128ELj8ELj10EEvPKT0_PS4_
                                        ; -- End function
	.section	.AMDGPU.csdata,"",@progbits
; Kernel info:
; codeLenInByte = 5592
; NumSgprs: 33
; NumVgprs: 83
; ScratchSize: 0
; MemoryBound: 0
; FloatMode: 240
; IeeeMode: 1
; LDSByteSize: 8192 bytes/workgroup (compile time only)
; SGPRBlocks: 4
; VGPRBlocks: 10
; NumSGPRsForWavesPerEU: 33
; NumVGPRsForWavesPerEU: 83
; Occupancy: 16
; WaveLimiterHint : 1
; COMPUTE_PGM_RSRC2:SCRATCH_EN: 0
; COMPUTE_PGM_RSRC2:USER_SGPR: 15
; COMPUTE_PGM_RSRC2:TRAP_HANDLER: 0
; COMPUTE_PGM_RSRC2:TGID_X_EN: 1
; COMPUTE_PGM_RSRC2:TGID_Y_EN: 0
; COMPUTE_PGM_RSRC2:TGID_Z_EN: 0
; COMPUTE_PGM_RSRC2:TIDIG_COMP_CNT: 2
	.section	.text._Z16sort_keys_kernelI22helper_blocked_stripedN15benchmark_utils11custom_typeIiiEELj192ELj1ELj10EEvPKT0_PS4_,"axG",@progbits,_Z16sort_keys_kernelI22helper_blocked_stripedN15benchmark_utils11custom_typeIiiEELj192ELj1ELj10EEvPKT0_PS4_,comdat
	.protected	_Z16sort_keys_kernelI22helper_blocked_stripedN15benchmark_utils11custom_typeIiiEELj192ELj1ELj10EEvPKT0_PS4_ ; -- Begin function _Z16sort_keys_kernelI22helper_blocked_stripedN15benchmark_utils11custom_typeIiiEELj192ELj1ELj10EEvPKT0_PS4_
	.globl	_Z16sort_keys_kernelI22helper_blocked_stripedN15benchmark_utils11custom_typeIiiEELj192ELj1ELj10EEvPKT0_PS4_
	.p2align	8
	.type	_Z16sort_keys_kernelI22helper_blocked_stripedN15benchmark_utils11custom_typeIiiEELj192ELj1ELj10EEvPKT0_PS4_,@function
_Z16sort_keys_kernelI22helper_blocked_stripedN15benchmark_utils11custom_typeIiiEELj192ELj1ELj10EEvPKT0_PS4_: ; @_Z16sort_keys_kernelI22helper_blocked_stripedN15benchmark_utils11custom_typeIiiEELj192ELj1ELj10EEvPKT0_PS4_
; %bb.0:
	s_clause 0x1
	s_load_b128 s[16:19], s[0:1], 0x0
	s_load_b32 s11, s[0:1], 0x1c
	s_mov_b32 s23, 0
	s_mul_i32 s22, s15, 0xc0
	v_mbcnt_lo_u32_b32 v5, -1, 0
	s_lshl_b64 s[20:21], s[22:23], 3
	s_mov_b32 s22, s23
	v_bfe_u32 v3, v0, 10, 10
	s_delay_alu instid0(VALU_DEP_2) | instskip(SKIP_3) | instid1(VALU_DEP_4)
	v_dual_mov_b32 v11, s22 :: v_dual_and_b32 v6, 16, v5
	v_and_b32_e32 v4, 15, v5
	v_dual_mov_b32 v12, s23 :: v_dual_add_nc_u32 v7, -1, v5
	v_and_b32_e32 v13, 7, v5
	v_cmp_eq_u32_e64 s4, 0, v6
	s_delay_alu instid0(VALU_DEP_4)
	v_cmp_lt_u32_e64 s2, 3, v4
	v_cmp_lt_u32_e64 s3, 7, v4
	v_cmp_gt_i32_e64 s7, 0, v7
	v_cmp_eq_u32_e64 s8, 0, v13
	v_cmp_lt_u32_e64 s9, 1, v13
	s_waitcnt lgkmcnt(0)
	s_add_u32 s0, s16, s20
	s_addc_u32 s1, s17, s21
	s_mov_b32 s16, s23
	s_mov_b32 s17, s23
	v_dual_mov_b32 v9, s16 :: v_dual_and_b32 v8, 0x3ff, v0
	v_mov_b32_e32 v10, s17
	v_bfe_u32 v0, v0, 20, 10
	s_lshr_b32 s12, s11, 16
	s_delay_alu instid0(VALU_DEP_3)
	v_lshlrev_b32_e32 v1, 3, v8
	v_and_b32_e32 v6, 0xe0, v8
	v_lshlrev_b32_e32 v15, 5, v8
	v_mad_u32_u24 v0, v0, s12, v3
	v_cmp_lt_u32_e64 s10, 3, v13
	global_load_b64 v[1:2], v1, s[0:1]
	v_cmp_eq_u32_e64 s0, 0, v4
	v_cmp_lt_u32_e64 s1, 1, v4
	v_lshrrev_b32_e32 v4, 3, v8
	v_min_u32_e32 v13, 0xa0, v6
	s_and_b32 s11, s11, 0xffff
	v_cndmask_b32_e64 v7, v7, v5, s7
	v_lshlrev_b32_e32 v23, 2, v8
	v_and_b32_e32 v17, 28, v4
	v_mad_u64_u32 v[3:4], null, v0, s11, v[8:9]
	v_or_b32_e32 v0, v5, v6
	v_or_b32_e32 v4, 31, v13
	v_mad_i32_i24 v19, 0xffffffe4, v8, v15
	v_cmp_eq_u32_e32 vcc_lo, 0, v5
	v_cmp_gt_u32_e64 s5, 6, v8
	v_cmp_lt_u32_e64 s6, 31, v8
	v_cmp_eq_u32_e64 s7, 0, v8
	v_or_b32_e32 v16, 24, v15
	v_lshlrev_b32_e32 v18, 2, v7
	v_add_nc_u32_e32 v20, -4, v17
	v_lshlrev_b32_e32 v21, 3, v0
	v_cmp_eq_u32_e64 s11, v4, v8
	v_lshrrev_b32_e32 v22, 5, v3
	v_add_nc_u32_e32 v23, v19, v23
	s_mov_b32 s15, 10
	s_waitcnt vmcnt(0)
	v_xor_b32_e32 v13, 0x80000000, v1
	v_xor_b32_e32 v14, 0x80000000, v2
	s_branch .LBB352_2
.LBB352_1:                              ;   in Loop: Header=BB352_2 Depth=1
	s_or_b32 exec_lo, exec_lo, s12
	s_waitcnt lgkmcnt(0)
	v_add_nc_u32_e32 v3, v26, v3
	s_add_i32 s15, s15, -1
	s_delay_alu instid0(SALU_CYCLE_1) | instskip(SKIP_3) | instid1(VALU_DEP_1)
	s_cmp_eq_u32 s15, 0
	ds_bpermute_b32 v3, v18, v3
	s_waitcnt lgkmcnt(0)
	v_cndmask_b32_e32 v3, v3, v26, vcc_lo
	v_cndmask_b32_e64 v3, v3, 0, s7
	s_delay_alu instid0(VALU_DEP_1) | instskip(NEXT) | instid1(VALU_DEP_1)
	v_add_nc_u32_e32 v4, v3, v4
	v_add_nc_u32_e32 v5, v4, v5
	s_delay_alu instid0(VALU_DEP_1) | instskip(NEXT) | instid1(VALU_DEP_1)
	v_add_nc_u32_e32 v6, v5, v6
	v_add_nc_u32_e32 v26, v6, v7
	;; [unrolled: 3-line block ×3, first 2 shown]
	s_delay_alu instid0(VALU_DEP_1)
	v_add_nc_u32_e32 v1, v0, v2
	ds_store_2addr_b64 v15, v[3:4], v[5:6] offset0:3 offset1:4
	ds_store_2addr_b64 v16, v[26:27], v[0:1] offset0:2 offset1:3
	s_waitcnt lgkmcnt(0)
	s_barrier
	buffer_gl0_inv
	ds_load_b32 v0, v25
	v_lshlrev_b32_e32 v1, 3, v24
	s_waitcnt lgkmcnt(0)
	s_barrier
	buffer_gl0_inv
	v_lshl_add_u32 v0, v0, 3, v1
	ds_store_b64 v0, v[13:14]
	s_waitcnt lgkmcnt(0)
	s_barrier
	buffer_gl0_inv
	ds_load_b64 v[13:14], v23
	s_cbranch_scc1 .LBB352_66
.LBB352_2:                              ; =>This Inner Loop Header: Depth=1
	s_waitcnt lgkmcnt(0)
	s_delay_alu instid0(VALU_DEP_1)
	v_and_b32_e32 v0, 1, v14
	v_lshlrev_b32_e32 v1, 30, v14
	v_lshlrev_b32_e32 v2, 29, v14
	;; [unrolled: 1-line block ×4, first 2 shown]
	v_add_co_u32 v0, s12, v0, -1
	s_delay_alu instid0(VALU_DEP_1)
	v_cndmask_b32_e64 v3, 0, 1, s12
	v_not_b32_e32 v7, v1
	v_cmp_gt_i32_e64 s13, 0, v1
	v_not_b32_e32 v1, v2
	v_lshlrev_b32_e32 v6, 26, v14
	v_cmp_ne_u32_e64 s12, 0, v3
	v_ashrrev_i32_e32 v7, 31, v7
	v_lshlrev_b32_e32 v3, 25, v14
	v_ashrrev_i32_e32 v1, 31, v1
	v_cmp_gt_i32_e64 s14, 0, v5
	v_xor_b32_e32 v0, s12, v0
	v_cmp_gt_i32_e64 s12, 0, v2
	v_not_b32_e32 v2, v4
	v_xor_b32_e32 v7, s13, v7
	v_cmp_gt_i32_e64 s13, 0, v4
	v_and_b32_e32 v0, exec_lo, v0
	v_xor_b32_e32 v1, s12, v1
	v_ashrrev_i32_e32 v2, 31, v2
	v_not_b32_e32 v4, v5
	v_not_b32_e32 v5, v6
	v_and_b32_e32 v0, v0, v7
	v_cmp_gt_i32_e64 s12, 0, v6
	v_xor_b32_e32 v2, s13, v2
	v_not_b32_e32 v6, v3
	ds_store_2addr_b64 v15, v[11:12], v[9:10] offset0:3 offset1:4
	ds_store_2addr_b64 v16, v[11:12], v[9:10] offset0:2 offset1:3
	v_and_b32_e32 v0, v0, v1
	v_ashrrev_i32_e32 v1, 31, v4
	v_ashrrev_i32_e32 v4, 31, v5
	v_lshlrev_b32_e32 v5, 24, v14
	s_waitcnt lgkmcnt(0)
	v_and_b32_e32 v0, v0, v2
	v_xor_b32_e32 v1, s14, v1
	v_xor_b32_e32 v2, s12, v4
	v_cmp_gt_i32_e64 s12, 0, v3
	v_not_b32_e32 v3, v5
	v_ashrrev_i32_e32 v4, 31, v6
	v_and_b32_e32 v0, v0, v1
	v_cmp_gt_i32_e64 s13, 0, v5
	s_barrier
	v_ashrrev_i32_e32 v1, 31, v3
	v_xor_b32_e32 v3, s12, v4
	v_and_b32_e32 v0, v0, v2
	buffer_gl0_inv
	v_xor_b32_e32 v1, s13, v1
	; wave barrier
	v_and_b32_e32 v0, v0, v3
	s_delay_alu instid0(VALU_DEP_1) | instskip(SKIP_1) | instid1(VALU_DEP_2)
	v_and_b32_e32 v0, v0, v1
	v_and_b32_e32 v1, 0xff, v14
	v_mbcnt_lo_u32_b32 v24, v0, 0
	s_delay_alu instid0(VALU_DEP_2) | instskip(SKIP_1) | instid1(VALU_DEP_3)
	v_mad_u32_u24 v1, v1, 6, v22
	v_cmp_ne_u32_e64 s13, 0, v0
	v_cmp_eq_u32_e64 s12, 0, v24
	s_delay_alu instid0(VALU_DEP_3) | instskip(NEXT) | instid1(VALU_DEP_2)
	v_lshl_add_u32 v25, v1, 2, 24
	s_and_b32 s13, s13, s12
	s_delay_alu instid0(SALU_CYCLE_1)
	s_and_saveexec_b32 s12, s13
	s_cbranch_execz .LBB352_4
; %bb.3:                                ;   in Loop: Header=BB352_2 Depth=1
	v_bcnt_u32_b32 v0, v0, 0
	ds_store_b32 v25, v0
.LBB352_4:                              ;   in Loop: Header=BB352_2 Depth=1
	s_or_b32 exec_lo, exec_lo, s12
	; wave barrier
	s_waitcnt lgkmcnt(0)
	s_barrier
	buffer_gl0_inv
	ds_load_2addr_b64 v[4:7], v15 offset0:3 offset1:4
	ds_load_2addr_b64 v[0:3], v16 offset0:2 offset1:3
	s_waitcnt lgkmcnt(1)
	v_add_nc_u32_e32 v26, v5, v4
	s_delay_alu instid0(VALU_DEP_1) | instskip(SKIP_1) | instid1(VALU_DEP_1)
	v_add3_u32 v26, v26, v6, v7
	s_waitcnt lgkmcnt(0)
	v_add3_u32 v26, v26, v0, v1
	s_delay_alu instid0(VALU_DEP_1) | instskip(NEXT) | instid1(VALU_DEP_1)
	v_add3_u32 v3, v26, v2, v3
	v_mov_b32_dpp v26, v3 row_shr:1 row_mask:0xf bank_mask:0xf
	s_delay_alu instid0(VALU_DEP_1) | instskip(NEXT) | instid1(VALU_DEP_1)
	v_cndmask_b32_e64 v26, v26, 0, s0
	v_add_nc_u32_e32 v3, v26, v3
	s_delay_alu instid0(VALU_DEP_1) | instskip(NEXT) | instid1(VALU_DEP_1)
	v_mov_b32_dpp v26, v3 row_shr:2 row_mask:0xf bank_mask:0xf
	v_cndmask_b32_e64 v26, 0, v26, s1
	s_delay_alu instid0(VALU_DEP_1) | instskip(NEXT) | instid1(VALU_DEP_1)
	v_add_nc_u32_e32 v3, v3, v26
	v_mov_b32_dpp v26, v3 row_shr:4 row_mask:0xf bank_mask:0xf
	s_delay_alu instid0(VALU_DEP_1) | instskip(NEXT) | instid1(VALU_DEP_1)
	v_cndmask_b32_e64 v26, 0, v26, s2
	v_add_nc_u32_e32 v3, v3, v26
	s_delay_alu instid0(VALU_DEP_1) | instskip(NEXT) | instid1(VALU_DEP_1)
	v_mov_b32_dpp v26, v3 row_shr:8 row_mask:0xf bank_mask:0xf
	v_cndmask_b32_e64 v26, 0, v26, s3
	s_delay_alu instid0(VALU_DEP_1) | instskip(SKIP_3) | instid1(VALU_DEP_1)
	v_add_nc_u32_e32 v3, v3, v26
	ds_swizzle_b32 v26, v3 offset:swizzle(BROADCAST,32,15)
	s_waitcnt lgkmcnt(0)
	v_cndmask_b32_e64 v26, v26, 0, s4
	v_add_nc_u32_e32 v3, v3, v26
	s_and_saveexec_b32 s12, s11
	s_cbranch_execz .LBB352_6
; %bb.5:                                ;   in Loop: Header=BB352_2 Depth=1
	ds_store_b32 v17, v3
.LBB352_6:                              ;   in Loop: Header=BB352_2 Depth=1
	s_or_b32 exec_lo, exec_lo, s12
	s_waitcnt lgkmcnt(0)
	s_barrier
	buffer_gl0_inv
	s_and_saveexec_b32 s12, s5
	s_cbranch_execz .LBB352_8
; %bb.7:                                ;   in Loop: Header=BB352_2 Depth=1
	ds_load_b32 v26, v19
	s_waitcnt lgkmcnt(0)
	v_mov_b32_dpp v27, v26 row_shr:1 row_mask:0xf bank_mask:0xf
	s_delay_alu instid0(VALU_DEP_1) | instskip(NEXT) | instid1(VALU_DEP_1)
	v_cndmask_b32_e64 v27, v27, 0, s8
	v_add_nc_u32_e32 v26, v27, v26
	s_delay_alu instid0(VALU_DEP_1) | instskip(NEXT) | instid1(VALU_DEP_1)
	v_mov_b32_dpp v27, v26 row_shr:2 row_mask:0xf bank_mask:0xf
	v_cndmask_b32_e64 v27, 0, v27, s9
	s_delay_alu instid0(VALU_DEP_1) | instskip(NEXT) | instid1(VALU_DEP_1)
	v_add_nc_u32_e32 v26, v26, v27
	v_mov_b32_dpp v27, v26 row_shr:4 row_mask:0xf bank_mask:0xf
	s_delay_alu instid0(VALU_DEP_1) | instskip(NEXT) | instid1(VALU_DEP_1)
	v_cndmask_b32_e64 v27, 0, v27, s10
	v_add_nc_u32_e32 v26, v26, v27
	ds_store_b32 v19, v26
.LBB352_8:                              ;   in Loop: Header=BB352_2 Depth=1
	s_or_b32 exec_lo, exec_lo, s12
	v_mov_b32_e32 v26, 0
	s_waitcnt lgkmcnt(0)
	s_barrier
	buffer_gl0_inv
	s_and_saveexec_b32 s12, s6
	s_cbranch_execz .LBB352_10
; %bb.9:                                ;   in Loop: Header=BB352_2 Depth=1
	ds_load_b32 v26, v20
.LBB352_10:                             ;   in Loop: Header=BB352_2 Depth=1
	s_or_b32 exec_lo, exec_lo, s12
	s_waitcnt lgkmcnt(0)
	v_add_nc_u32_e32 v3, v26, v3
	ds_bpermute_b32 v3, v18, v3
	s_waitcnt lgkmcnt(0)
	v_cndmask_b32_e32 v3, v3, v26, vcc_lo
	s_delay_alu instid0(VALU_DEP_1) | instskip(NEXT) | instid1(VALU_DEP_1)
	v_cndmask_b32_e64 v3, v3, 0, s7
	v_add_nc_u32_e32 v4, v3, v4
	s_delay_alu instid0(VALU_DEP_1) | instskip(NEXT) | instid1(VALU_DEP_1)
	v_add_nc_u32_e32 v5, v4, v5
	v_add_nc_u32_e32 v6, v5, v6
	s_delay_alu instid0(VALU_DEP_1) | instskip(NEXT) | instid1(VALU_DEP_1)
	v_add_nc_u32_e32 v26, v6, v7
	;; [unrolled: 3-line block ×3, first 2 shown]
	v_add_nc_u32_e32 v1, v0, v2
	ds_store_2addr_b64 v15, v[3:4], v[5:6] offset0:3 offset1:4
	ds_store_2addr_b64 v16, v[26:27], v[0:1] offset0:2 offset1:3
	s_waitcnt lgkmcnt(0)
	s_barrier
	buffer_gl0_inv
	ds_load_b32 v0, v25
	v_lshlrev_b32_e32 v1, 3, v24
	s_waitcnt lgkmcnt(0)
	s_barrier
	buffer_gl0_inv
	v_lshl_add_u32 v0, v0, 3, v1
	ds_store_b64 v0, v[13:14]
	s_waitcnt lgkmcnt(0)
	s_barrier
	buffer_gl0_inv
	ds_load_b64 v[13:14], v21
	s_waitcnt lgkmcnt(0)
	s_barrier
	buffer_gl0_inv
	ds_store_2addr_b64 v15, v[11:12], v[9:10] offset0:3 offset1:4
	ds_store_2addr_b64 v16, v[11:12], v[9:10] offset0:2 offset1:3
	s_waitcnt lgkmcnt(0)
	s_barrier
	buffer_gl0_inv
	; wave barrier
	v_bfe_u32 v0, v14, 8, 1
	v_lshrrev_b32_e32 v1, 8, v14
	s_delay_alu instid0(VALU_DEP_2) | instskip(NEXT) | instid1(VALU_DEP_1)
	v_add_co_u32 v0, s12, v0, -1
	v_cndmask_b32_e64 v2, 0, 1, s12
	s_delay_alu instid0(VALU_DEP_3)
	v_lshlrev_b32_e32 v3, 30, v1
	v_lshlrev_b32_e32 v4, 29, v1
	;; [unrolled: 1-line block ×4, first 2 shown]
	v_cmp_ne_u32_e64 s12, 0, v2
	v_not_b32_e32 v2, v3
	v_cmp_gt_i32_e64 s13, 0, v3
	v_not_b32_e32 v3, v4
	v_lshlrev_b32_e32 v7, 26, v1
	v_xor_b32_e32 v0, s12, v0
	v_ashrrev_i32_e32 v2, 31, v2
	v_cmp_gt_i32_e64 s12, 0, v4
	v_not_b32_e32 v4, v5
	v_ashrrev_i32_e32 v3, 31, v3
	v_and_b32_e32 v0, exec_lo, v0
	v_xor_b32_e32 v2, s13, v2
	v_cmp_gt_i32_e64 s13, 0, v5
	v_not_b32_e32 v5, v6
	v_ashrrev_i32_e32 v4, 31, v4
	v_xor_b32_e32 v3, s12, v3
	v_and_b32_e32 v0, v0, v2
	v_lshlrev_b32_e32 v24, 25, v1
	v_cmp_gt_i32_e64 s12, 0, v6
	v_not_b32_e32 v2, v7
	v_ashrrev_i32_e32 v5, 31, v5
	v_xor_b32_e32 v4, s13, v4
	v_and_b32_e32 v0, v0, v3
	v_lshlrev_b32_e32 v1, 24, v1
	v_cmp_gt_i32_e64 s13, 0, v7
	v_not_b32_e32 v3, v24
	v_ashrrev_i32_e32 v2, 31, v2
	v_xor_b32_e32 v5, s12, v5
	v_and_b32_e32 v0, v0, v4
	v_cmp_gt_i32_e64 s12, 0, v24
	v_not_b32_e32 v4, v1
	v_ashrrev_i32_e32 v3, 31, v3
	v_xor_b32_e32 v2, s13, v2
	v_and_b32_e32 v0, v0, v5
	v_cmp_gt_i32_e64 s13, 0, v1
	v_ashrrev_i32_e32 v1, 31, v4
	v_xor_b32_e32 v3, s12, v3
	s_delay_alu instid0(VALU_DEP_4) | instskip(NEXT) | instid1(VALU_DEP_3)
	v_and_b32_e32 v0, v0, v2
	v_xor_b32_e32 v1, s13, v1
	s_delay_alu instid0(VALU_DEP_2) | instskip(NEXT) | instid1(VALU_DEP_1)
	v_and_b32_e32 v0, v0, v3
	v_and_b32_e32 v0, v0, v1
	v_bfe_u32 v1, v14, 8, 8
	s_delay_alu instid0(VALU_DEP_2) | instskip(NEXT) | instid1(VALU_DEP_2)
	v_mbcnt_lo_u32_b32 v24, v0, 0
	v_mad_u32_u24 v1, v1, 6, v22
	v_cmp_ne_u32_e64 s13, 0, v0
	s_delay_alu instid0(VALU_DEP_3) | instskip(NEXT) | instid1(VALU_DEP_3)
	v_cmp_eq_u32_e64 s12, 0, v24
	v_lshl_add_u32 v25, v1, 2, 24
	s_delay_alu instid0(VALU_DEP_2) | instskip(NEXT) | instid1(SALU_CYCLE_1)
	s_and_b32 s13, s13, s12
	s_and_saveexec_b32 s12, s13
	s_cbranch_execz .LBB352_12
; %bb.11:                               ;   in Loop: Header=BB352_2 Depth=1
	v_bcnt_u32_b32 v0, v0, 0
	ds_store_b32 v25, v0
.LBB352_12:                             ;   in Loop: Header=BB352_2 Depth=1
	s_or_b32 exec_lo, exec_lo, s12
	; wave barrier
	s_waitcnt lgkmcnt(0)
	s_barrier
	buffer_gl0_inv
	ds_load_2addr_b64 v[4:7], v15 offset0:3 offset1:4
	ds_load_2addr_b64 v[0:3], v16 offset0:2 offset1:3
	s_waitcnt lgkmcnt(1)
	v_add_nc_u32_e32 v26, v5, v4
	s_delay_alu instid0(VALU_DEP_1) | instskip(SKIP_1) | instid1(VALU_DEP_1)
	v_add3_u32 v26, v26, v6, v7
	s_waitcnt lgkmcnt(0)
	v_add3_u32 v26, v26, v0, v1
	s_delay_alu instid0(VALU_DEP_1) | instskip(NEXT) | instid1(VALU_DEP_1)
	v_add3_u32 v3, v26, v2, v3
	v_mov_b32_dpp v26, v3 row_shr:1 row_mask:0xf bank_mask:0xf
	s_delay_alu instid0(VALU_DEP_1) | instskip(NEXT) | instid1(VALU_DEP_1)
	v_cndmask_b32_e64 v26, v26, 0, s0
	v_add_nc_u32_e32 v3, v26, v3
	s_delay_alu instid0(VALU_DEP_1) | instskip(NEXT) | instid1(VALU_DEP_1)
	v_mov_b32_dpp v26, v3 row_shr:2 row_mask:0xf bank_mask:0xf
	v_cndmask_b32_e64 v26, 0, v26, s1
	s_delay_alu instid0(VALU_DEP_1) | instskip(NEXT) | instid1(VALU_DEP_1)
	v_add_nc_u32_e32 v3, v3, v26
	v_mov_b32_dpp v26, v3 row_shr:4 row_mask:0xf bank_mask:0xf
	s_delay_alu instid0(VALU_DEP_1) | instskip(NEXT) | instid1(VALU_DEP_1)
	v_cndmask_b32_e64 v26, 0, v26, s2
	v_add_nc_u32_e32 v3, v3, v26
	s_delay_alu instid0(VALU_DEP_1) | instskip(NEXT) | instid1(VALU_DEP_1)
	v_mov_b32_dpp v26, v3 row_shr:8 row_mask:0xf bank_mask:0xf
	v_cndmask_b32_e64 v26, 0, v26, s3
	s_delay_alu instid0(VALU_DEP_1) | instskip(SKIP_3) | instid1(VALU_DEP_1)
	v_add_nc_u32_e32 v3, v3, v26
	ds_swizzle_b32 v26, v3 offset:swizzle(BROADCAST,32,15)
	s_waitcnt lgkmcnt(0)
	v_cndmask_b32_e64 v26, v26, 0, s4
	v_add_nc_u32_e32 v3, v3, v26
	s_and_saveexec_b32 s12, s11
	s_cbranch_execz .LBB352_14
; %bb.13:                               ;   in Loop: Header=BB352_2 Depth=1
	ds_store_b32 v17, v3
.LBB352_14:                             ;   in Loop: Header=BB352_2 Depth=1
	s_or_b32 exec_lo, exec_lo, s12
	s_waitcnt lgkmcnt(0)
	s_barrier
	buffer_gl0_inv
	s_and_saveexec_b32 s12, s5
	s_cbranch_execz .LBB352_16
; %bb.15:                               ;   in Loop: Header=BB352_2 Depth=1
	ds_load_b32 v26, v19
	s_waitcnt lgkmcnt(0)
	v_mov_b32_dpp v27, v26 row_shr:1 row_mask:0xf bank_mask:0xf
	s_delay_alu instid0(VALU_DEP_1) | instskip(NEXT) | instid1(VALU_DEP_1)
	v_cndmask_b32_e64 v27, v27, 0, s8
	v_add_nc_u32_e32 v26, v27, v26
	s_delay_alu instid0(VALU_DEP_1) | instskip(NEXT) | instid1(VALU_DEP_1)
	v_mov_b32_dpp v27, v26 row_shr:2 row_mask:0xf bank_mask:0xf
	v_cndmask_b32_e64 v27, 0, v27, s9
	s_delay_alu instid0(VALU_DEP_1) | instskip(NEXT) | instid1(VALU_DEP_1)
	v_add_nc_u32_e32 v26, v26, v27
	v_mov_b32_dpp v27, v26 row_shr:4 row_mask:0xf bank_mask:0xf
	s_delay_alu instid0(VALU_DEP_1) | instskip(NEXT) | instid1(VALU_DEP_1)
	v_cndmask_b32_e64 v27, 0, v27, s10
	v_add_nc_u32_e32 v26, v26, v27
	ds_store_b32 v19, v26
.LBB352_16:                             ;   in Loop: Header=BB352_2 Depth=1
	s_or_b32 exec_lo, exec_lo, s12
	v_mov_b32_e32 v26, 0
	s_waitcnt lgkmcnt(0)
	s_barrier
	buffer_gl0_inv
	s_and_saveexec_b32 s12, s6
	s_cbranch_execz .LBB352_18
; %bb.17:                               ;   in Loop: Header=BB352_2 Depth=1
	ds_load_b32 v26, v20
.LBB352_18:                             ;   in Loop: Header=BB352_2 Depth=1
	s_or_b32 exec_lo, exec_lo, s12
	s_waitcnt lgkmcnt(0)
	v_add_nc_u32_e32 v3, v26, v3
	ds_bpermute_b32 v3, v18, v3
	s_waitcnt lgkmcnt(0)
	v_cndmask_b32_e32 v3, v3, v26, vcc_lo
	s_delay_alu instid0(VALU_DEP_1) | instskip(NEXT) | instid1(VALU_DEP_1)
	v_cndmask_b32_e64 v3, v3, 0, s7
	v_add_nc_u32_e32 v4, v3, v4
	s_delay_alu instid0(VALU_DEP_1) | instskip(NEXT) | instid1(VALU_DEP_1)
	v_add_nc_u32_e32 v5, v4, v5
	v_add_nc_u32_e32 v6, v5, v6
	s_delay_alu instid0(VALU_DEP_1) | instskip(NEXT) | instid1(VALU_DEP_1)
	v_add_nc_u32_e32 v26, v6, v7
	;; [unrolled: 3-line block ×3, first 2 shown]
	v_add_nc_u32_e32 v1, v0, v2
	ds_store_2addr_b64 v15, v[3:4], v[5:6] offset0:3 offset1:4
	ds_store_2addr_b64 v16, v[26:27], v[0:1] offset0:2 offset1:3
	s_waitcnt lgkmcnt(0)
	s_barrier
	buffer_gl0_inv
	ds_load_b32 v0, v25
	v_lshlrev_b32_e32 v1, 3, v24
	s_waitcnt lgkmcnt(0)
	s_barrier
	buffer_gl0_inv
	v_lshl_add_u32 v0, v0, 3, v1
	ds_store_b64 v0, v[13:14]
	s_waitcnt lgkmcnt(0)
	s_barrier
	buffer_gl0_inv
	ds_load_b64 v[13:14], v21
	s_waitcnt lgkmcnt(0)
	s_barrier
	buffer_gl0_inv
	v_bfe_u32 v0, v14, 16, 1
	v_lshrrev_b32_e32 v1, 16, v14
	s_delay_alu instid0(VALU_DEP_2) | instskip(NEXT) | instid1(VALU_DEP_1)
	v_add_co_u32 v0, s12, v0, -1
	v_cndmask_b32_e64 v2, 0, 1, s12
	s_delay_alu instid0(VALU_DEP_3)
	v_lshlrev_b32_e32 v3, 30, v1
	v_lshlrev_b32_e32 v4, 29, v1
	;; [unrolled: 1-line block ×4, first 2 shown]
	v_cmp_ne_u32_e64 s12, 0, v2
	v_not_b32_e32 v2, v3
	v_cmp_gt_i32_e64 s13, 0, v3
	v_not_b32_e32 v3, v4
	v_lshlrev_b32_e32 v7, 26, v1
	v_xor_b32_e32 v0, s12, v0
	v_ashrrev_i32_e32 v2, 31, v2
	v_cmp_gt_i32_e64 s12, 0, v4
	v_not_b32_e32 v4, v5
	v_ashrrev_i32_e32 v3, 31, v3
	v_and_b32_e32 v0, exec_lo, v0
	v_xor_b32_e32 v2, s13, v2
	v_cmp_gt_i32_e64 s13, 0, v5
	v_not_b32_e32 v5, v6
	v_ashrrev_i32_e32 v4, 31, v4
	v_xor_b32_e32 v3, s12, v3
	v_and_b32_e32 v0, v0, v2
	v_lshlrev_b32_e32 v24, 25, v1
	v_cmp_gt_i32_e64 s12, 0, v6
	v_not_b32_e32 v2, v7
	v_ashrrev_i32_e32 v5, 31, v5
	v_xor_b32_e32 v4, s13, v4
	v_and_b32_e32 v0, v0, v3
	v_lshlrev_b32_e32 v1, 24, v1
	v_cmp_gt_i32_e64 s13, 0, v7
	v_not_b32_e32 v3, v24
	v_ashrrev_i32_e32 v2, 31, v2
	v_xor_b32_e32 v5, s12, v5
	v_and_b32_e32 v0, v0, v4
	v_cmp_gt_i32_e64 s12, 0, v24
	v_not_b32_e32 v4, v1
	v_ashrrev_i32_e32 v3, 31, v3
	v_xor_b32_e32 v2, s13, v2
	v_and_b32_e32 v0, v0, v5
	v_cmp_gt_i32_e64 s13, 0, v1
	v_ashrrev_i32_e32 v1, 31, v4
	v_xor_b32_e32 v3, s12, v3
	s_delay_alu instid0(VALU_DEP_4) | instskip(NEXT) | instid1(VALU_DEP_3)
	v_and_b32_e32 v0, v0, v2
	v_xor_b32_e32 v5, s13, v1
	v_dual_mov_b32 v1, s22 :: v_dual_mov_b32 v2, s23
	s_delay_alu instid0(VALU_DEP_3)
	v_dual_mov_b32 v3, s16 :: v_dual_and_b32 v0, v0, v3
	v_mov_b32_e32 v4, s17
	ds_store_2addr_b64 v15, v[1:2], v[3:4] offset0:3 offset1:4
	ds_store_2addr_b64 v16, v[1:2], v[3:4] offset0:2 offset1:3
	v_and_b32_e32 v0, v0, v5
	v_bfe_u32 v5, v14, 16, 8
	s_waitcnt lgkmcnt(0)
	s_barrier
	buffer_gl0_inv
	v_mbcnt_lo_u32_b32 v24, v0, 0
	v_mad_u32_u24 v1, v5, 6, v22
	v_cmp_ne_u32_e64 s13, 0, v0
	; wave barrier
	s_delay_alu instid0(VALU_DEP_3) | instskip(NEXT) | instid1(VALU_DEP_3)
	v_cmp_eq_u32_e64 s12, 0, v24
	v_lshl_add_u32 v25, v1, 2, 24
	s_delay_alu instid0(VALU_DEP_2) | instskip(NEXT) | instid1(SALU_CYCLE_1)
	s_and_b32 s13, s13, s12
	s_and_saveexec_b32 s12, s13
	s_cbranch_execz .LBB352_20
; %bb.19:                               ;   in Loop: Header=BB352_2 Depth=1
	v_bcnt_u32_b32 v0, v0, 0
	ds_store_b32 v25, v0
.LBB352_20:                             ;   in Loop: Header=BB352_2 Depth=1
	s_or_b32 exec_lo, exec_lo, s12
	; wave barrier
	s_waitcnt lgkmcnt(0)
	s_barrier
	buffer_gl0_inv
	ds_load_2addr_b64 v[4:7], v15 offset0:3 offset1:4
	ds_load_2addr_b64 v[0:3], v16 offset0:2 offset1:3
	s_waitcnt lgkmcnt(1)
	v_add_nc_u32_e32 v26, v5, v4
	s_delay_alu instid0(VALU_DEP_1) | instskip(SKIP_1) | instid1(VALU_DEP_1)
	v_add3_u32 v26, v26, v6, v7
	s_waitcnt lgkmcnt(0)
	v_add3_u32 v26, v26, v0, v1
	s_delay_alu instid0(VALU_DEP_1) | instskip(NEXT) | instid1(VALU_DEP_1)
	v_add3_u32 v3, v26, v2, v3
	v_mov_b32_dpp v26, v3 row_shr:1 row_mask:0xf bank_mask:0xf
	s_delay_alu instid0(VALU_DEP_1) | instskip(NEXT) | instid1(VALU_DEP_1)
	v_cndmask_b32_e64 v26, v26, 0, s0
	v_add_nc_u32_e32 v3, v26, v3
	s_delay_alu instid0(VALU_DEP_1) | instskip(NEXT) | instid1(VALU_DEP_1)
	v_mov_b32_dpp v26, v3 row_shr:2 row_mask:0xf bank_mask:0xf
	v_cndmask_b32_e64 v26, 0, v26, s1
	s_delay_alu instid0(VALU_DEP_1) | instskip(NEXT) | instid1(VALU_DEP_1)
	v_add_nc_u32_e32 v3, v3, v26
	v_mov_b32_dpp v26, v3 row_shr:4 row_mask:0xf bank_mask:0xf
	s_delay_alu instid0(VALU_DEP_1) | instskip(NEXT) | instid1(VALU_DEP_1)
	v_cndmask_b32_e64 v26, 0, v26, s2
	v_add_nc_u32_e32 v3, v3, v26
	s_delay_alu instid0(VALU_DEP_1) | instskip(NEXT) | instid1(VALU_DEP_1)
	v_mov_b32_dpp v26, v3 row_shr:8 row_mask:0xf bank_mask:0xf
	v_cndmask_b32_e64 v26, 0, v26, s3
	s_delay_alu instid0(VALU_DEP_1) | instskip(SKIP_3) | instid1(VALU_DEP_1)
	v_add_nc_u32_e32 v3, v3, v26
	ds_swizzle_b32 v26, v3 offset:swizzle(BROADCAST,32,15)
	s_waitcnt lgkmcnt(0)
	v_cndmask_b32_e64 v26, v26, 0, s4
	v_add_nc_u32_e32 v3, v3, v26
	s_and_saveexec_b32 s12, s11
	s_cbranch_execz .LBB352_22
; %bb.21:                               ;   in Loop: Header=BB352_2 Depth=1
	ds_store_b32 v17, v3
.LBB352_22:                             ;   in Loop: Header=BB352_2 Depth=1
	s_or_b32 exec_lo, exec_lo, s12
	s_waitcnt lgkmcnt(0)
	s_barrier
	buffer_gl0_inv
	s_and_saveexec_b32 s12, s5
	s_cbranch_execz .LBB352_24
; %bb.23:                               ;   in Loop: Header=BB352_2 Depth=1
	ds_load_b32 v26, v19
	s_waitcnt lgkmcnt(0)
	v_mov_b32_dpp v27, v26 row_shr:1 row_mask:0xf bank_mask:0xf
	s_delay_alu instid0(VALU_DEP_1) | instskip(NEXT) | instid1(VALU_DEP_1)
	v_cndmask_b32_e64 v27, v27, 0, s8
	v_add_nc_u32_e32 v26, v27, v26
	s_delay_alu instid0(VALU_DEP_1) | instskip(NEXT) | instid1(VALU_DEP_1)
	v_mov_b32_dpp v27, v26 row_shr:2 row_mask:0xf bank_mask:0xf
	v_cndmask_b32_e64 v27, 0, v27, s9
	s_delay_alu instid0(VALU_DEP_1) | instskip(NEXT) | instid1(VALU_DEP_1)
	v_add_nc_u32_e32 v26, v26, v27
	v_mov_b32_dpp v27, v26 row_shr:4 row_mask:0xf bank_mask:0xf
	s_delay_alu instid0(VALU_DEP_1) | instskip(NEXT) | instid1(VALU_DEP_1)
	v_cndmask_b32_e64 v27, 0, v27, s10
	v_add_nc_u32_e32 v26, v26, v27
	ds_store_b32 v19, v26
.LBB352_24:                             ;   in Loop: Header=BB352_2 Depth=1
	s_or_b32 exec_lo, exec_lo, s12
	v_mov_b32_e32 v26, 0
	s_waitcnt lgkmcnt(0)
	s_barrier
	buffer_gl0_inv
	s_and_saveexec_b32 s12, s6
	s_cbranch_execz .LBB352_26
; %bb.25:                               ;   in Loop: Header=BB352_2 Depth=1
	ds_load_b32 v26, v20
.LBB352_26:                             ;   in Loop: Header=BB352_2 Depth=1
	s_or_b32 exec_lo, exec_lo, s12
	s_waitcnt lgkmcnt(0)
	v_add_nc_u32_e32 v3, v26, v3
	ds_bpermute_b32 v3, v18, v3
	s_waitcnt lgkmcnt(0)
	v_cndmask_b32_e32 v3, v3, v26, vcc_lo
	s_delay_alu instid0(VALU_DEP_1) | instskip(NEXT) | instid1(VALU_DEP_1)
	v_cndmask_b32_e64 v3, v3, 0, s7
	v_add_nc_u32_e32 v4, v3, v4
	s_delay_alu instid0(VALU_DEP_1) | instskip(NEXT) | instid1(VALU_DEP_1)
	v_add_nc_u32_e32 v5, v4, v5
	v_add_nc_u32_e32 v6, v5, v6
	s_delay_alu instid0(VALU_DEP_1) | instskip(NEXT) | instid1(VALU_DEP_1)
	v_add_nc_u32_e32 v26, v6, v7
	;; [unrolled: 3-line block ×3, first 2 shown]
	v_add_nc_u32_e32 v1, v0, v2
	ds_store_2addr_b64 v15, v[3:4], v[5:6] offset0:3 offset1:4
	ds_store_2addr_b64 v16, v[26:27], v[0:1] offset0:2 offset1:3
	s_waitcnt lgkmcnt(0)
	s_barrier
	buffer_gl0_inv
	ds_load_b32 v0, v25
	v_lshlrev_b32_e32 v1, 3, v24
	s_waitcnt lgkmcnt(0)
	s_barrier
	buffer_gl0_inv
	v_lshl_add_u32 v0, v0, 3, v1
	ds_store_b64 v0, v[13:14]
	s_waitcnt lgkmcnt(0)
	s_barrier
	buffer_gl0_inv
	ds_load_b64 v[13:14], v21
	s_waitcnt lgkmcnt(0)
	s_barrier
	buffer_gl0_inv
	v_bfe_u32 v0, v14, 24, 1
	v_lshrrev_b32_e32 v5, 24, v14
	s_delay_alu instid0(VALU_DEP_2) | instskip(NEXT) | instid1(VALU_DEP_1)
	v_add_co_u32 v0, s12, v0, -1
	v_cndmask_b32_e64 v1, 0, 1, s12
	s_delay_alu instid0(VALU_DEP_3)
	v_lshlrev_b32_e32 v2, 30, v5
	v_lshlrev_b32_e32 v3, 29, v5
	;; [unrolled: 1-line block ×4, first 2 shown]
	v_cmp_ne_u32_e64 s12, 0, v1
	v_not_b32_e32 v1, v2
	v_cmp_gt_i32_e64 s13, 0, v2
	v_not_b32_e32 v2, v3
	v_lshlrev_b32_e32 v7, 26, v5
	v_xor_b32_e32 v0, s12, v0
	v_ashrrev_i32_e32 v1, 31, v1
	v_cmp_gt_i32_e64 s12, 0, v3
	v_not_b32_e32 v3, v4
	v_ashrrev_i32_e32 v2, 31, v2
	v_and_b32_e32 v0, exec_lo, v0
	v_xor_b32_e32 v1, s13, v1
	v_cmp_gt_i32_e64 s13, 0, v4
	v_not_b32_e32 v4, v6
	v_ashrrev_i32_e32 v3, 31, v3
	v_xor_b32_e32 v2, s12, v2
	v_and_b32_e32 v0, v0, v1
	v_lshlrev_b32_e32 v24, 25, v5
	v_cmp_gt_i32_e64 s12, 0, v6
	v_not_b32_e32 v1, v7
	v_ashrrev_i32_e32 v4, 31, v4
	v_xor_b32_e32 v3, s13, v3
	v_and_b32_e32 v0, v0, v2
	v_cmp_gt_i32_e64 s13, 0, v7
	v_not_b32_e32 v2, v24
	v_ashrrev_i32_e32 v1, 31, v1
	v_xor_b32_e32 v4, s12, v4
	v_and_b32_e32 v0, v0, v3
	v_not_b32_e32 v3, v14
	v_cmp_gt_i32_e64 s12, 0, v24
	v_ashrrev_i32_e32 v2, 31, v2
	v_xor_b32_e32 v1, s13, v1
	v_and_b32_e32 v0, v0, v4
	v_cmp_gt_i32_e64 s13, 0, v14
	v_ashrrev_i32_e32 v3, 31, v3
	v_xor_b32_e32 v2, s12, v2
	s_delay_alu instid0(VALU_DEP_4) | instskip(NEXT) | instid1(VALU_DEP_3)
	v_and_b32_e32 v0, v0, v1
	v_xor_b32_e32 v3, s13, v3
	s_delay_alu instid0(VALU_DEP_2) | instskip(SKIP_1) | instid1(VALU_DEP_2)
	v_dual_mov_b32 v1, s22 :: v_dual_and_b32 v0, v0, v2
	v_mov_b32_e32 v2, s23
	v_dual_mov_b32 v3, s16 :: v_dual_and_b32 v0, v0, v3
	v_mov_b32_e32 v4, s17
	ds_store_2addr_b64 v15, v[1:2], v[3:4] offset0:3 offset1:4
	ds_store_2addr_b64 v16, v[1:2], v[3:4] offset0:2 offset1:3
	v_mbcnt_lo_u32_b32 v24, v0, 0
	v_mad_u32_u24 v1, v5, 6, v22
	v_cmp_ne_u32_e64 s13, 0, v0
	s_waitcnt lgkmcnt(0)
	s_barrier
	v_cmp_eq_u32_e64 s12, 0, v24
	v_lshl_add_u32 v25, v1, 2, 24
	buffer_gl0_inv
	; wave barrier
	s_and_b32 s13, s13, s12
	s_delay_alu instid0(SALU_CYCLE_1)
	s_and_saveexec_b32 s12, s13
	s_cbranch_execz .LBB352_28
; %bb.27:                               ;   in Loop: Header=BB352_2 Depth=1
	v_bcnt_u32_b32 v0, v0, 0
	ds_store_b32 v25, v0
.LBB352_28:                             ;   in Loop: Header=BB352_2 Depth=1
	s_or_b32 exec_lo, exec_lo, s12
	; wave barrier
	s_waitcnt lgkmcnt(0)
	s_barrier
	buffer_gl0_inv
	ds_load_2addr_b64 v[4:7], v15 offset0:3 offset1:4
	ds_load_2addr_b64 v[0:3], v16 offset0:2 offset1:3
	s_waitcnt lgkmcnt(1)
	v_add_nc_u32_e32 v26, v5, v4
	s_delay_alu instid0(VALU_DEP_1) | instskip(SKIP_1) | instid1(VALU_DEP_1)
	v_add3_u32 v26, v26, v6, v7
	s_waitcnt lgkmcnt(0)
	v_add3_u32 v26, v26, v0, v1
	s_delay_alu instid0(VALU_DEP_1) | instskip(NEXT) | instid1(VALU_DEP_1)
	v_add3_u32 v3, v26, v2, v3
	v_mov_b32_dpp v26, v3 row_shr:1 row_mask:0xf bank_mask:0xf
	s_delay_alu instid0(VALU_DEP_1) | instskip(NEXT) | instid1(VALU_DEP_1)
	v_cndmask_b32_e64 v26, v26, 0, s0
	v_add_nc_u32_e32 v3, v26, v3
	s_delay_alu instid0(VALU_DEP_1) | instskip(NEXT) | instid1(VALU_DEP_1)
	v_mov_b32_dpp v26, v3 row_shr:2 row_mask:0xf bank_mask:0xf
	v_cndmask_b32_e64 v26, 0, v26, s1
	s_delay_alu instid0(VALU_DEP_1) | instskip(NEXT) | instid1(VALU_DEP_1)
	v_add_nc_u32_e32 v3, v3, v26
	v_mov_b32_dpp v26, v3 row_shr:4 row_mask:0xf bank_mask:0xf
	s_delay_alu instid0(VALU_DEP_1) | instskip(NEXT) | instid1(VALU_DEP_1)
	v_cndmask_b32_e64 v26, 0, v26, s2
	v_add_nc_u32_e32 v3, v3, v26
	s_delay_alu instid0(VALU_DEP_1) | instskip(NEXT) | instid1(VALU_DEP_1)
	v_mov_b32_dpp v26, v3 row_shr:8 row_mask:0xf bank_mask:0xf
	v_cndmask_b32_e64 v26, 0, v26, s3
	s_delay_alu instid0(VALU_DEP_1) | instskip(SKIP_3) | instid1(VALU_DEP_1)
	v_add_nc_u32_e32 v3, v3, v26
	ds_swizzle_b32 v26, v3 offset:swizzle(BROADCAST,32,15)
	s_waitcnt lgkmcnt(0)
	v_cndmask_b32_e64 v26, v26, 0, s4
	v_add_nc_u32_e32 v3, v3, v26
	s_and_saveexec_b32 s12, s11
	s_cbranch_execz .LBB352_30
; %bb.29:                               ;   in Loop: Header=BB352_2 Depth=1
	ds_store_b32 v17, v3
.LBB352_30:                             ;   in Loop: Header=BB352_2 Depth=1
	s_or_b32 exec_lo, exec_lo, s12
	s_waitcnt lgkmcnt(0)
	s_barrier
	buffer_gl0_inv
	s_and_saveexec_b32 s12, s5
	s_cbranch_execz .LBB352_32
; %bb.31:                               ;   in Loop: Header=BB352_2 Depth=1
	ds_load_b32 v26, v19
	s_waitcnt lgkmcnt(0)
	v_mov_b32_dpp v27, v26 row_shr:1 row_mask:0xf bank_mask:0xf
	s_delay_alu instid0(VALU_DEP_1) | instskip(NEXT) | instid1(VALU_DEP_1)
	v_cndmask_b32_e64 v27, v27, 0, s8
	v_add_nc_u32_e32 v26, v27, v26
	s_delay_alu instid0(VALU_DEP_1) | instskip(NEXT) | instid1(VALU_DEP_1)
	v_mov_b32_dpp v27, v26 row_shr:2 row_mask:0xf bank_mask:0xf
	v_cndmask_b32_e64 v27, 0, v27, s9
	s_delay_alu instid0(VALU_DEP_1) | instskip(NEXT) | instid1(VALU_DEP_1)
	v_add_nc_u32_e32 v26, v26, v27
	v_mov_b32_dpp v27, v26 row_shr:4 row_mask:0xf bank_mask:0xf
	s_delay_alu instid0(VALU_DEP_1) | instskip(NEXT) | instid1(VALU_DEP_1)
	v_cndmask_b32_e64 v27, 0, v27, s10
	v_add_nc_u32_e32 v26, v26, v27
	ds_store_b32 v19, v26
.LBB352_32:                             ;   in Loop: Header=BB352_2 Depth=1
	s_or_b32 exec_lo, exec_lo, s12
	v_mov_b32_e32 v26, 0
	s_waitcnt lgkmcnt(0)
	s_barrier
	buffer_gl0_inv
	s_and_saveexec_b32 s12, s6
	s_cbranch_execz .LBB352_34
; %bb.33:                               ;   in Loop: Header=BB352_2 Depth=1
	ds_load_b32 v26, v20
.LBB352_34:                             ;   in Loop: Header=BB352_2 Depth=1
	s_or_b32 exec_lo, exec_lo, s12
	s_waitcnt lgkmcnt(0)
	v_add_nc_u32_e32 v3, v26, v3
	ds_bpermute_b32 v3, v18, v3
	s_waitcnt lgkmcnt(0)
	v_cndmask_b32_e32 v3, v3, v26, vcc_lo
	s_delay_alu instid0(VALU_DEP_1) | instskip(NEXT) | instid1(VALU_DEP_1)
	v_cndmask_b32_e64 v3, v3, 0, s7
	v_add_nc_u32_e32 v4, v3, v4
	s_delay_alu instid0(VALU_DEP_1) | instskip(NEXT) | instid1(VALU_DEP_1)
	v_add_nc_u32_e32 v5, v4, v5
	v_add_nc_u32_e32 v6, v5, v6
	s_delay_alu instid0(VALU_DEP_1) | instskip(NEXT) | instid1(VALU_DEP_1)
	v_add_nc_u32_e32 v26, v6, v7
	;; [unrolled: 3-line block ×3, first 2 shown]
	v_add_nc_u32_e32 v1, v0, v2
	ds_store_2addr_b64 v15, v[3:4], v[5:6] offset0:3 offset1:4
	ds_store_2addr_b64 v16, v[26:27], v[0:1] offset0:2 offset1:3
	s_waitcnt lgkmcnt(0)
	s_barrier
	buffer_gl0_inv
	ds_load_b32 v0, v25
	v_lshlrev_b32_e32 v1, 3, v24
	s_waitcnt lgkmcnt(0)
	s_barrier
	buffer_gl0_inv
	v_lshl_add_u32 v0, v0, 3, v1
	ds_store_b64 v0, v[13:14]
	s_waitcnt lgkmcnt(0)
	s_barrier
	buffer_gl0_inv
	ds_load_b64 v[13:14], v21
	s_waitcnt lgkmcnt(0)
	s_barrier
	buffer_gl0_inv
	v_and_b32_e32 v0, 1, v13
	v_lshlrev_b32_e32 v1, 30, v13
	v_lshlrev_b32_e32 v2, 29, v13
	;; [unrolled: 1-line block ×4, first 2 shown]
	v_add_co_u32 v0, s12, v0, -1
	s_delay_alu instid0(VALU_DEP_1)
	v_cndmask_b32_e64 v4, 0, 1, s12
	v_not_b32_e32 v24, v1
	v_cmp_gt_i32_e64 s13, 0, v1
	v_not_b32_e32 v1, v2
	v_lshlrev_b32_e32 v6, 26, v13
	v_cmp_ne_u32_e64 s12, 0, v4
	v_ashrrev_i32_e32 v24, 31, v24
	v_lshlrev_b32_e32 v7, 25, v13
	v_ashrrev_i32_e32 v1, 31, v1
	v_lshlrev_b32_e32 v4, 24, v13
	v_xor_b32_e32 v0, s12, v0
	v_cmp_gt_i32_e64 s12, 0, v2
	v_not_b32_e32 v2, v3
	v_xor_b32_e32 v24, s13, v24
	v_cmp_gt_i32_e64 s13, 0, v3
	v_and_b32_e32 v0, exec_lo, v0
	v_not_b32_e32 v3, v5
	v_ashrrev_i32_e32 v2, 31, v2
	v_xor_b32_e32 v1, s12, v1
	v_cmp_gt_i32_e64 s12, 0, v5
	v_and_b32_e32 v0, v0, v24
	v_not_b32_e32 v5, v6
	v_ashrrev_i32_e32 v3, 31, v3
	v_xor_b32_e32 v2, s13, v2
	v_cmp_gt_i32_e64 s13, 0, v6
	v_and_b32_e32 v0, v0, v1
	;; [unrolled: 5-line block ×3, first 2 shown]
	v_not_b32_e32 v2, v4
	v_ashrrev_i32_e32 v1, 31, v1
	v_xor_b32_e32 v5, s13, v5
	v_cmp_gt_i32_e64 s13, 0, v4
	v_dual_mov_b32 v3, s16 :: v_dual_and_b32 v0, v0, v3
	v_ashrrev_i32_e32 v2, 31, v2
	v_xor_b32_e32 v1, s12, v1
	v_mov_b32_e32 v4, s17
	s_delay_alu instid0(VALU_DEP_4) | instskip(NEXT) | instid1(VALU_DEP_4)
	v_and_b32_e32 v0, v0, v5
	v_xor_b32_e32 v5, s13, v2
	s_delay_alu instid0(VALU_DEP_2)
	v_dual_mov_b32 v1, s22 :: v_dual_and_b32 v0, v0, v1
	v_mov_b32_e32 v2, s23
	ds_store_2addr_b64 v15, v[1:2], v[3:4] offset0:3 offset1:4
	ds_store_2addr_b64 v16, v[1:2], v[3:4] offset0:2 offset1:3
	v_and_b32_e32 v0, v0, v5
	v_and_b32_e32 v5, 0xff, v13
	s_waitcnt lgkmcnt(0)
	s_barrier
	buffer_gl0_inv
	v_mbcnt_lo_u32_b32 v24, v0, 0
	v_mad_u32_u24 v1, v5, 6, v22
	v_cmp_ne_u32_e64 s13, 0, v0
	; wave barrier
	s_delay_alu instid0(VALU_DEP_3) | instskip(NEXT) | instid1(VALU_DEP_3)
	v_cmp_eq_u32_e64 s12, 0, v24
	v_lshl_add_u32 v25, v1, 2, 24
	s_delay_alu instid0(VALU_DEP_2) | instskip(NEXT) | instid1(SALU_CYCLE_1)
	s_and_b32 s13, s13, s12
	s_and_saveexec_b32 s12, s13
	s_cbranch_execz .LBB352_36
; %bb.35:                               ;   in Loop: Header=BB352_2 Depth=1
	v_bcnt_u32_b32 v0, v0, 0
	ds_store_b32 v25, v0
.LBB352_36:                             ;   in Loop: Header=BB352_2 Depth=1
	s_or_b32 exec_lo, exec_lo, s12
	; wave barrier
	s_waitcnt lgkmcnt(0)
	s_barrier
	buffer_gl0_inv
	ds_load_2addr_b64 v[4:7], v15 offset0:3 offset1:4
	ds_load_2addr_b64 v[0:3], v16 offset0:2 offset1:3
	s_waitcnt lgkmcnt(1)
	v_add_nc_u32_e32 v26, v5, v4
	s_delay_alu instid0(VALU_DEP_1) | instskip(SKIP_1) | instid1(VALU_DEP_1)
	v_add3_u32 v26, v26, v6, v7
	s_waitcnt lgkmcnt(0)
	v_add3_u32 v26, v26, v0, v1
	s_delay_alu instid0(VALU_DEP_1) | instskip(NEXT) | instid1(VALU_DEP_1)
	v_add3_u32 v3, v26, v2, v3
	v_mov_b32_dpp v26, v3 row_shr:1 row_mask:0xf bank_mask:0xf
	s_delay_alu instid0(VALU_DEP_1) | instskip(NEXT) | instid1(VALU_DEP_1)
	v_cndmask_b32_e64 v26, v26, 0, s0
	v_add_nc_u32_e32 v3, v26, v3
	s_delay_alu instid0(VALU_DEP_1) | instskip(NEXT) | instid1(VALU_DEP_1)
	v_mov_b32_dpp v26, v3 row_shr:2 row_mask:0xf bank_mask:0xf
	v_cndmask_b32_e64 v26, 0, v26, s1
	s_delay_alu instid0(VALU_DEP_1) | instskip(NEXT) | instid1(VALU_DEP_1)
	v_add_nc_u32_e32 v3, v3, v26
	v_mov_b32_dpp v26, v3 row_shr:4 row_mask:0xf bank_mask:0xf
	s_delay_alu instid0(VALU_DEP_1) | instskip(NEXT) | instid1(VALU_DEP_1)
	v_cndmask_b32_e64 v26, 0, v26, s2
	v_add_nc_u32_e32 v3, v3, v26
	s_delay_alu instid0(VALU_DEP_1) | instskip(NEXT) | instid1(VALU_DEP_1)
	v_mov_b32_dpp v26, v3 row_shr:8 row_mask:0xf bank_mask:0xf
	v_cndmask_b32_e64 v26, 0, v26, s3
	s_delay_alu instid0(VALU_DEP_1) | instskip(SKIP_3) | instid1(VALU_DEP_1)
	v_add_nc_u32_e32 v3, v3, v26
	ds_swizzle_b32 v26, v3 offset:swizzle(BROADCAST,32,15)
	s_waitcnt lgkmcnt(0)
	v_cndmask_b32_e64 v26, v26, 0, s4
	v_add_nc_u32_e32 v3, v3, v26
	s_and_saveexec_b32 s12, s11
	s_cbranch_execz .LBB352_38
; %bb.37:                               ;   in Loop: Header=BB352_2 Depth=1
	ds_store_b32 v17, v3
.LBB352_38:                             ;   in Loop: Header=BB352_2 Depth=1
	s_or_b32 exec_lo, exec_lo, s12
	s_waitcnt lgkmcnt(0)
	s_barrier
	buffer_gl0_inv
	s_and_saveexec_b32 s12, s5
	s_cbranch_execz .LBB352_40
; %bb.39:                               ;   in Loop: Header=BB352_2 Depth=1
	ds_load_b32 v26, v19
	s_waitcnt lgkmcnt(0)
	v_mov_b32_dpp v27, v26 row_shr:1 row_mask:0xf bank_mask:0xf
	s_delay_alu instid0(VALU_DEP_1) | instskip(NEXT) | instid1(VALU_DEP_1)
	v_cndmask_b32_e64 v27, v27, 0, s8
	v_add_nc_u32_e32 v26, v27, v26
	s_delay_alu instid0(VALU_DEP_1) | instskip(NEXT) | instid1(VALU_DEP_1)
	v_mov_b32_dpp v27, v26 row_shr:2 row_mask:0xf bank_mask:0xf
	v_cndmask_b32_e64 v27, 0, v27, s9
	s_delay_alu instid0(VALU_DEP_1) | instskip(NEXT) | instid1(VALU_DEP_1)
	v_add_nc_u32_e32 v26, v26, v27
	v_mov_b32_dpp v27, v26 row_shr:4 row_mask:0xf bank_mask:0xf
	s_delay_alu instid0(VALU_DEP_1) | instskip(NEXT) | instid1(VALU_DEP_1)
	v_cndmask_b32_e64 v27, 0, v27, s10
	v_add_nc_u32_e32 v26, v26, v27
	ds_store_b32 v19, v26
.LBB352_40:                             ;   in Loop: Header=BB352_2 Depth=1
	s_or_b32 exec_lo, exec_lo, s12
	v_mov_b32_e32 v26, 0
	s_waitcnt lgkmcnt(0)
	s_barrier
	buffer_gl0_inv
	s_and_saveexec_b32 s12, s6
	s_cbranch_execz .LBB352_42
; %bb.41:                               ;   in Loop: Header=BB352_2 Depth=1
	ds_load_b32 v26, v20
.LBB352_42:                             ;   in Loop: Header=BB352_2 Depth=1
	s_or_b32 exec_lo, exec_lo, s12
	s_waitcnt lgkmcnt(0)
	v_add_nc_u32_e32 v3, v26, v3
	ds_bpermute_b32 v3, v18, v3
	s_waitcnt lgkmcnt(0)
	v_cndmask_b32_e32 v3, v3, v26, vcc_lo
	s_delay_alu instid0(VALU_DEP_1) | instskip(NEXT) | instid1(VALU_DEP_1)
	v_cndmask_b32_e64 v3, v3, 0, s7
	v_add_nc_u32_e32 v4, v3, v4
	s_delay_alu instid0(VALU_DEP_1) | instskip(NEXT) | instid1(VALU_DEP_1)
	v_add_nc_u32_e32 v5, v4, v5
	v_add_nc_u32_e32 v6, v5, v6
	s_delay_alu instid0(VALU_DEP_1) | instskip(NEXT) | instid1(VALU_DEP_1)
	v_add_nc_u32_e32 v26, v6, v7
	v_add_nc_u32_e32 v27, v26, v0
	s_delay_alu instid0(VALU_DEP_1) | instskip(NEXT) | instid1(VALU_DEP_1)
	v_add_nc_u32_e32 v0, v27, v1
	v_add_nc_u32_e32 v1, v0, v2
	ds_store_2addr_b64 v15, v[3:4], v[5:6] offset0:3 offset1:4
	ds_store_2addr_b64 v16, v[26:27], v[0:1] offset0:2 offset1:3
	s_waitcnt lgkmcnt(0)
	s_barrier
	buffer_gl0_inv
	ds_load_b32 v0, v25
	v_lshlrev_b32_e32 v1, 3, v24
	s_waitcnt lgkmcnt(0)
	s_barrier
	buffer_gl0_inv
	v_lshl_add_u32 v0, v0, 3, v1
	ds_store_b64 v0, v[13:14]
	s_waitcnt lgkmcnt(0)
	s_barrier
	buffer_gl0_inv
	ds_load_b64 v[13:14], v21
	s_waitcnt lgkmcnt(0)
	s_barrier
	buffer_gl0_inv
	v_bfe_u32 v0, v13, 8, 1
	v_lshrrev_b32_e32 v1, 8, v13
	s_delay_alu instid0(VALU_DEP_2) | instskip(NEXT) | instid1(VALU_DEP_1)
	v_add_co_u32 v0, s12, v0, -1
	v_cndmask_b32_e64 v2, 0, 1, s12
	s_delay_alu instid0(VALU_DEP_3)
	v_lshlrev_b32_e32 v3, 30, v1
	v_lshlrev_b32_e32 v4, 29, v1
	v_lshlrev_b32_e32 v5, 28, v1
	v_lshlrev_b32_e32 v6, 27, v1
	v_cmp_ne_u32_e64 s12, 0, v2
	v_not_b32_e32 v2, v3
	v_cmp_gt_i32_e64 s13, 0, v3
	v_not_b32_e32 v3, v4
	v_lshlrev_b32_e32 v7, 26, v1
	v_xor_b32_e32 v0, s12, v0
	v_ashrrev_i32_e32 v2, 31, v2
	v_cmp_gt_i32_e64 s12, 0, v4
	v_not_b32_e32 v4, v5
	v_ashrrev_i32_e32 v3, 31, v3
	v_and_b32_e32 v0, exec_lo, v0
	v_xor_b32_e32 v2, s13, v2
	v_cmp_gt_i32_e64 s13, 0, v5
	v_not_b32_e32 v5, v6
	v_ashrrev_i32_e32 v4, 31, v4
	v_xor_b32_e32 v3, s12, v3
	v_and_b32_e32 v0, v0, v2
	v_lshlrev_b32_e32 v24, 25, v1
	v_cmp_gt_i32_e64 s12, 0, v6
	v_not_b32_e32 v2, v7
	v_ashrrev_i32_e32 v5, 31, v5
	v_xor_b32_e32 v4, s13, v4
	v_and_b32_e32 v0, v0, v3
	v_lshlrev_b32_e32 v1, 24, v1
	v_cmp_gt_i32_e64 s13, 0, v7
	v_not_b32_e32 v3, v24
	v_ashrrev_i32_e32 v2, 31, v2
	v_xor_b32_e32 v5, s12, v5
	v_and_b32_e32 v0, v0, v4
	v_cmp_gt_i32_e64 s12, 0, v24
	v_not_b32_e32 v4, v1
	v_ashrrev_i32_e32 v3, 31, v3
	v_xor_b32_e32 v2, s13, v2
	v_and_b32_e32 v0, v0, v5
	v_cmp_gt_i32_e64 s13, 0, v1
	v_ashrrev_i32_e32 v1, 31, v4
	v_xor_b32_e32 v3, s12, v3
	s_delay_alu instid0(VALU_DEP_4) | instskip(NEXT) | instid1(VALU_DEP_3)
	v_and_b32_e32 v0, v0, v2
	v_xor_b32_e32 v5, s13, v1
	v_dual_mov_b32 v1, s22 :: v_dual_mov_b32 v2, s23
	s_delay_alu instid0(VALU_DEP_3)
	v_dual_mov_b32 v3, s16 :: v_dual_and_b32 v0, v0, v3
	v_mov_b32_e32 v4, s17
	ds_store_2addr_b64 v15, v[1:2], v[3:4] offset0:3 offset1:4
	ds_store_2addr_b64 v16, v[1:2], v[3:4] offset0:2 offset1:3
	v_and_b32_e32 v0, v0, v5
	v_bfe_u32 v5, v13, 8, 8
	s_waitcnt lgkmcnt(0)
	s_barrier
	buffer_gl0_inv
	v_mbcnt_lo_u32_b32 v24, v0, 0
	v_mad_u32_u24 v1, v5, 6, v22
	v_cmp_ne_u32_e64 s13, 0, v0
	; wave barrier
	s_delay_alu instid0(VALU_DEP_3) | instskip(NEXT) | instid1(VALU_DEP_3)
	v_cmp_eq_u32_e64 s12, 0, v24
	v_lshl_add_u32 v25, v1, 2, 24
	s_delay_alu instid0(VALU_DEP_2) | instskip(NEXT) | instid1(SALU_CYCLE_1)
	s_and_b32 s13, s13, s12
	s_and_saveexec_b32 s12, s13
	s_cbranch_execz .LBB352_44
; %bb.43:                               ;   in Loop: Header=BB352_2 Depth=1
	v_bcnt_u32_b32 v0, v0, 0
	ds_store_b32 v25, v0
.LBB352_44:                             ;   in Loop: Header=BB352_2 Depth=1
	s_or_b32 exec_lo, exec_lo, s12
	; wave barrier
	s_waitcnt lgkmcnt(0)
	s_barrier
	buffer_gl0_inv
	ds_load_2addr_b64 v[4:7], v15 offset0:3 offset1:4
	ds_load_2addr_b64 v[0:3], v16 offset0:2 offset1:3
	s_waitcnt lgkmcnt(1)
	v_add_nc_u32_e32 v26, v5, v4
	s_delay_alu instid0(VALU_DEP_1) | instskip(SKIP_1) | instid1(VALU_DEP_1)
	v_add3_u32 v26, v26, v6, v7
	s_waitcnt lgkmcnt(0)
	v_add3_u32 v26, v26, v0, v1
	s_delay_alu instid0(VALU_DEP_1) | instskip(NEXT) | instid1(VALU_DEP_1)
	v_add3_u32 v3, v26, v2, v3
	v_mov_b32_dpp v26, v3 row_shr:1 row_mask:0xf bank_mask:0xf
	s_delay_alu instid0(VALU_DEP_1) | instskip(NEXT) | instid1(VALU_DEP_1)
	v_cndmask_b32_e64 v26, v26, 0, s0
	v_add_nc_u32_e32 v3, v26, v3
	s_delay_alu instid0(VALU_DEP_1) | instskip(NEXT) | instid1(VALU_DEP_1)
	v_mov_b32_dpp v26, v3 row_shr:2 row_mask:0xf bank_mask:0xf
	v_cndmask_b32_e64 v26, 0, v26, s1
	s_delay_alu instid0(VALU_DEP_1) | instskip(NEXT) | instid1(VALU_DEP_1)
	v_add_nc_u32_e32 v3, v3, v26
	v_mov_b32_dpp v26, v3 row_shr:4 row_mask:0xf bank_mask:0xf
	s_delay_alu instid0(VALU_DEP_1) | instskip(NEXT) | instid1(VALU_DEP_1)
	v_cndmask_b32_e64 v26, 0, v26, s2
	v_add_nc_u32_e32 v3, v3, v26
	s_delay_alu instid0(VALU_DEP_1) | instskip(NEXT) | instid1(VALU_DEP_1)
	v_mov_b32_dpp v26, v3 row_shr:8 row_mask:0xf bank_mask:0xf
	v_cndmask_b32_e64 v26, 0, v26, s3
	s_delay_alu instid0(VALU_DEP_1) | instskip(SKIP_3) | instid1(VALU_DEP_1)
	v_add_nc_u32_e32 v3, v3, v26
	ds_swizzle_b32 v26, v3 offset:swizzle(BROADCAST,32,15)
	s_waitcnt lgkmcnt(0)
	v_cndmask_b32_e64 v26, v26, 0, s4
	v_add_nc_u32_e32 v3, v3, v26
	s_and_saveexec_b32 s12, s11
	s_cbranch_execz .LBB352_46
; %bb.45:                               ;   in Loop: Header=BB352_2 Depth=1
	ds_store_b32 v17, v3
.LBB352_46:                             ;   in Loop: Header=BB352_2 Depth=1
	s_or_b32 exec_lo, exec_lo, s12
	s_waitcnt lgkmcnt(0)
	s_barrier
	buffer_gl0_inv
	s_and_saveexec_b32 s12, s5
	s_cbranch_execz .LBB352_48
; %bb.47:                               ;   in Loop: Header=BB352_2 Depth=1
	ds_load_b32 v26, v19
	s_waitcnt lgkmcnt(0)
	v_mov_b32_dpp v27, v26 row_shr:1 row_mask:0xf bank_mask:0xf
	s_delay_alu instid0(VALU_DEP_1) | instskip(NEXT) | instid1(VALU_DEP_1)
	v_cndmask_b32_e64 v27, v27, 0, s8
	v_add_nc_u32_e32 v26, v27, v26
	s_delay_alu instid0(VALU_DEP_1) | instskip(NEXT) | instid1(VALU_DEP_1)
	v_mov_b32_dpp v27, v26 row_shr:2 row_mask:0xf bank_mask:0xf
	v_cndmask_b32_e64 v27, 0, v27, s9
	s_delay_alu instid0(VALU_DEP_1) | instskip(NEXT) | instid1(VALU_DEP_1)
	v_add_nc_u32_e32 v26, v26, v27
	v_mov_b32_dpp v27, v26 row_shr:4 row_mask:0xf bank_mask:0xf
	s_delay_alu instid0(VALU_DEP_1) | instskip(NEXT) | instid1(VALU_DEP_1)
	v_cndmask_b32_e64 v27, 0, v27, s10
	v_add_nc_u32_e32 v26, v26, v27
	ds_store_b32 v19, v26
.LBB352_48:                             ;   in Loop: Header=BB352_2 Depth=1
	s_or_b32 exec_lo, exec_lo, s12
	v_mov_b32_e32 v26, 0
	s_waitcnt lgkmcnt(0)
	s_barrier
	buffer_gl0_inv
	s_and_saveexec_b32 s12, s6
	s_cbranch_execz .LBB352_50
; %bb.49:                               ;   in Loop: Header=BB352_2 Depth=1
	ds_load_b32 v26, v20
.LBB352_50:                             ;   in Loop: Header=BB352_2 Depth=1
	s_or_b32 exec_lo, exec_lo, s12
	s_waitcnt lgkmcnt(0)
	v_add_nc_u32_e32 v3, v26, v3
	ds_bpermute_b32 v3, v18, v3
	s_waitcnt lgkmcnt(0)
	v_cndmask_b32_e32 v3, v3, v26, vcc_lo
	s_delay_alu instid0(VALU_DEP_1) | instskip(NEXT) | instid1(VALU_DEP_1)
	v_cndmask_b32_e64 v3, v3, 0, s7
	v_add_nc_u32_e32 v4, v3, v4
	s_delay_alu instid0(VALU_DEP_1) | instskip(NEXT) | instid1(VALU_DEP_1)
	v_add_nc_u32_e32 v5, v4, v5
	v_add_nc_u32_e32 v6, v5, v6
	s_delay_alu instid0(VALU_DEP_1) | instskip(NEXT) | instid1(VALU_DEP_1)
	v_add_nc_u32_e32 v26, v6, v7
	;; [unrolled: 3-line block ×3, first 2 shown]
	v_add_nc_u32_e32 v1, v0, v2
	ds_store_2addr_b64 v15, v[3:4], v[5:6] offset0:3 offset1:4
	ds_store_2addr_b64 v16, v[26:27], v[0:1] offset0:2 offset1:3
	s_waitcnt lgkmcnt(0)
	s_barrier
	buffer_gl0_inv
	ds_load_b32 v0, v25
	v_lshlrev_b32_e32 v1, 3, v24
	s_waitcnt lgkmcnt(0)
	s_barrier
	buffer_gl0_inv
	v_lshl_add_u32 v0, v0, 3, v1
	ds_store_b64 v0, v[13:14]
	s_waitcnt lgkmcnt(0)
	s_barrier
	buffer_gl0_inv
	ds_load_b64 v[13:14], v21
	s_waitcnt lgkmcnt(0)
	s_barrier
	buffer_gl0_inv
	v_bfe_u32 v0, v13, 16, 1
	v_lshrrev_b32_e32 v1, 16, v13
	s_delay_alu instid0(VALU_DEP_2) | instskip(NEXT) | instid1(VALU_DEP_1)
	v_add_co_u32 v0, s12, v0, -1
	v_cndmask_b32_e64 v2, 0, 1, s12
	s_delay_alu instid0(VALU_DEP_3)
	v_lshlrev_b32_e32 v3, 30, v1
	v_lshlrev_b32_e32 v4, 29, v1
	;; [unrolled: 1-line block ×4, first 2 shown]
	v_cmp_ne_u32_e64 s12, 0, v2
	v_not_b32_e32 v2, v3
	v_cmp_gt_i32_e64 s13, 0, v3
	v_not_b32_e32 v3, v4
	v_lshlrev_b32_e32 v7, 26, v1
	v_xor_b32_e32 v0, s12, v0
	v_ashrrev_i32_e32 v2, 31, v2
	v_cmp_gt_i32_e64 s12, 0, v4
	v_not_b32_e32 v4, v5
	v_ashrrev_i32_e32 v3, 31, v3
	v_and_b32_e32 v0, exec_lo, v0
	v_xor_b32_e32 v2, s13, v2
	v_cmp_gt_i32_e64 s13, 0, v5
	v_not_b32_e32 v5, v6
	v_ashrrev_i32_e32 v4, 31, v4
	v_xor_b32_e32 v3, s12, v3
	v_and_b32_e32 v0, v0, v2
	v_lshlrev_b32_e32 v24, 25, v1
	v_cmp_gt_i32_e64 s12, 0, v6
	v_not_b32_e32 v2, v7
	v_ashrrev_i32_e32 v5, 31, v5
	v_xor_b32_e32 v4, s13, v4
	v_and_b32_e32 v0, v0, v3
	v_lshlrev_b32_e32 v1, 24, v1
	v_cmp_gt_i32_e64 s13, 0, v7
	v_not_b32_e32 v3, v24
	v_ashrrev_i32_e32 v2, 31, v2
	v_xor_b32_e32 v5, s12, v5
	v_and_b32_e32 v0, v0, v4
	v_cmp_gt_i32_e64 s12, 0, v24
	v_not_b32_e32 v4, v1
	v_ashrrev_i32_e32 v3, 31, v3
	v_xor_b32_e32 v2, s13, v2
	v_and_b32_e32 v0, v0, v5
	v_cmp_gt_i32_e64 s13, 0, v1
	v_ashrrev_i32_e32 v1, 31, v4
	v_xor_b32_e32 v3, s12, v3
	s_delay_alu instid0(VALU_DEP_4) | instskip(NEXT) | instid1(VALU_DEP_3)
	v_and_b32_e32 v0, v0, v2
	v_xor_b32_e32 v5, s13, v1
	v_dual_mov_b32 v1, s22 :: v_dual_mov_b32 v2, s23
	s_delay_alu instid0(VALU_DEP_3)
	v_dual_mov_b32 v3, s16 :: v_dual_and_b32 v0, v0, v3
	v_mov_b32_e32 v4, s17
	ds_store_2addr_b64 v15, v[1:2], v[3:4] offset0:3 offset1:4
	ds_store_2addr_b64 v16, v[1:2], v[3:4] offset0:2 offset1:3
	v_and_b32_e32 v0, v0, v5
	v_bfe_u32 v5, v13, 16, 8
	s_waitcnt lgkmcnt(0)
	s_barrier
	buffer_gl0_inv
	v_mbcnt_lo_u32_b32 v24, v0, 0
	v_mad_u32_u24 v1, v5, 6, v22
	v_cmp_ne_u32_e64 s13, 0, v0
	; wave barrier
	s_delay_alu instid0(VALU_DEP_3) | instskip(NEXT) | instid1(VALU_DEP_3)
	v_cmp_eq_u32_e64 s12, 0, v24
	v_lshl_add_u32 v25, v1, 2, 24
	s_delay_alu instid0(VALU_DEP_2) | instskip(NEXT) | instid1(SALU_CYCLE_1)
	s_and_b32 s13, s13, s12
	s_and_saveexec_b32 s12, s13
	s_cbranch_execz .LBB352_52
; %bb.51:                               ;   in Loop: Header=BB352_2 Depth=1
	v_bcnt_u32_b32 v0, v0, 0
	ds_store_b32 v25, v0
.LBB352_52:                             ;   in Loop: Header=BB352_2 Depth=1
	s_or_b32 exec_lo, exec_lo, s12
	; wave barrier
	s_waitcnt lgkmcnt(0)
	s_barrier
	buffer_gl0_inv
	ds_load_2addr_b64 v[4:7], v15 offset0:3 offset1:4
	ds_load_2addr_b64 v[0:3], v16 offset0:2 offset1:3
	s_waitcnt lgkmcnt(1)
	v_add_nc_u32_e32 v26, v5, v4
	s_delay_alu instid0(VALU_DEP_1) | instskip(SKIP_1) | instid1(VALU_DEP_1)
	v_add3_u32 v26, v26, v6, v7
	s_waitcnt lgkmcnt(0)
	v_add3_u32 v26, v26, v0, v1
	s_delay_alu instid0(VALU_DEP_1) | instskip(NEXT) | instid1(VALU_DEP_1)
	v_add3_u32 v3, v26, v2, v3
	v_mov_b32_dpp v26, v3 row_shr:1 row_mask:0xf bank_mask:0xf
	s_delay_alu instid0(VALU_DEP_1) | instskip(NEXT) | instid1(VALU_DEP_1)
	v_cndmask_b32_e64 v26, v26, 0, s0
	v_add_nc_u32_e32 v3, v26, v3
	s_delay_alu instid0(VALU_DEP_1) | instskip(NEXT) | instid1(VALU_DEP_1)
	v_mov_b32_dpp v26, v3 row_shr:2 row_mask:0xf bank_mask:0xf
	v_cndmask_b32_e64 v26, 0, v26, s1
	s_delay_alu instid0(VALU_DEP_1) | instskip(NEXT) | instid1(VALU_DEP_1)
	v_add_nc_u32_e32 v3, v3, v26
	v_mov_b32_dpp v26, v3 row_shr:4 row_mask:0xf bank_mask:0xf
	s_delay_alu instid0(VALU_DEP_1) | instskip(NEXT) | instid1(VALU_DEP_1)
	v_cndmask_b32_e64 v26, 0, v26, s2
	v_add_nc_u32_e32 v3, v3, v26
	s_delay_alu instid0(VALU_DEP_1) | instskip(NEXT) | instid1(VALU_DEP_1)
	v_mov_b32_dpp v26, v3 row_shr:8 row_mask:0xf bank_mask:0xf
	v_cndmask_b32_e64 v26, 0, v26, s3
	s_delay_alu instid0(VALU_DEP_1) | instskip(SKIP_3) | instid1(VALU_DEP_1)
	v_add_nc_u32_e32 v3, v3, v26
	ds_swizzle_b32 v26, v3 offset:swizzle(BROADCAST,32,15)
	s_waitcnt lgkmcnt(0)
	v_cndmask_b32_e64 v26, v26, 0, s4
	v_add_nc_u32_e32 v3, v3, v26
	s_and_saveexec_b32 s12, s11
	s_cbranch_execz .LBB352_54
; %bb.53:                               ;   in Loop: Header=BB352_2 Depth=1
	ds_store_b32 v17, v3
.LBB352_54:                             ;   in Loop: Header=BB352_2 Depth=1
	s_or_b32 exec_lo, exec_lo, s12
	s_waitcnt lgkmcnt(0)
	s_barrier
	buffer_gl0_inv
	s_and_saveexec_b32 s12, s5
	s_cbranch_execz .LBB352_56
; %bb.55:                               ;   in Loop: Header=BB352_2 Depth=1
	ds_load_b32 v26, v19
	s_waitcnt lgkmcnt(0)
	v_mov_b32_dpp v27, v26 row_shr:1 row_mask:0xf bank_mask:0xf
	s_delay_alu instid0(VALU_DEP_1) | instskip(NEXT) | instid1(VALU_DEP_1)
	v_cndmask_b32_e64 v27, v27, 0, s8
	v_add_nc_u32_e32 v26, v27, v26
	s_delay_alu instid0(VALU_DEP_1) | instskip(NEXT) | instid1(VALU_DEP_1)
	v_mov_b32_dpp v27, v26 row_shr:2 row_mask:0xf bank_mask:0xf
	v_cndmask_b32_e64 v27, 0, v27, s9
	s_delay_alu instid0(VALU_DEP_1) | instskip(NEXT) | instid1(VALU_DEP_1)
	v_add_nc_u32_e32 v26, v26, v27
	v_mov_b32_dpp v27, v26 row_shr:4 row_mask:0xf bank_mask:0xf
	s_delay_alu instid0(VALU_DEP_1) | instskip(NEXT) | instid1(VALU_DEP_1)
	v_cndmask_b32_e64 v27, 0, v27, s10
	v_add_nc_u32_e32 v26, v26, v27
	ds_store_b32 v19, v26
.LBB352_56:                             ;   in Loop: Header=BB352_2 Depth=1
	s_or_b32 exec_lo, exec_lo, s12
	v_mov_b32_e32 v26, 0
	s_waitcnt lgkmcnt(0)
	s_barrier
	buffer_gl0_inv
	s_and_saveexec_b32 s12, s6
	s_cbranch_execz .LBB352_58
; %bb.57:                               ;   in Loop: Header=BB352_2 Depth=1
	ds_load_b32 v26, v20
.LBB352_58:                             ;   in Loop: Header=BB352_2 Depth=1
	s_or_b32 exec_lo, exec_lo, s12
	s_waitcnt lgkmcnt(0)
	v_add_nc_u32_e32 v3, v26, v3
	ds_bpermute_b32 v3, v18, v3
	s_waitcnt lgkmcnt(0)
	v_cndmask_b32_e32 v3, v3, v26, vcc_lo
	s_delay_alu instid0(VALU_DEP_1) | instskip(NEXT) | instid1(VALU_DEP_1)
	v_cndmask_b32_e64 v3, v3, 0, s7
	v_add_nc_u32_e32 v4, v3, v4
	s_delay_alu instid0(VALU_DEP_1) | instskip(NEXT) | instid1(VALU_DEP_1)
	v_add_nc_u32_e32 v5, v4, v5
	v_add_nc_u32_e32 v6, v5, v6
	s_delay_alu instid0(VALU_DEP_1) | instskip(NEXT) | instid1(VALU_DEP_1)
	v_add_nc_u32_e32 v26, v6, v7
	;; [unrolled: 3-line block ×3, first 2 shown]
	v_add_nc_u32_e32 v1, v0, v2
	ds_store_2addr_b64 v15, v[3:4], v[5:6] offset0:3 offset1:4
	ds_store_2addr_b64 v16, v[26:27], v[0:1] offset0:2 offset1:3
	s_waitcnt lgkmcnt(0)
	s_barrier
	buffer_gl0_inv
	ds_load_b32 v0, v25
	v_lshlrev_b32_e32 v1, 3, v24
	s_waitcnt lgkmcnt(0)
	s_barrier
	buffer_gl0_inv
	v_lshl_add_u32 v0, v0, 3, v1
	ds_store_b64 v0, v[13:14]
	s_waitcnt lgkmcnt(0)
	s_barrier
	buffer_gl0_inv
	ds_load_b64 v[13:14], v21
	s_waitcnt lgkmcnt(0)
	s_barrier
	buffer_gl0_inv
	v_bfe_u32 v0, v13, 24, 1
	v_lshrrev_b32_e32 v5, 24, v13
	s_delay_alu instid0(VALU_DEP_2) | instskip(NEXT) | instid1(VALU_DEP_1)
	v_add_co_u32 v0, s12, v0, -1
	v_cndmask_b32_e64 v1, 0, 1, s12
	s_delay_alu instid0(VALU_DEP_3)
	v_lshlrev_b32_e32 v2, 30, v5
	v_lshlrev_b32_e32 v3, 29, v5
	;; [unrolled: 1-line block ×4, first 2 shown]
	v_cmp_ne_u32_e64 s12, 0, v1
	v_not_b32_e32 v1, v2
	v_cmp_gt_i32_e64 s13, 0, v2
	v_not_b32_e32 v2, v3
	v_lshlrev_b32_e32 v7, 26, v5
	v_xor_b32_e32 v0, s12, v0
	v_ashrrev_i32_e32 v1, 31, v1
	v_cmp_gt_i32_e64 s12, 0, v3
	v_not_b32_e32 v3, v4
	v_ashrrev_i32_e32 v2, 31, v2
	v_and_b32_e32 v0, exec_lo, v0
	v_xor_b32_e32 v1, s13, v1
	v_cmp_gt_i32_e64 s13, 0, v4
	v_not_b32_e32 v4, v6
	v_ashrrev_i32_e32 v3, 31, v3
	v_xor_b32_e32 v2, s12, v2
	v_and_b32_e32 v0, v0, v1
	v_lshlrev_b32_e32 v24, 25, v5
	v_cmp_gt_i32_e64 s12, 0, v6
	v_not_b32_e32 v1, v7
	v_ashrrev_i32_e32 v4, 31, v4
	v_xor_b32_e32 v3, s13, v3
	v_and_b32_e32 v0, v0, v2
	v_cmp_gt_i32_e64 s13, 0, v7
	v_not_b32_e32 v2, v24
	v_ashrrev_i32_e32 v1, 31, v1
	v_xor_b32_e32 v4, s12, v4
	v_and_b32_e32 v0, v0, v3
	v_not_b32_e32 v3, v13
	v_cmp_gt_i32_e64 s12, 0, v24
	v_ashrrev_i32_e32 v2, 31, v2
	v_xor_b32_e32 v1, s13, v1
	v_and_b32_e32 v0, v0, v4
	v_cmp_gt_i32_e64 s13, 0, v13
	v_ashrrev_i32_e32 v3, 31, v3
	v_xor_b32_e32 v2, s12, v2
	s_delay_alu instid0(VALU_DEP_4) | instskip(NEXT) | instid1(VALU_DEP_3)
	v_and_b32_e32 v0, v0, v1
	v_xor_b32_e32 v3, s13, v3
	s_delay_alu instid0(VALU_DEP_2) | instskip(SKIP_1) | instid1(VALU_DEP_2)
	v_dual_mov_b32 v1, s22 :: v_dual_and_b32 v0, v0, v2
	v_mov_b32_e32 v2, s23
	v_dual_mov_b32 v3, s16 :: v_dual_and_b32 v0, v0, v3
	v_mov_b32_e32 v4, s17
	ds_store_2addr_b64 v15, v[1:2], v[3:4] offset0:3 offset1:4
	ds_store_2addr_b64 v16, v[1:2], v[3:4] offset0:2 offset1:3
	v_mbcnt_lo_u32_b32 v24, v0, 0
	v_mad_u32_u24 v1, v5, 6, v22
	v_cmp_ne_u32_e64 s13, 0, v0
	s_waitcnt lgkmcnt(0)
	s_barrier
	v_cmp_eq_u32_e64 s12, 0, v24
	v_lshl_add_u32 v25, v1, 2, 24
	buffer_gl0_inv
	; wave barrier
	s_and_b32 s13, s13, s12
	s_delay_alu instid0(SALU_CYCLE_1)
	s_and_saveexec_b32 s12, s13
	s_cbranch_execz .LBB352_60
; %bb.59:                               ;   in Loop: Header=BB352_2 Depth=1
	v_bcnt_u32_b32 v0, v0, 0
	ds_store_b32 v25, v0
.LBB352_60:                             ;   in Loop: Header=BB352_2 Depth=1
	s_or_b32 exec_lo, exec_lo, s12
	; wave barrier
	s_waitcnt lgkmcnt(0)
	s_barrier
	buffer_gl0_inv
	ds_load_2addr_b64 v[4:7], v15 offset0:3 offset1:4
	ds_load_2addr_b64 v[0:3], v16 offset0:2 offset1:3
	s_waitcnt lgkmcnt(1)
	v_add_nc_u32_e32 v26, v5, v4
	s_delay_alu instid0(VALU_DEP_1) | instskip(SKIP_1) | instid1(VALU_DEP_1)
	v_add3_u32 v26, v26, v6, v7
	s_waitcnt lgkmcnt(0)
	v_add3_u32 v26, v26, v0, v1
	s_delay_alu instid0(VALU_DEP_1) | instskip(NEXT) | instid1(VALU_DEP_1)
	v_add3_u32 v3, v26, v2, v3
	v_mov_b32_dpp v26, v3 row_shr:1 row_mask:0xf bank_mask:0xf
	s_delay_alu instid0(VALU_DEP_1) | instskip(NEXT) | instid1(VALU_DEP_1)
	v_cndmask_b32_e64 v26, v26, 0, s0
	v_add_nc_u32_e32 v3, v26, v3
	s_delay_alu instid0(VALU_DEP_1) | instskip(NEXT) | instid1(VALU_DEP_1)
	v_mov_b32_dpp v26, v3 row_shr:2 row_mask:0xf bank_mask:0xf
	v_cndmask_b32_e64 v26, 0, v26, s1
	s_delay_alu instid0(VALU_DEP_1) | instskip(NEXT) | instid1(VALU_DEP_1)
	v_add_nc_u32_e32 v3, v3, v26
	v_mov_b32_dpp v26, v3 row_shr:4 row_mask:0xf bank_mask:0xf
	s_delay_alu instid0(VALU_DEP_1) | instskip(NEXT) | instid1(VALU_DEP_1)
	v_cndmask_b32_e64 v26, 0, v26, s2
	v_add_nc_u32_e32 v3, v3, v26
	s_delay_alu instid0(VALU_DEP_1) | instskip(NEXT) | instid1(VALU_DEP_1)
	v_mov_b32_dpp v26, v3 row_shr:8 row_mask:0xf bank_mask:0xf
	v_cndmask_b32_e64 v26, 0, v26, s3
	s_delay_alu instid0(VALU_DEP_1) | instskip(SKIP_3) | instid1(VALU_DEP_1)
	v_add_nc_u32_e32 v3, v3, v26
	ds_swizzle_b32 v26, v3 offset:swizzle(BROADCAST,32,15)
	s_waitcnt lgkmcnt(0)
	v_cndmask_b32_e64 v26, v26, 0, s4
	v_add_nc_u32_e32 v3, v3, v26
	s_and_saveexec_b32 s12, s11
	s_cbranch_execz .LBB352_62
; %bb.61:                               ;   in Loop: Header=BB352_2 Depth=1
	ds_store_b32 v17, v3
.LBB352_62:                             ;   in Loop: Header=BB352_2 Depth=1
	s_or_b32 exec_lo, exec_lo, s12
	s_waitcnt lgkmcnt(0)
	s_barrier
	buffer_gl0_inv
	s_and_saveexec_b32 s12, s5
	s_cbranch_execz .LBB352_64
; %bb.63:                               ;   in Loop: Header=BB352_2 Depth=1
	ds_load_b32 v26, v19
	s_waitcnt lgkmcnt(0)
	v_mov_b32_dpp v27, v26 row_shr:1 row_mask:0xf bank_mask:0xf
	s_delay_alu instid0(VALU_DEP_1) | instskip(NEXT) | instid1(VALU_DEP_1)
	v_cndmask_b32_e64 v27, v27, 0, s8
	v_add_nc_u32_e32 v26, v27, v26
	s_delay_alu instid0(VALU_DEP_1) | instskip(NEXT) | instid1(VALU_DEP_1)
	v_mov_b32_dpp v27, v26 row_shr:2 row_mask:0xf bank_mask:0xf
	v_cndmask_b32_e64 v27, 0, v27, s9
	s_delay_alu instid0(VALU_DEP_1) | instskip(NEXT) | instid1(VALU_DEP_1)
	v_add_nc_u32_e32 v26, v26, v27
	v_mov_b32_dpp v27, v26 row_shr:4 row_mask:0xf bank_mask:0xf
	s_delay_alu instid0(VALU_DEP_1) | instskip(NEXT) | instid1(VALU_DEP_1)
	v_cndmask_b32_e64 v27, 0, v27, s10
	v_add_nc_u32_e32 v26, v26, v27
	ds_store_b32 v19, v26
.LBB352_64:                             ;   in Loop: Header=BB352_2 Depth=1
	s_or_b32 exec_lo, exec_lo, s12
	v_mov_b32_e32 v26, 0
	s_waitcnt lgkmcnt(0)
	s_barrier
	buffer_gl0_inv
	s_and_saveexec_b32 s12, s6
	s_cbranch_execz .LBB352_1
; %bb.65:                               ;   in Loop: Header=BB352_2 Depth=1
	ds_load_b32 v26, v20
	s_branch .LBB352_1
.LBB352_66:
	s_waitcnt lgkmcnt(0)
	v_xor_b32_e32 v1, 0x80000000, v14
	v_xor_b32_e32 v0, 0x80000000, v13
	v_lshlrev_b32_e32 v2, 3, v8
	s_add_u32 s0, s18, s20
	s_addc_u32 s1, s19, s21
	global_store_b64 v2, v[0:1], s[0:1]
	s_nop 0
	s_sendmsg sendmsg(MSG_DEALLOC_VGPRS)
	s_endpgm
	.section	.rodata,"a",@progbits
	.p2align	6, 0x0
	.amdhsa_kernel _Z16sort_keys_kernelI22helper_blocked_stripedN15benchmark_utils11custom_typeIiiEELj192ELj1ELj10EEvPKT0_PS4_
		.amdhsa_group_segment_fixed_size 6176
		.amdhsa_private_segment_fixed_size 0
		.amdhsa_kernarg_size 272
		.amdhsa_user_sgpr_count 15
		.amdhsa_user_sgpr_dispatch_ptr 0
		.amdhsa_user_sgpr_queue_ptr 0
		.amdhsa_user_sgpr_kernarg_segment_ptr 1
		.amdhsa_user_sgpr_dispatch_id 0
		.amdhsa_user_sgpr_private_segment_size 0
		.amdhsa_wavefront_size32 1
		.amdhsa_uses_dynamic_stack 0
		.amdhsa_enable_private_segment 0
		.amdhsa_system_sgpr_workgroup_id_x 1
		.amdhsa_system_sgpr_workgroup_id_y 0
		.amdhsa_system_sgpr_workgroup_id_z 0
		.amdhsa_system_sgpr_workgroup_info 0
		.amdhsa_system_vgpr_workitem_id 2
		.amdhsa_next_free_vgpr 28
		.amdhsa_next_free_sgpr 24
		.amdhsa_reserve_vcc 1
		.amdhsa_float_round_mode_32 0
		.amdhsa_float_round_mode_16_64 0
		.amdhsa_float_denorm_mode_32 3
		.amdhsa_float_denorm_mode_16_64 3
		.amdhsa_dx10_clamp 1
		.amdhsa_ieee_mode 1
		.amdhsa_fp16_overflow 0
		.amdhsa_workgroup_processor_mode 1
		.amdhsa_memory_ordered 1
		.amdhsa_forward_progress 0
		.amdhsa_shared_vgpr_count 0
		.amdhsa_exception_fp_ieee_invalid_op 0
		.amdhsa_exception_fp_denorm_src 0
		.amdhsa_exception_fp_ieee_div_zero 0
		.amdhsa_exception_fp_ieee_overflow 0
		.amdhsa_exception_fp_ieee_underflow 0
		.amdhsa_exception_fp_ieee_inexact 0
		.amdhsa_exception_int_div_zero 0
	.end_amdhsa_kernel
	.section	.text._Z16sort_keys_kernelI22helper_blocked_stripedN15benchmark_utils11custom_typeIiiEELj192ELj1ELj10EEvPKT0_PS4_,"axG",@progbits,_Z16sort_keys_kernelI22helper_blocked_stripedN15benchmark_utils11custom_typeIiiEELj192ELj1ELj10EEvPKT0_PS4_,comdat
.Lfunc_end352:
	.size	_Z16sort_keys_kernelI22helper_blocked_stripedN15benchmark_utils11custom_typeIiiEELj192ELj1ELj10EEvPKT0_PS4_, .Lfunc_end352-_Z16sort_keys_kernelI22helper_blocked_stripedN15benchmark_utils11custom_typeIiiEELj192ELj1ELj10EEvPKT0_PS4_
                                        ; -- End function
	.section	.AMDGPU.csdata,"",@progbits
; Kernel info:
; codeLenInByte = 8152
; NumSgprs: 26
; NumVgprs: 28
; ScratchSize: 0
; MemoryBound: 0
; FloatMode: 240
; IeeeMode: 1
; LDSByteSize: 6176 bytes/workgroup (compile time only)
; SGPRBlocks: 3
; VGPRBlocks: 3
; NumSGPRsForWavesPerEU: 26
; NumVGPRsForWavesPerEU: 28
; Occupancy: 15
; WaveLimiterHint : 0
; COMPUTE_PGM_RSRC2:SCRATCH_EN: 0
; COMPUTE_PGM_RSRC2:USER_SGPR: 15
; COMPUTE_PGM_RSRC2:TRAP_HANDLER: 0
; COMPUTE_PGM_RSRC2:TGID_X_EN: 1
; COMPUTE_PGM_RSRC2:TGID_Y_EN: 0
; COMPUTE_PGM_RSRC2:TGID_Z_EN: 0
; COMPUTE_PGM_RSRC2:TIDIG_COMP_CNT: 2
	.section	.text._Z17sort_pairs_kernelI22helper_blocked_stripedN15benchmark_utils11custom_typeIiiEELj192ELj1ELj10EEvPKT0_PS4_,"axG",@progbits,_Z17sort_pairs_kernelI22helper_blocked_stripedN15benchmark_utils11custom_typeIiiEELj192ELj1ELj10EEvPKT0_PS4_,comdat
	.protected	_Z17sort_pairs_kernelI22helper_blocked_stripedN15benchmark_utils11custom_typeIiiEELj192ELj1ELj10EEvPKT0_PS4_ ; -- Begin function _Z17sort_pairs_kernelI22helper_blocked_stripedN15benchmark_utils11custom_typeIiiEELj192ELj1ELj10EEvPKT0_PS4_
	.globl	_Z17sort_pairs_kernelI22helper_blocked_stripedN15benchmark_utils11custom_typeIiiEELj192ELj1ELj10EEvPKT0_PS4_
	.p2align	8
	.type	_Z17sort_pairs_kernelI22helper_blocked_stripedN15benchmark_utils11custom_typeIiiEELj192ELj1ELj10EEvPKT0_PS4_,@function
_Z17sort_pairs_kernelI22helper_blocked_stripedN15benchmark_utils11custom_typeIiiEELj192ELj1ELj10EEvPKT0_PS4_: ; @_Z17sort_pairs_kernelI22helper_blocked_stripedN15benchmark_utils11custom_typeIiiEELj192ELj1ELj10EEvPKT0_PS4_
; %bb.0:
	s_clause 0x1
	s_load_b128 s[16:19], s[0:1], 0x0
	s_load_b32 s11, s[0:1], 0x1c
	s_mov_b32 s23, 0
	s_mul_i32 s22, s15, 0xc0
	v_mbcnt_lo_u32_b32 v5, -1, 0
	s_lshl_b64 s[20:21], s[22:23], 3
	s_mov_b32 s22, s23
	v_bfe_u32 v3, v0, 10, 10
	s_delay_alu instid0(VALU_DEP_2) | instskip(SKIP_3) | instid1(VALU_DEP_4)
	v_dual_mov_b32 v11, s22 :: v_dual_and_b32 v6, 16, v5
	v_and_b32_e32 v4, 15, v5
	v_dual_mov_b32 v12, s23 :: v_dual_add_nc_u32 v7, -1, v5
	v_and_b32_e32 v13, 7, v5
	v_cmp_eq_u32_e64 s4, 0, v6
	s_delay_alu instid0(VALU_DEP_4)
	v_cmp_lt_u32_e64 s2, 3, v4
	v_cmp_lt_u32_e64 s3, 7, v4
	v_cmp_gt_i32_e64 s7, 0, v7
	v_cmp_eq_u32_e64 s8, 0, v13
	v_cmp_lt_u32_e64 s9, 1, v13
	s_waitcnt lgkmcnt(0)
	s_add_u32 s0, s16, s20
	s_addc_u32 s1, s17, s21
	s_mov_b32 s16, s23
	s_mov_b32 s17, s23
	v_dual_mov_b32 v9, s16 :: v_dual_and_b32 v8, 0x3ff, v0
	v_mov_b32_e32 v10, s17
	v_bfe_u32 v0, v0, 20, 10
	s_lshr_b32 s12, s11, 16
	s_delay_alu instid0(VALU_DEP_3)
	v_lshlrev_b32_e32 v1, 3, v8
	v_and_b32_e32 v6, 0xe0, v8
	v_lshlrev_b32_e32 v19, 5, v8
	v_mad_u32_u24 v0, v0, s12, v3
	v_cmp_lt_u32_e64 s10, 3, v13
	global_load_b64 v[1:2], v1, s[0:1]
	v_cmp_eq_u32_e64 s0, 0, v4
	v_cmp_lt_u32_e64 s1, 1, v4
	v_lshrrev_b32_e32 v4, 3, v8
	v_min_u32_e32 v13, 0xa0, v6
	s_and_b32 s11, s11, 0xffff
	v_cndmask_b32_e64 v7, v7, v5, s7
	v_lshlrev_b32_e32 v17, 2, v8
	v_and_b32_e32 v21, 28, v4
	v_mad_u64_u32 v[3:4], null, v0, s11, v[8:9]
	v_or_b32_e32 v0, v5, v6
	v_or_b32_e32 v4, 31, v13
	v_mad_i32_i24 v23, 0xffffffe4, v8, v19
	v_cmp_eq_u32_e32 vcc_lo, 0, v5
	v_cmp_gt_u32_e64 s5, 6, v8
	v_cmp_lt_u32_e64 s6, 31, v8
	v_cmp_eq_u32_e64 s7, 0, v8
	v_or_b32_e32 v20, 24, v19
	v_lshlrev_b32_e32 v22, 2, v7
	v_add_nc_u32_e32 v24, -4, v21
	v_lshlrev_b32_e32 v25, 3, v0
	v_cmp_eq_u32_e64 s11, v4, v8
	v_lshrrev_b32_e32 v26, 5, v3
	v_add_nc_u32_e32 v27, v23, v17
	s_mov_b32 s15, 10
	s_waitcnt vmcnt(0)
	v_add_nc_u32_e32 v13, 1, v1
	v_add_nc_u32_e32 v14, 1, v2
	v_xor_b32_e32 v15, 0x80000000, v1
	v_xor_b32_e32 v16, 0x80000000, v2
	s_branch .LBB353_2
.LBB353_1:                              ;   in Loop: Header=BB353_2 Depth=1
	s_or_b32 exec_lo, exec_lo, s12
	s_waitcnt lgkmcnt(0)
	v_add_nc_u32_e32 v3, v28, v3
	s_add_i32 s15, s15, -1
	s_delay_alu instid0(SALU_CYCLE_1) | instskip(SKIP_3) | instid1(VALU_DEP_1)
	s_cmp_lg_u32 s15, 0
	ds_bpermute_b32 v3, v22, v3
	s_waitcnt lgkmcnt(0)
	v_cndmask_b32_e32 v3, v3, v28, vcc_lo
	v_cndmask_b32_e64 v3, v3, 0, s7
	s_delay_alu instid0(VALU_DEP_1) | instskip(NEXT) | instid1(VALU_DEP_1)
	v_add_nc_u32_e32 v4, v3, v4
	v_add_nc_u32_e32 v5, v4, v5
	s_delay_alu instid0(VALU_DEP_1) | instskip(NEXT) | instid1(VALU_DEP_1)
	v_add_nc_u32_e32 v6, v5, v6
	v_add_nc_u32_e32 v28, v6, v7
	;; [unrolled: 3-line block ×3, first 2 shown]
	s_delay_alu instid0(VALU_DEP_1)
	v_add_nc_u32_e32 v1, v0, v2
	ds_store_2addr_b64 v19, v[3:4], v[5:6] offset0:3 offset1:4
	ds_store_2addr_b64 v20, v[28:29], v[0:1] offset0:2 offset1:3
	s_waitcnt lgkmcnt(0)
	s_barrier
	buffer_gl0_inv
	ds_load_b32 v0, v16
	v_lshlrev_b32_e32 v1, 3, v15
	s_waitcnt lgkmcnt(0)
	s_barrier
	buffer_gl0_inv
	v_lshl_add_u32 v0, v0, 3, v1
	ds_store_b64 v0, v[13:14]
	s_waitcnt lgkmcnt(0)
	s_barrier
	buffer_gl0_inv
	ds_load_b64 v[15:16], v27
	s_waitcnt lgkmcnt(0)
	s_barrier
	buffer_gl0_inv
	ds_store_b64 v0, v[17:18]
	s_waitcnt lgkmcnt(0)
	s_barrier
	buffer_gl0_inv
	ds_load_b64 v[13:14], v27
	s_cbranch_scc0 .LBB353_66
.LBB353_2:                              ; =>This Inner Loop Header: Depth=1
	s_delay_alu instid0(VALU_DEP_1)
	v_and_b32_e32 v0, 1, v16
	v_lshlrev_b32_e32 v1, 30, v16
	v_lshlrev_b32_e32 v2, 29, v16
	;; [unrolled: 1-line block ×4, first 2 shown]
	v_add_co_u32 v0, s12, v0, -1
	s_delay_alu instid0(VALU_DEP_1)
	v_cndmask_b32_e64 v3, 0, 1, s12
	v_not_b32_e32 v7, v1
	v_cmp_gt_i32_e64 s13, 0, v1
	v_not_b32_e32 v1, v2
	v_lshlrev_b32_e32 v6, 26, v16
	v_cmp_ne_u32_e64 s12, 0, v3
	v_ashrrev_i32_e32 v7, 31, v7
	v_lshlrev_b32_e32 v3, 25, v16
	v_ashrrev_i32_e32 v1, 31, v1
	v_cmp_gt_i32_e64 s14, 0, v5
	v_xor_b32_e32 v0, s12, v0
	v_cmp_gt_i32_e64 s12, 0, v2
	v_not_b32_e32 v2, v4
	v_xor_b32_e32 v7, s13, v7
	v_cmp_gt_i32_e64 s13, 0, v4
	v_and_b32_e32 v0, exec_lo, v0
	v_xor_b32_e32 v1, s12, v1
	v_ashrrev_i32_e32 v2, 31, v2
	v_not_b32_e32 v4, v5
	v_not_b32_e32 v5, v6
	v_and_b32_e32 v0, v0, v7
	v_cmp_gt_i32_e64 s12, 0, v6
	v_xor_b32_e32 v2, s13, v2
	v_not_b32_e32 v6, v3
	ds_store_2addr_b64 v19, v[11:12], v[9:10] offset0:3 offset1:4
	ds_store_2addr_b64 v20, v[11:12], v[9:10] offset0:2 offset1:3
	v_and_b32_e32 v0, v0, v1
	v_ashrrev_i32_e32 v1, 31, v4
	v_ashrrev_i32_e32 v4, 31, v5
	v_lshlrev_b32_e32 v5, 24, v16
	s_waitcnt lgkmcnt(0)
	v_and_b32_e32 v0, v0, v2
	v_xor_b32_e32 v1, s14, v1
	v_xor_b32_e32 v2, s12, v4
	v_cmp_gt_i32_e64 s12, 0, v3
	v_not_b32_e32 v3, v5
	v_ashrrev_i32_e32 v4, 31, v6
	v_and_b32_e32 v0, v0, v1
	v_cmp_gt_i32_e64 s13, 0, v5
	s_barrier
	v_ashrrev_i32_e32 v1, 31, v3
	v_xor_b32_e32 v3, s12, v4
	v_and_b32_e32 v0, v0, v2
	buffer_gl0_inv
	v_xor_b32_e32 v1, s13, v1
	; wave barrier
	v_and_b32_e32 v0, v0, v3
	s_delay_alu instid0(VALU_DEP_1) | instskip(SKIP_1) | instid1(VALU_DEP_2)
	v_and_b32_e32 v0, v0, v1
	v_and_b32_e32 v1, 0xff, v16
	v_mbcnt_lo_u32_b32 v17, v0, 0
	s_delay_alu instid0(VALU_DEP_2) | instskip(SKIP_1) | instid1(VALU_DEP_3)
	v_mad_u32_u24 v1, v1, 6, v26
	v_cmp_ne_u32_e64 s13, 0, v0
	v_cmp_eq_u32_e64 s12, 0, v17
	s_delay_alu instid0(VALU_DEP_3) | instskip(NEXT) | instid1(VALU_DEP_2)
	v_lshl_add_u32 v18, v1, 2, 24
	s_and_b32 s13, s13, s12
	s_delay_alu instid0(SALU_CYCLE_1)
	s_and_saveexec_b32 s12, s13
	s_cbranch_execz .LBB353_4
; %bb.3:                                ;   in Loop: Header=BB353_2 Depth=1
	v_bcnt_u32_b32 v0, v0, 0
	ds_store_b32 v18, v0
.LBB353_4:                              ;   in Loop: Header=BB353_2 Depth=1
	s_or_b32 exec_lo, exec_lo, s12
	; wave barrier
	s_waitcnt lgkmcnt(0)
	s_barrier
	buffer_gl0_inv
	ds_load_2addr_b64 v[4:7], v19 offset0:3 offset1:4
	ds_load_2addr_b64 v[0:3], v20 offset0:2 offset1:3
	s_waitcnt lgkmcnt(1)
	v_add_nc_u32_e32 v28, v5, v4
	s_delay_alu instid0(VALU_DEP_1) | instskip(SKIP_1) | instid1(VALU_DEP_1)
	v_add3_u32 v28, v28, v6, v7
	s_waitcnt lgkmcnt(0)
	v_add3_u32 v28, v28, v0, v1
	s_delay_alu instid0(VALU_DEP_1) | instskip(NEXT) | instid1(VALU_DEP_1)
	v_add3_u32 v3, v28, v2, v3
	v_mov_b32_dpp v28, v3 row_shr:1 row_mask:0xf bank_mask:0xf
	s_delay_alu instid0(VALU_DEP_1) | instskip(NEXT) | instid1(VALU_DEP_1)
	v_cndmask_b32_e64 v28, v28, 0, s0
	v_add_nc_u32_e32 v3, v28, v3
	s_delay_alu instid0(VALU_DEP_1) | instskip(NEXT) | instid1(VALU_DEP_1)
	v_mov_b32_dpp v28, v3 row_shr:2 row_mask:0xf bank_mask:0xf
	v_cndmask_b32_e64 v28, 0, v28, s1
	s_delay_alu instid0(VALU_DEP_1) | instskip(NEXT) | instid1(VALU_DEP_1)
	v_add_nc_u32_e32 v3, v3, v28
	v_mov_b32_dpp v28, v3 row_shr:4 row_mask:0xf bank_mask:0xf
	s_delay_alu instid0(VALU_DEP_1) | instskip(NEXT) | instid1(VALU_DEP_1)
	v_cndmask_b32_e64 v28, 0, v28, s2
	v_add_nc_u32_e32 v3, v3, v28
	s_delay_alu instid0(VALU_DEP_1) | instskip(NEXT) | instid1(VALU_DEP_1)
	v_mov_b32_dpp v28, v3 row_shr:8 row_mask:0xf bank_mask:0xf
	v_cndmask_b32_e64 v28, 0, v28, s3
	s_delay_alu instid0(VALU_DEP_1) | instskip(SKIP_3) | instid1(VALU_DEP_1)
	v_add_nc_u32_e32 v3, v3, v28
	ds_swizzle_b32 v28, v3 offset:swizzle(BROADCAST,32,15)
	s_waitcnt lgkmcnt(0)
	v_cndmask_b32_e64 v28, v28, 0, s4
	v_add_nc_u32_e32 v3, v3, v28
	s_and_saveexec_b32 s12, s11
	s_cbranch_execz .LBB353_6
; %bb.5:                                ;   in Loop: Header=BB353_2 Depth=1
	ds_store_b32 v21, v3
.LBB353_6:                              ;   in Loop: Header=BB353_2 Depth=1
	s_or_b32 exec_lo, exec_lo, s12
	s_waitcnt lgkmcnt(0)
	s_barrier
	buffer_gl0_inv
	s_and_saveexec_b32 s12, s5
	s_cbranch_execz .LBB353_8
; %bb.7:                                ;   in Loop: Header=BB353_2 Depth=1
	ds_load_b32 v28, v23
	s_waitcnt lgkmcnt(0)
	v_mov_b32_dpp v29, v28 row_shr:1 row_mask:0xf bank_mask:0xf
	s_delay_alu instid0(VALU_DEP_1) | instskip(NEXT) | instid1(VALU_DEP_1)
	v_cndmask_b32_e64 v29, v29, 0, s8
	v_add_nc_u32_e32 v28, v29, v28
	s_delay_alu instid0(VALU_DEP_1) | instskip(NEXT) | instid1(VALU_DEP_1)
	v_mov_b32_dpp v29, v28 row_shr:2 row_mask:0xf bank_mask:0xf
	v_cndmask_b32_e64 v29, 0, v29, s9
	s_delay_alu instid0(VALU_DEP_1) | instskip(NEXT) | instid1(VALU_DEP_1)
	v_add_nc_u32_e32 v28, v28, v29
	v_mov_b32_dpp v29, v28 row_shr:4 row_mask:0xf bank_mask:0xf
	s_delay_alu instid0(VALU_DEP_1) | instskip(NEXT) | instid1(VALU_DEP_1)
	v_cndmask_b32_e64 v29, 0, v29, s10
	v_add_nc_u32_e32 v28, v28, v29
	ds_store_b32 v23, v28
.LBB353_8:                              ;   in Loop: Header=BB353_2 Depth=1
	s_or_b32 exec_lo, exec_lo, s12
	v_mov_b32_e32 v28, 0
	s_waitcnt lgkmcnt(0)
	s_barrier
	buffer_gl0_inv
	s_and_saveexec_b32 s12, s6
	s_cbranch_execz .LBB353_10
; %bb.9:                                ;   in Loop: Header=BB353_2 Depth=1
	ds_load_b32 v28, v24
.LBB353_10:                             ;   in Loop: Header=BB353_2 Depth=1
	s_or_b32 exec_lo, exec_lo, s12
	s_waitcnt lgkmcnt(0)
	v_add_nc_u32_e32 v3, v28, v3
	ds_bpermute_b32 v3, v22, v3
	s_waitcnt lgkmcnt(0)
	v_cndmask_b32_e32 v3, v3, v28, vcc_lo
	s_delay_alu instid0(VALU_DEP_1) | instskip(NEXT) | instid1(VALU_DEP_1)
	v_cndmask_b32_e64 v3, v3, 0, s7
	v_add_nc_u32_e32 v4, v3, v4
	s_delay_alu instid0(VALU_DEP_1) | instskip(NEXT) | instid1(VALU_DEP_1)
	v_add_nc_u32_e32 v5, v4, v5
	v_add_nc_u32_e32 v6, v5, v6
	s_delay_alu instid0(VALU_DEP_1) | instskip(NEXT) | instid1(VALU_DEP_1)
	v_add_nc_u32_e32 v28, v6, v7
	;; [unrolled: 3-line block ×3, first 2 shown]
	v_add_nc_u32_e32 v1, v0, v2
	ds_store_2addr_b64 v19, v[3:4], v[5:6] offset0:3 offset1:4
	ds_store_2addr_b64 v20, v[28:29], v[0:1] offset0:2 offset1:3
	s_waitcnt lgkmcnt(0)
	s_barrier
	buffer_gl0_inv
	ds_load_b32 v0, v18
	v_lshlrev_b32_e32 v1, 3, v17
	s_waitcnt lgkmcnt(0)
	s_barrier
	buffer_gl0_inv
	v_lshl_add_u32 v0, v0, 3, v1
	ds_store_b64 v0, v[15:16]
	s_waitcnt lgkmcnt(0)
	s_barrier
	buffer_gl0_inv
	ds_load_b64 v[17:18], v25
	s_waitcnt lgkmcnt(0)
	s_barrier
	buffer_gl0_inv
	ds_store_b64 v0, v[13:14]
	s_waitcnt lgkmcnt(0)
	s_barrier
	buffer_gl0_inv
	v_bfe_u32 v1, v18, 8, 1
	v_lshrrev_b32_e32 v2, 8, v18
	s_delay_alu instid0(VALU_DEP_2) | instskip(NEXT) | instid1(VALU_DEP_1)
	v_add_co_u32 v1, s12, v1, -1
	v_cndmask_b32_e64 v3, 0, 1, s12
	s_delay_alu instid0(VALU_DEP_3)
	v_lshlrev_b32_e32 v4, 30, v2
	v_lshlrev_b32_e32 v5, 29, v2
	;; [unrolled: 1-line block ×4, first 2 shown]
	v_cmp_ne_u32_e64 s12, 0, v3
	v_not_b32_e32 v3, v4
	v_cmp_gt_i32_e64 s13, 0, v4
	v_not_b32_e32 v4, v5
	v_lshlrev_b32_e32 v15, 26, v2
	v_xor_b32_e32 v1, s12, v1
	v_ashrrev_i32_e32 v3, 31, v3
	v_cmp_gt_i32_e64 s12, 0, v5
	v_not_b32_e32 v5, v6
	v_ashrrev_i32_e32 v4, 31, v4
	v_and_b32_e32 v1, exec_lo, v1
	v_xor_b32_e32 v3, s13, v3
	v_cmp_gt_i32_e64 s13, 0, v6
	v_not_b32_e32 v6, v7
	v_ashrrev_i32_e32 v5, 31, v5
	v_xor_b32_e32 v4, s12, v4
	v_and_b32_e32 v1, v1, v3
	v_lshlrev_b32_e32 v16, 25, v2
	v_cmp_gt_i32_e64 s12, 0, v7
	v_not_b32_e32 v3, v15
	v_ashrrev_i32_e32 v6, 31, v6
	v_xor_b32_e32 v5, s13, v5
	v_and_b32_e32 v1, v1, v4
	v_lshlrev_b32_e32 v2, 24, v2
	v_cmp_gt_i32_e64 s13, 0, v15
	v_not_b32_e32 v4, v16
	v_ashrrev_i32_e32 v3, 31, v3
	v_xor_b32_e32 v6, s12, v6
	v_and_b32_e32 v1, v1, v5
	v_cmp_gt_i32_e64 s12, 0, v16
	v_not_b32_e32 v5, v2
	v_ashrrev_i32_e32 v4, 31, v4
	v_xor_b32_e32 v3, s13, v3
	v_and_b32_e32 v1, v1, v6
	v_cmp_gt_i32_e64 s13, 0, v2
	v_ashrrev_i32_e32 v2, 31, v5
	v_xor_b32_e32 v4, s12, v4
	ds_load_b64 v[15:16], v25
	v_and_b32_e32 v1, v1, v3
	s_waitcnt lgkmcnt(0)
	v_xor_b32_e32 v0, s13, v2
	s_barrier
	buffer_gl0_inv
	v_and_b32_e32 v1, v1, v4
	ds_store_2addr_b64 v19, v[11:12], v[9:10] offset0:3 offset1:4
	ds_store_2addr_b64 v20, v[11:12], v[9:10] offset0:2 offset1:3
	s_waitcnt lgkmcnt(0)
	s_barrier
	buffer_gl0_inv
	v_and_b32_e32 v0, v1, v0
	v_bfe_u32 v1, v18, 8, 8
	; wave barrier
	s_delay_alu instid0(VALU_DEP_2) | instskip(NEXT) | instid1(VALU_DEP_2)
	v_mbcnt_lo_u32_b32 v13, v0, 0
	v_mad_u32_u24 v1, v1, 6, v26
	v_cmp_ne_u32_e64 s13, 0, v0
	s_delay_alu instid0(VALU_DEP_3) | instskip(NEXT) | instid1(VALU_DEP_3)
	v_cmp_eq_u32_e64 s12, 0, v13
	v_lshl_add_u32 v14, v1, 2, 24
	s_delay_alu instid0(VALU_DEP_2) | instskip(NEXT) | instid1(SALU_CYCLE_1)
	s_and_b32 s13, s13, s12
	s_and_saveexec_b32 s12, s13
	s_cbranch_execz .LBB353_12
; %bb.11:                               ;   in Loop: Header=BB353_2 Depth=1
	v_bcnt_u32_b32 v0, v0, 0
	ds_store_b32 v14, v0
.LBB353_12:                             ;   in Loop: Header=BB353_2 Depth=1
	s_or_b32 exec_lo, exec_lo, s12
	; wave barrier
	s_waitcnt lgkmcnt(0)
	s_barrier
	buffer_gl0_inv
	ds_load_2addr_b64 v[4:7], v19 offset0:3 offset1:4
	ds_load_2addr_b64 v[0:3], v20 offset0:2 offset1:3
	s_waitcnt lgkmcnt(1)
	v_add_nc_u32_e32 v28, v5, v4
	s_delay_alu instid0(VALU_DEP_1) | instskip(SKIP_1) | instid1(VALU_DEP_1)
	v_add3_u32 v28, v28, v6, v7
	s_waitcnt lgkmcnt(0)
	v_add3_u32 v28, v28, v0, v1
	s_delay_alu instid0(VALU_DEP_1) | instskip(NEXT) | instid1(VALU_DEP_1)
	v_add3_u32 v3, v28, v2, v3
	v_mov_b32_dpp v28, v3 row_shr:1 row_mask:0xf bank_mask:0xf
	s_delay_alu instid0(VALU_DEP_1) | instskip(NEXT) | instid1(VALU_DEP_1)
	v_cndmask_b32_e64 v28, v28, 0, s0
	v_add_nc_u32_e32 v3, v28, v3
	s_delay_alu instid0(VALU_DEP_1) | instskip(NEXT) | instid1(VALU_DEP_1)
	v_mov_b32_dpp v28, v3 row_shr:2 row_mask:0xf bank_mask:0xf
	v_cndmask_b32_e64 v28, 0, v28, s1
	s_delay_alu instid0(VALU_DEP_1) | instskip(NEXT) | instid1(VALU_DEP_1)
	v_add_nc_u32_e32 v3, v3, v28
	v_mov_b32_dpp v28, v3 row_shr:4 row_mask:0xf bank_mask:0xf
	s_delay_alu instid0(VALU_DEP_1) | instskip(NEXT) | instid1(VALU_DEP_1)
	v_cndmask_b32_e64 v28, 0, v28, s2
	v_add_nc_u32_e32 v3, v3, v28
	s_delay_alu instid0(VALU_DEP_1) | instskip(NEXT) | instid1(VALU_DEP_1)
	v_mov_b32_dpp v28, v3 row_shr:8 row_mask:0xf bank_mask:0xf
	v_cndmask_b32_e64 v28, 0, v28, s3
	s_delay_alu instid0(VALU_DEP_1) | instskip(SKIP_3) | instid1(VALU_DEP_1)
	v_add_nc_u32_e32 v3, v3, v28
	ds_swizzle_b32 v28, v3 offset:swizzle(BROADCAST,32,15)
	s_waitcnt lgkmcnt(0)
	v_cndmask_b32_e64 v28, v28, 0, s4
	v_add_nc_u32_e32 v3, v3, v28
	s_and_saveexec_b32 s12, s11
	s_cbranch_execz .LBB353_14
; %bb.13:                               ;   in Loop: Header=BB353_2 Depth=1
	ds_store_b32 v21, v3
.LBB353_14:                             ;   in Loop: Header=BB353_2 Depth=1
	s_or_b32 exec_lo, exec_lo, s12
	s_waitcnt lgkmcnt(0)
	s_barrier
	buffer_gl0_inv
	s_and_saveexec_b32 s12, s5
	s_cbranch_execz .LBB353_16
; %bb.15:                               ;   in Loop: Header=BB353_2 Depth=1
	ds_load_b32 v28, v23
	s_waitcnt lgkmcnt(0)
	v_mov_b32_dpp v29, v28 row_shr:1 row_mask:0xf bank_mask:0xf
	s_delay_alu instid0(VALU_DEP_1) | instskip(NEXT) | instid1(VALU_DEP_1)
	v_cndmask_b32_e64 v29, v29, 0, s8
	v_add_nc_u32_e32 v28, v29, v28
	s_delay_alu instid0(VALU_DEP_1) | instskip(NEXT) | instid1(VALU_DEP_1)
	v_mov_b32_dpp v29, v28 row_shr:2 row_mask:0xf bank_mask:0xf
	v_cndmask_b32_e64 v29, 0, v29, s9
	s_delay_alu instid0(VALU_DEP_1) | instskip(NEXT) | instid1(VALU_DEP_1)
	v_add_nc_u32_e32 v28, v28, v29
	v_mov_b32_dpp v29, v28 row_shr:4 row_mask:0xf bank_mask:0xf
	s_delay_alu instid0(VALU_DEP_1) | instskip(NEXT) | instid1(VALU_DEP_1)
	v_cndmask_b32_e64 v29, 0, v29, s10
	v_add_nc_u32_e32 v28, v28, v29
	ds_store_b32 v23, v28
.LBB353_16:                             ;   in Loop: Header=BB353_2 Depth=1
	s_or_b32 exec_lo, exec_lo, s12
	v_mov_b32_e32 v28, 0
	s_waitcnt lgkmcnt(0)
	s_barrier
	buffer_gl0_inv
	s_and_saveexec_b32 s12, s6
	s_cbranch_execz .LBB353_18
; %bb.17:                               ;   in Loop: Header=BB353_2 Depth=1
	ds_load_b32 v28, v24
.LBB353_18:                             ;   in Loop: Header=BB353_2 Depth=1
	s_or_b32 exec_lo, exec_lo, s12
	s_waitcnt lgkmcnt(0)
	v_add_nc_u32_e32 v3, v28, v3
	ds_bpermute_b32 v3, v22, v3
	s_waitcnt lgkmcnt(0)
	v_cndmask_b32_e32 v3, v3, v28, vcc_lo
	s_delay_alu instid0(VALU_DEP_1) | instskip(NEXT) | instid1(VALU_DEP_1)
	v_cndmask_b32_e64 v3, v3, 0, s7
	v_add_nc_u32_e32 v4, v3, v4
	s_delay_alu instid0(VALU_DEP_1) | instskip(NEXT) | instid1(VALU_DEP_1)
	v_add_nc_u32_e32 v5, v4, v5
	v_add_nc_u32_e32 v6, v5, v6
	s_delay_alu instid0(VALU_DEP_1) | instskip(NEXT) | instid1(VALU_DEP_1)
	v_add_nc_u32_e32 v28, v6, v7
	;; [unrolled: 3-line block ×3, first 2 shown]
	v_add_nc_u32_e32 v1, v0, v2
	ds_store_2addr_b64 v19, v[3:4], v[5:6] offset0:3 offset1:4
	ds_store_2addr_b64 v20, v[28:29], v[0:1] offset0:2 offset1:3
	s_waitcnt lgkmcnt(0)
	s_barrier
	buffer_gl0_inv
	ds_load_b32 v0, v14
	v_lshlrev_b32_e32 v1, 3, v13
	s_waitcnt lgkmcnt(0)
	s_barrier
	buffer_gl0_inv
	v_lshl_add_u32 v0, v0, 3, v1
	v_dual_mov_b32 v1, s22 :: v_dual_mov_b32 v2, s23
	ds_store_b64 v0, v[17:18]
	s_waitcnt lgkmcnt(0)
	s_barrier
	buffer_gl0_inv
	ds_load_b64 v[13:14], v25
	s_waitcnt lgkmcnt(0)
	s_barrier
	buffer_gl0_inv
	ds_store_b64 v0, v[15:16]
	s_waitcnt lgkmcnt(0)
	s_barrier
	buffer_gl0_inv
	ds_load_b64 v[15:16], v25
	s_waitcnt lgkmcnt(0)
	s_barrier
	buffer_gl0_inv
	v_bfe_u32 v3, v14, 16, 1
	v_lshrrev_b32_e32 v4, 16, v14
	s_delay_alu instid0(VALU_DEP_2) | instskip(NEXT) | instid1(VALU_DEP_1)
	v_add_co_u32 v3, s12, v3, -1
	v_cndmask_b32_e64 v5, 0, 1, s12
	s_delay_alu instid0(VALU_DEP_3)
	v_lshlrev_b32_e32 v6, 30, v4
	v_lshlrev_b32_e32 v7, 29, v4
	;; [unrolled: 1-line block ×4, first 2 shown]
	v_cmp_ne_u32_e64 s12, 0, v5
	v_not_b32_e32 v5, v6
	v_cmp_gt_i32_e64 s13, 0, v6
	v_not_b32_e32 v6, v7
	v_lshlrev_b32_e32 v28, 26, v4
	v_xor_b32_e32 v3, s12, v3
	v_ashrrev_i32_e32 v5, 31, v5
	v_cmp_gt_i32_e64 s12, 0, v7
	v_not_b32_e32 v7, v17
	v_ashrrev_i32_e32 v6, 31, v6
	v_and_b32_e32 v3, exec_lo, v3
	v_xor_b32_e32 v5, s13, v5
	v_cmp_gt_i32_e64 s13, 0, v17
	v_not_b32_e32 v17, v18
	v_ashrrev_i32_e32 v7, 31, v7
	v_xor_b32_e32 v6, s12, v6
	v_and_b32_e32 v3, v3, v5
	v_lshlrev_b32_e32 v29, 25, v4
	v_cmp_gt_i32_e64 s12, 0, v18
	v_not_b32_e32 v5, v28
	v_ashrrev_i32_e32 v17, 31, v17
	v_xor_b32_e32 v7, s13, v7
	v_and_b32_e32 v3, v3, v6
	v_lshlrev_b32_e32 v4, 24, v4
	v_cmp_gt_i32_e64 s13, 0, v28
	v_not_b32_e32 v6, v29
	v_ashrrev_i32_e32 v5, 31, v5
	v_xor_b32_e32 v17, s12, v17
	v_and_b32_e32 v3, v3, v7
	v_cmp_gt_i32_e64 s12, 0, v29
	v_not_b32_e32 v7, v4
	v_ashrrev_i32_e32 v6, 31, v6
	v_xor_b32_e32 v5, s13, v5
	v_and_b32_e32 v3, v3, v17
	v_cmp_gt_i32_e64 s13, 0, v4
	v_ashrrev_i32_e32 v4, 31, v7
	v_xor_b32_e32 v6, s12, v6
	s_delay_alu instid0(VALU_DEP_4) | instskip(NEXT) | instid1(VALU_DEP_3)
	v_and_b32_e32 v3, v3, v5
	v_xor_b32_e32 v0, s13, v4
	s_delay_alu instid0(VALU_DEP_2)
	v_and_b32_e32 v5, v3, v6
	v_dual_mov_b32 v3, s16 :: v_dual_mov_b32 v4, s17
	ds_store_2addr_b64 v19, v[1:2], v[3:4] offset0:3 offset1:4
	ds_store_2addr_b64 v20, v[1:2], v[3:4] offset0:2 offset1:3
	v_and_b32_e32 v0, v5, v0
	v_bfe_u32 v5, v14, 16, 8
	s_waitcnt lgkmcnt(0)
	s_barrier
	buffer_gl0_inv
	v_mbcnt_lo_u32_b32 v17, v0, 0
	v_mad_u32_u24 v1, v5, 6, v26
	v_cmp_ne_u32_e64 s13, 0, v0
	; wave barrier
	s_delay_alu instid0(VALU_DEP_3) | instskip(NEXT) | instid1(VALU_DEP_3)
	v_cmp_eq_u32_e64 s12, 0, v17
	v_lshl_add_u32 v18, v1, 2, 24
	s_delay_alu instid0(VALU_DEP_2) | instskip(NEXT) | instid1(SALU_CYCLE_1)
	s_and_b32 s13, s13, s12
	s_and_saveexec_b32 s12, s13
	s_cbranch_execz .LBB353_20
; %bb.19:                               ;   in Loop: Header=BB353_2 Depth=1
	v_bcnt_u32_b32 v0, v0, 0
	ds_store_b32 v18, v0
.LBB353_20:                             ;   in Loop: Header=BB353_2 Depth=1
	s_or_b32 exec_lo, exec_lo, s12
	; wave barrier
	s_waitcnt lgkmcnt(0)
	s_barrier
	buffer_gl0_inv
	ds_load_2addr_b64 v[4:7], v19 offset0:3 offset1:4
	ds_load_2addr_b64 v[0:3], v20 offset0:2 offset1:3
	s_waitcnt lgkmcnt(1)
	v_add_nc_u32_e32 v28, v5, v4
	s_delay_alu instid0(VALU_DEP_1) | instskip(SKIP_1) | instid1(VALU_DEP_1)
	v_add3_u32 v28, v28, v6, v7
	s_waitcnt lgkmcnt(0)
	v_add3_u32 v28, v28, v0, v1
	s_delay_alu instid0(VALU_DEP_1) | instskip(NEXT) | instid1(VALU_DEP_1)
	v_add3_u32 v3, v28, v2, v3
	v_mov_b32_dpp v28, v3 row_shr:1 row_mask:0xf bank_mask:0xf
	s_delay_alu instid0(VALU_DEP_1) | instskip(NEXT) | instid1(VALU_DEP_1)
	v_cndmask_b32_e64 v28, v28, 0, s0
	v_add_nc_u32_e32 v3, v28, v3
	s_delay_alu instid0(VALU_DEP_1) | instskip(NEXT) | instid1(VALU_DEP_1)
	v_mov_b32_dpp v28, v3 row_shr:2 row_mask:0xf bank_mask:0xf
	v_cndmask_b32_e64 v28, 0, v28, s1
	s_delay_alu instid0(VALU_DEP_1) | instskip(NEXT) | instid1(VALU_DEP_1)
	v_add_nc_u32_e32 v3, v3, v28
	v_mov_b32_dpp v28, v3 row_shr:4 row_mask:0xf bank_mask:0xf
	s_delay_alu instid0(VALU_DEP_1) | instskip(NEXT) | instid1(VALU_DEP_1)
	v_cndmask_b32_e64 v28, 0, v28, s2
	v_add_nc_u32_e32 v3, v3, v28
	s_delay_alu instid0(VALU_DEP_1) | instskip(NEXT) | instid1(VALU_DEP_1)
	v_mov_b32_dpp v28, v3 row_shr:8 row_mask:0xf bank_mask:0xf
	v_cndmask_b32_e64 v28, 0, v28, s3
	s_delay_alu instid0(VALU_DEP_1) | instskip(SKIP_3) | instid1(VALU_DEP_1)
	v_add_nc_u32_e32 v3, v3, v28
	ds_swizzle_b32 v28, v3 offset:swizzle(BROADCAST,32,15)
	s_waitcnt lgkmcnt(0)
	v_cndmask_b32_e64 v28, v28, 0, s4
	v_add_nc_u32_e32 v3, v3, v28
	s_and_saveexec_b32 s12, s11
	s_cbranch_execz .LBB353_22
; %bb.21:                               ;   in Loop: Header=BB353_2 Depth=1
	ds_store_b32 v21, v3
.LBB353_22:                             ;   in Loop: Header=BB353_2 Depth=1
	s_or_b32 exec_lo, exec_lo, s12
	s_waitcnt lgkmcnt(0)
	s_barrier
	buffer_gl0_inv
	s_and_saveexec_b32 s12, s5
	s_cbranch_execz .LBB353_24
; %bb.23:                               ;   in Loop: Header=BB353_2 Depth=1
	ds_load_b32 v28, v23
	s_waitcnt lgkmcnt(0)
	v_mov_b32_dpp v29, v28 row_shr:1 row_mask:0xf bank_mask:0xf
	s_delay_alu instid0(VALU_DEP_1) | instskip(NEXT) | instid1(VALU_DEP_1)
	v_cndmask_b32_e64 v29, v29, 0, s8
	v_add_nc_u32_e32 v28, v29, v28
	s_delay_alu instid0(VALU_DEP_1) | instskip(NEXT) | instid1(VALU_DEP_1)
	v_mov_b32_dpp v29, v28 row_shr:2 row_mask:0xf bank_mask:0xf
	v_cndmask_b32_e64 v29, 0, v29, s9
	s_delay_alu instid0(VALU_DEP_1) | instskip(NEXT) | instid1(VALU_DEP_1)
	v_add_nc_u32_e32 v28, v28, v29
	v_mov_b32_dpp v29, v28 row_shr:4 row_mask:0xf bank_mask:0xf
	s_delay_alu instid0(VALU_DEP_1) | instskip(NEXT) | instid1(VALU_DEP_1)
	v_cndmask_b32_e64 v29, 0, v29, s10
	v_add_nc_u32_e32 v28, v28, v29
	ds_store_b32 v23, v28
.LBB353_24:                             ;   in Loop: Header=BB353_2 Depth=1
	s_or_b32 exec_lo, exec_lo, s12
	v_mov_b32_e32 v28, 0
	s_waitcnt lgkmcnt(0)
	s_barrier
	buffer_gl0_inv
	s_and_saveexec_b32 s12, s6
	s_cbranch_execz .LBB353_26
; %bb.25:                               ;   in Loop: Header=BB353_2 Depth=1
	ds_load_b32 v28, v24
.LBB353_26:                             ;   in Loop: Header=BB353_2 Depth=1
	s_or_b32 exec_lo, exec_lo, s12
	s_waitcnt lgkmcnt(0)
	v_add_nc_u32_e32 v3, v28, v3
	ds_bpermute_b32 v3, v22, v3
	s_waitcnt lgkmcnt(0)
	v_cndmask_b32_e32 v3, v3, v28, vcc_lo
	s_delay_alu instid0(VALU_DEP_1) | instskip(NEXT) | instid1(VALU_DEP_1)
	v_cndmask_b32_e64 v3, v3, 0, s7
	v_add_nc_u32_e32 v4, v3, v4
	s_delay_alu instid0(VALU_DEP_1) | instskip(NEXT) | instid1(VALU_DEP_1)
	v_add_nc_u32_e32 v5, v4, v5
	v_add_nc_u32_e32 v6, v5, v6
	s_delay_alu instid0(VALU_DEP_1) | instskip(NEXT) | instid1(VALU_DEP_1)
	v_add_nc_u32_e32 v28, v6, v7
	;; [unrolled: 3-line block ×3, first 2 shown]
	v_add_nc_u32_e32 v1, v0, v2
	ds_store_2addr_b64 v19, v[3:4], v[5:6] offset0:3 offset1:4
	ds_store_2addr_b64 v20, v[28:29], v[0:1] offset0:2 offset1:3
	s_waitcnt lgkmcnt(0)
	s_barrier
	buffer_gl0_inv
	ds_load_b32 v0, v18
	v_lshlrev_b32_e32 v1, 3, v17
	s_waitcnt lgkmcnt(0)
	s_barrier
	buffer_gl0_inv
	v_lshl_add_u32 v0, v0, 3, v1
	ds_store_b64 v0, v[13:14]
	s_waitcnt lgkmcnt(0)
	s_barrier
	buffer_gl0_inv
	ds_load_b64 v[13:14], v25
	s_waitcnt lgkmcnt(0)
	s_barrier
	buffer_gl0_inv
	ds_store_b64 v0, v[15:16]
	s_waitcnt lgkmcnt(0)
	s_barrier
	buffer_gl0_inv
	ds_load_b64 v[15:16], v25
	s_waitcnt lgkmcnt(0)
	s_barrier
	buffer_gl0_inv
	v_bfe_u32 v1, v14, 24, 1
	v_lshrrev_b32_e32 v5, 24, v14
	s_delay_alu instid0(VALU_DEP_2) | instskip(NEXT) | instid1(VALU_DEP_1)
	v_add_co_u32 v1, s12, v1, -1
	v_cndmask_b32_e64 v2, 0, 1, s12
	s_delay_alu instid0(VALU_DEP_3)
	v_lshlrev_b32_e32 v3, 30, v5
	v_lshlrev_b32_e32 v4, 29, v5
	;; [unrolled: 1-line block ×4, first 2 shown]
	v_cmp_ne_u32_e64 s12, 0, v2
	v_not_b32_e32 v2, v3
	v_cmp_gt_i32_e64 s13, 0, v3
	v_not_b32_e32 v3, v4
	v_lshlrev_b32_e32 v17, 26, v5
	v_xor_b32_e32 v1, s12, v1
	v_ashrrev_i32_e32 v2, 31, v2
	v_cmp_gt_i32_e64 s12, 0, v4
	v_not_b32_e32 v4, v6
	v_ashrrev_i32_e32 v3, 31, v3
	v_and_b32_e32 v1, exec_lo, v1
	v_xor_b32_e32 v2, s13, v2
	v_cmp_gt_i32_e64 s13, 0, v6
	v_not_b32_e32 v6, v7
	v_ashrrev_i32_e32 v4, 31, v4
	v_xor_b32_e32 v3, s12, v3
	v_and_b32_e32 v1, v1, v2
	v_lshlrev_b32_e32 v18, 25, v5
	v_cmp_gt_i32_e64 s12, 0, v7
	v_not_b32_e32 v2, v17
	v_ashrrev_i32_e32 v6, 31, v6
	v_xor_b32_e32 v4, s13, v4
	v_and_b32_e32 v1, v1, v3
	v_cmp_gt_i32_e64 s13, 0, v17
	v_not_b32_e32 v3, v18
	v_ashrrev_i32_e32 v2, 31, v2
	v_xor_b32_e32 v6, s12, v6
	v_and_b32_e32 v1, v1, v4
	v_not_b32_e32 v4, v14
	v_cmp_gt_i32_e64 s12, 0, v18
	v_ashrrev_i32_e32 v3, 31, v3
	v_xor_b32_e32 v2, s13, v2
	v_and_b32_e32 v1, v1, v6
	v_cmp_gt_i32_e64 s13, 0, v14
	v_ashrrev_i32_e32 v4, 31, v4
	v_xor_b32_e32 v3, s12, v3
	s_delay_alu instid0(VALU_DEP_4) | instskip(NEXT) | instid1(VALU_DEP_3)
	v_and_b32_e32 v1, v1, v2
	v_xor_b32_e32 v0, s13, v4
	s_delay_alu instid0(VALU_DEP_2) | instskip(SKIP_1) | instid1(VALU_DEP_2)
	v_and_b32_e32 v3, v1, v3
	v_dual_mov_b32 v1, s22 :: v_dual_mov_b32 v2, s23
	v_dual_mov_b32 v3, s16 :: v_dual_and_b32 v0, v3, v0
	v_mov_b32_e32 v4, s17
	ds_store_2addr_b64 v19, v[1:2], v[3:4] offset0:3 offset1:4
	ds_store_2addr_b64 v20, v[1:2], v[3:4] offset0:2 offset1:3
	v_mbcnt_lo_u32_b32 v17, v0, 0
	v_mad_u32_u24 v1, v5, 6, v26
	v_cmp_ne_u32_e64 s13, 0, v0
	s_waitcnt lgkmcnt(0)
	s_barrier
	v_cmp_eq_u32_e64 s12, 0, v17
	v_lshl_add_u32 v18, v1, 2, 24
	buffer_gl0_inv
	; wave barrier
	s_and_b32 s13, s13, s12
	s_delay_alu instid0(SALU_CYCLE_1)
	s_and_saveexec_b32 s12, s13
	s_cbranch_execz .LBB353_28
; %bb.27:                               ;   in Loop: Header=BB353_2 Depth=1
	v_bcnt_u32_b32 v0, v0, 0
	ds_store_b32 v18, v0
.LBB353_28:                             ;   in Loop: Header=BB353_2 Depth=1
	s_or_b32 exec_lo, exec_lo, s12
	; wave barrier
	s_waitcnt lgkmcnt(0)
	s_barrier
	buffer_gl0_inv
	ds_load_2addr_b64 v[4:7], v19 offset0:3 offset1:4
	ds_load_2addr_b64 v[0:3], v20 offset0:2 offset1:3
	s_waitcnt lgkmcnt(1)
	v_add_nc_u32_e32 v28, v5, v4
	s_delay_alu instid0(VALU_DEP_1) | instskip(SKIP_1) | instid1(VALU_DEP_1)
	v_add3_u32 v28, v28, v6, v7
	s_waitcnt lgkmcnt(0)
	v_add3_u32 v28, v28, v0, v1
	s_delay_alu instid0(VALU_DEP_1) | instskip(NEXT) | instid1(VALU_DEP_1)
	v_add3_u32 v3, v28, v2, v3
	v_mov_b32_dpp v28, v3 row_shr:1 row_mask:0xf bank_mask:0xf
	s_delay_alu instid0(VALU_DEP_1) | instskip(NEXT) | instid1(VALU_DEP_1)
	v_cndmask_b32_e64 v28, v28, 0, s0
	v_add_nc_u32_e32 v3, v28, v3
	s_delay_alu instid0(VALU_DEP_1) | instskip(NEXT) | instid1(VALU_DEP_1)
	v_mov_b32_dpp v28, v3 row_shr:2 row_mask:0xf bank_mask:0xf
	v_cndmask_b32_e64 v28, 0, v28, s1
	s_delay_alu instid0(VALU_DEP_1) | instskip(NEXT) | instid1(VALU_DEP_1)
	v_add_nc_u32_e32 v3, v3, v28
	v_mov_b32_dpp v28, v3 row_shr:4 row_mask:0xf bank_mask:0xf
	s_delay_alu instid0(VALU_DEP_1) | instskip(NEXT) | instid1(VALU_DEP_1)
	v_cndmask_b32_e64 v28, 0, v28, s2
	v_add_nc_u32_e32 v3, v3, v28
	s_delay_alu instid0(VALU_DEP_1) | instskip(NEXT) | instid1(VALU_DEP_1)
	v_mov_b32_dpp v28, v3 row_shr:8 row_mask:0xf bank_mask:0xf
	v_cndmask_b32_e64 v28, 0, v28, s3
	s_delay_alu instid0(VALU_DEP_1) | instskip(SKIP_3) | instid1(VALU_DEP_1)
	v_add_nc_u32_e32 v3, v3, v28
	ds_swizzle_b32 v28, v3 offset:swizzle(BROADCAST,32,15)
	s_waitcnt lgkmcnt(0)
	v_cndmask_b32_e64 v28, v28, 0, s4
	v_add_nc_u32_e32 v3, v3, v28
	s_and_saveexec_b32 s12, s11
	s_cbranch_execz .LBB353_30
; %bb.29:                               ;   in Loop: Header=BB353_2 Depth=1
	ds_store_b32 v21, v3
.LBB353_30:                             ;   in Loop: Header=BB353_2 Depth=1
	s_or_b32 exec_lo, exec_lo, s12
	s_waitcnt lgkmcnt(0)
	s_barrier
	buffer_gl0_inv
	s_and_saveexec_b32 s12, s5
	s_cbranch_execz .LBB353_32
; %bb.31:                               ;   in Loop: Header=BB353_2 Depth=1
	ds_load_b32 v28, v23
	s_waitcnt lgkmcnt(0)
	v_mov_b32_dpp v29, v28 row_shr:1 row_mask:0xf bank_mask:0xf
	s_delay_alu instid0(VALU_DEP_1) | instskip(NEXT) | instid1(VALU_DEP_1)
	v_cndmask_b32_e64 v29, v29, 0, s8
	v_add_nc_u32_e32 v28, v29, v28
	s_delay_alu instid0(VALU_DEP_1) | instskip(NEXT) | instid1(VALU_DEP_1)
	v_mov_b32_dpp v29, v28 row_shr:2 row_mask:0xf bank_mask:0xf
	v_cndmask_b32_e64 v29, 0, v29, s9
	s_delay_alu instid0(VALU_DEP_1) | instskip(NEXT) | instid1(VALU_DEP_1)
	v_add_nc_u32_e32 v28, v28, v29
	v_mov_b32_dpp v29, v28 row_shr:4 row_mask:0xf bank_mask:0xf
	s_delay_alu instid0(VALU_DEP_1) | instskip(NEXT) | instid1(VALU_DEP_1)
	v_cndmask_b32_e64 v29, 0, v29, s10
	v_add_nc_u32_e32 v28, v28, v29
	ds_store_b32 v23, v28
.LBB353_32:                             ;   in Loop: Header=BB353_2 Depth=1
	s_or_b32 exec_lo, exec_lo, s12
	v_mov_b32_e32 v28, 0
	s_waitcnt lgkmcnt(0)
	s_barrier
	buffer_gl0_inv
	s_and_saveexec_b32 s12, s6
	s_cbranch_execz .LBB353_34
; %bb.33:                               ;   in Loop: Header=BB353_2 Depth=1
	ds_load_b32 v28, v24
.LBB353_34:                             ;   in Loop: Header=BB353_2 Depth=1
	s_or_b32 exec_lo, exec_lo, s12
	s_waitcnt lgkmcnt(0)
	v_add_nc_u32_e32 v3, v28, v3
	ds_bpermute_b32 v3, v22, v3
	s_waitcnt lgkmcnt(0)
	v_cndmask_b32_e32 v3, v3, v28, vcc_lo
	s_delay_alu instid0(VALU_DEP_1) | instskip(NEXT) | instid1(VALU_DEP_1)
	v_cndmask_b32_e64 v3, v3, 0, s7
	v_add_nc_u32_e32 v4, v3, v4
	s_delay_alu instid0(VALU_DEP_1) | instskip(NEXT) | instid1(VALU_DEP_1)
	v_add_nc_u32_e32 v5, v4, v5
	v_add_nc_u32_e32 v6, v5, v6
	s_delay_alu instid0(VALU_DEP_1) | instskip(NEXT) | instid1(VALU_DEP_1)
	v_add_nc_u32_e32 v28, v6, v7
	v_add_nc_u32_e32 v29, v28, v0
	s_delay_alu instid0(VALU_DEP_1) | instskip(NEXT) | instid1(VALU_DEP_1)
	v_add_nc_u32_e32 v0, v29, v1
	v_add_nc_u32_e32 v1, v0, v2
	ds_store_2addr_b64 v19, v[3:4], v[5:6] offset0:3 offset1:4
	ds_store_2addr_b64 v20, v[28:29], v[0:1] offset0:2 offset1:3
	s_waitcnt lgkmcnt(0)
	s_barrier
	buffer_gl0_inv
	ds_load_b32 v0, v18
	v_lshlrev_b32_e32 v1, 3, v17
	s_waitcnt lgkmcnt(0)
	s_barrier
	buffer_gl0_inv
	v_lshl_add_u32 v0, v0, 3, v1
	v_dual_mov_b32 v1, s22 :: v_dual_mov_b32 v2, s23
	ds_store_b64 v0, v[13:14]
	s_waitcnt lgkmcnt(0)
	s_barrier
	buffer_gl0_inv
	ds_load_b64 v[13:14], v25
	s_waitcnt lgkmcnt(0)
	s_barrier
	buffer_gl0_inv
	ds_store_b64 v0, v[15:16]
	s_waitcnt lgkmcnt(0)
	s_barrier
	buffer_gl0_inv
	ds_load_b64 v[15:16], v25
	s_waitcnt lgkmcnt(0)
	s_barrier
	buffer_gl0_inv
	v_and_b32_e32 v3, 1, v13
	v_lshlrev_b32_e32 v4, 30, v13
	v_lshlrev_b32_e32 v5, 29, v13
	;; [unrolled: 1-line block ×4, first 2 shown]
	v_add_co_u32 v3, s12, v3, -1
	s_delay_alu instid0(VALU_DEP_1)
	v_cndmask_b32_e64 v7, 0, 1, s12
	v_not_b32_e32 v29, v4
	v_cmp_gt_i32_e64 s13, 0, v4
	v_not_b32_e32 v4, v5
	v_lshlrev_b32_e32 v18, 26, v13
	v_cmp_ne_u32_e64 s12, 0, v7
	v_ashrrev_i32_e32 v29, 31, v29
	v_lshlrev_b32_e32 v28, 25, v13
	v_ashrrev_i32_e32 v4, 31, v4
	v_lshlrev_b32_e32 v7, 24, v13
	v_xor_b32_e32 v3, s12, v3
	v_cmp_gt_i32_e64 s12, 0, v5
	v_not_b32_e32 v5, v6
	v_xor_b32_e32 v29, s13, v29
	v_cmp_gt_i32_e64 s13, 0, v6
	v_and_b32_e32 v3, exec_lo, v3
	v_not_b32_e32 v6, v17
	v_ashrrev_i32_e32 v5, 31, v5
	v_xor_b32_e32 v4, s12, v4
	v_cmp_gt_i32_e64 s12, 0, v17
	v_and_b32_e32 v3, v3, v29
	v_not_b32_e32 v17, v18
	v_ashrrev_i32_e32 v6, 31, v6
	v_xor_b32_e32 v5, s13, v5
	v_cmp_gt_i32_e64 s13, 0, v18
	v_and_b32_e32 v3, v3, v4
	;; [unrolled: 5-line block ×4, first 2 shown]
	v_ashrrev_i32_e32 v5, 31, v5
	v_xor_b32_e32 v4, s12, v4
	s_delay_alu instid0(VALU_DEP_3) | instskip(NEXT) | instid1(VALU_DEP_3)
	v_and_b32_e32 v3, v3, v17
	v_xor_b32_e32 v0, s13, v5
	s_delay_alu instid0(VALU_DEP_2)
	v_and_b32_e32 v5, v3, v4
	v_dual_mov_b32 v3, s16 :: v_dual_mov_b32 v4, s17
	ds_store_2addr_b64 v19, v[1:2], v[3:4] offset0:3 offset1:4
	ds_store_2addr_b64 v20, v[1:2], v[3:4] offset0:2 offset1:3
	v_and_b32_e32 v0, v5, v0
	v_and_b32_e32 v5, 0xff, v13
	s_waitcnt lgkmcnt(0)
	s_barrier
	buffer_gl0_inv
	v_mbcnt_lo_u32_b32 v17, v0, 0
	v_mad_u32_u24 v1, v5, 6, v26
	v_cmp_ne_u32_e64 s13, 0, v0
	; wave barrier
	s_delay_alu instid0(VALU_DEP_3) | instskip(NEXT) | instid1(VALU_DEP_3)
	v_cmp_eq_u32_e64 s12, 0, v17
	v_lshl_add_u32 v18, v1, 2, 24
	s_delay_alu instid0(VALU_DEP_2) | instskip(NEXT) | instid1(SALU_CYCLE_1)
	s_and_b32 s13, s13, s12
	s_and_saveexec_b32 s12, s13
	s_cbranch_execz .LBB353_36
; %bb.35:                               ;   in Loop: Header=BB353_2 Depth=1
	v_bcnt_u32_b32 v0, v0, 0
	ds_store_b32 v18, v0
.LBB353_36:                             ;   in Loop: Header=BB353_2 Depth=1
	s_or_b32 exec_lo, exec_lo, s12
	; wave barrier
	s_waitcnt lgkmcnt(0)
	s_barrier
	buffer_gl0_inv
	ds_load_2addr_b64 v[4:7], v19 offset0:3 offset1:4
	ds_load_2addr_b64 v[0:3], v20 offset0:2 offset1:3
	s_waitcnt lgkmcnt(1)
	v_add_nc_u32_e32 v28, v5, v4
	s_delay_alu instid0(VALU_DEP_1) | instskip(SKIP_1) | instid1(VALU_DEP_1)
	v_add3_u32 v28, v28, v6, v7
	s_waitcnt lgkmcnt(0)
	v_add3_u32 v28, v28, v0, v1
	s_delay_alu instid0(VALU_DEP_1) | instskip(NEXT) | instid1(VALU_DEP_1)
	v_add3_u32 v3, v28, v2, v3
	v_mov_b32_dpp v28, v3 row_shr:1 row_mask:0xf bank_mask:0xf
	s_delay_alu instid0(VALU_DEP_1) | instskip(NEXT) | instid1(VALU_DEP_1)
	v_cndmask_b32_e64 v28, v28, 0, s0
	v_add_nc_u32_e32 v3, v28, v3
	s_delay_alu instid0(VALU_DEP_1) | instskip(NEXT) | instid1(VALU_DEP_1)
	v_mov_b32_dpp v28, v3 row_shr:2 row_mask:0xf bank_mask:0xf
	v_cndmask_b32_e64 v28, 0, v28, s1
	s_delay_alu instid0(VALU_DEP_1) | instskip(NEXT) | instid1(VALU_DEP_1)
	v_add_nc_u32_e32 v3, v3, v28
	v_mov_b32_dpp v28, v3 row_shr:4 row_mask:0xf bank_mask:0xf
	s_delay_alu instid0(VALU_DEP_1) | instskip(NEXT) | instid1(VALU_DEP_1)
	v_cndmask_b32_e64 v28, 0, v28, s2
	v_add_nc_u32_e32 v3, v3, v28
	s_delay_alu instid0(VALU_DEP_1) | instskip(NEXT) | instid1(VALU_DEP_1)
	v_mov_b32_dpp v28, v3 row_shr:8 row_mask:0xf bank_mask:0xf
	v_cndmask_b32_e64 v28, 0, v28, s3
	s_delay_alu instid0(VALU_DEP_1) | instskip(SKIP_3) | instid1(VALU_DEP_1)
	v_add_nc_u32_e32 v3, v3, v28
	ds_swizzle_b32 v28, v3 offset:swizzle(BROADCAST,32,15)
	s_waitcnt lgkmcnt(0)
	v_cndmask_b32_e64 v28, v28, 0, s4
	v_add_nc_u32_e32 v3, v3, v28
	s_and_saveexec_b32 s12, s11
	s_cbranch_execz .LBB353_38
; %bb.37:                               ;   in Loop: Header=BB353_2 Depth=1
	ds_store_b32 v21, v3
.LBB353_38:                             ;   in Loop: Header=BB353_2 Depth=1
	s_or_b32 exec_lo, exec_lo, s12
	s_waitcnt lgkmcnt(0)
	s_barrier
	buffer_gl0_inv
	s_and_saveexec_b32 s12, s5
	s_cbranch_execz .LBB353_40
; %bb.39:                               ;   in Loop: Header=BB353_2 Depth=1
	ds_load_b32 v28, v23
	s_waitcnt lgkmcnt(0)
	v_mov_b32_dpp v29, v28 row_shr:1 row_mask:0xf bank_mask:0xf
	s_delay_alu instid0(VALU_DEP_1) | instskip(NEXT) | instid1(VALU_DEP_1)
	v_cndmask_b32_e64 v29, v29, 0, s8
	v_add_nc_u32_e32 v28, v29, v28
	s_delay_alu instid0(VALU_DEP_1) | instskip(NEXT) | instid1(VALU_DEP_1)
	v_mov_b32_dpp v29, v28 row_shr:2 row_mask:0xf bank_mask:0xf
	v_cndmask_b32_e64 v29, 0, v29, s9
	s_delay_alu instid0(VALU_DEP_1) | instskip(NEXT) | instid1(VALU_DEP_1)
	v_add_nc_u32_e32 v28, v28, v29
	v_mov_b32_dpp v29, v28 row_shr:4 row_mask:0xf bank_mask:0xf
	s_delay_alu instid0(VALU_DEP_1) | instskip(NEXT) | instid1(VALU_DEP_1)
	v_cndmask_b32_e64 v29, 0, v29, s10
	v_add_nc_u32_e32 v28, v28, v29
	ds_store_b32 v23, v28
.LBB353_40:                             ;   in Loop: Header=BB353_2 Depth=1
	s_or_b32 exec_lo, exec_lo, s12
	v_mov_b32_e32 v28, 0
	s_waitcnt lgkmcnt(0)
	s_barrier
	buffer_gl0_inv
	s_and_saveexec_b32 s12, s6
	s_cbranch_execz .LBB353_42
; %bb.41:                               ;   in Loop: Header=BB353_2 Depth=1
	ds_load_b32 v28, v24
.LBB353_42:                             ;   in Loop: Header=BB353_2 Depth=1
	s_or_b32 exec_lo, exec_lo, s12
	s_waitcnt lgkmcnt(0)
	v_add_nc_u32_e32 v3, v28, v3
	ds_bpermute_b32 v3, v22, v3
	s_waitcnt lgkmcnt(0)
	v_cndmask_b32_e32 v3, v3, v28, vcc_lo
	s_delay_alu instid0(VALU_DEP_1) | instskip(NEXT) | instid1(VALU_DEP_1)
	v_cndmask_b32_e64 v3, v3, 0, s7
	v_add_nc_u32_e32 v4, v3, v4
	s_delay_alu instid0(VALU_DEP_1) | instskip(NEXT) | instid1(VALU_DEP_1)
	v_add_nc_u32_e32 v5, v4, v5
	v_add_nc_u32_e32 v6, v5, v6
	s_delay_alu instid0(VALU_DEP_1) | instskip(NEXT) | instid1(VALU_DEP_1)
	v_add_nc_u32_e32 v28, v6, v7
	;; [unrolled: 3-line block ×3, first 2 shown]
	v_add_nc_u32_e32 v1, v0, v2
	ds_store_2addr_b64 v19, v[3:4], v[5:6] offset0:3 offset1:4
	ds_store_2addr_b64 v20, v[28:29], v[0:1] offset0:2 offset1:3
	s_waitcnt lgkmcnt(0)
	s_barrier
	buffer_gl0_inv
	ds_load_b32 v0, v18
	v_lshlrev_b32_e32 v1, 3, v17
	s_waitcnt lgkmcnt(0)
	s_barrier
	buffer_gl0_inv
	v_lshl_add_u32 v0, v0, 3, v1
	v_dual_mov_b32 v1, s22 :: v_dual_mov_b32 v2, s23
	ds_store_b64 v0, v[13:14]
	s_waitcnt lgkmcnt(0)
	s_barrier
	buffer_gl0_inv
	ds_load_b64 v[13:14], v25
	s_waitcnt lgkmcnt(0)
	s_barrier
	buffer_gl0_inv
	ds_store_b64 v0, v[15:16]
	s_waitcnt lgkmcnt(0)
	s_barrier
	buffer_gl0_inv
	ds_load_b64 v[15:16], v25
	s_waitcnt lgkmcnt(0)
	s_barrier
	buffer_gl0_inv
	v_bfe_u32 v3, v13, 8, 1
	v_lshrrev_b32_e32 v4, 8, v13
	s_delay_alu instid0(VALU_DEP_2) | instskip(NEXT) | instid1(VALU_DEP_1)
	v_add_co_u32 v3, s12, v3, -1
	v_cndmask_b32_e64 v5, 0, 1, s12
	s_delay_alu instid0(VALU_DEP_3)
	v_lshlrev_b32_e32 v6, 30, v4
	v_lshlrev_b32_e32 v7, 29, v4
	;; [unrolled: 1-line block ×4, first 2 shown]
	v_cmp_ne_u32_e64 s12, 0, v5
	v_not_b32_e32 v5, v6
	v_cmp_gt_i32_e64 s13, 0, v6
	v_not_b32_e32 v6, v7
	v_lshlrev_b32_e32 v28, 26, v4
	v_xor_b32_e32 v3, s12, v3
	v_ashrrev_i32_e32 v5, 31, v5
	v_cmp_gt_i32_e64 s12, 0, v7
	v_not_b32_e32 v7, v17
	v_ashrrev_i32_e32 v6, 31, v6
	v_and_b32_e32 v3, exec_lo, v3
	v_xor_b32_e32 v5, s13, v5
	v_cmp_gt_i32_e64 s13, 0, v17
	v_not_b32_e32 v17, v18
	v_ashrrev_i32_e32 v7, 31, v7
	v_xor_b32_e32 v6, s12, v6
	v_and_b32_e32 v3, v3, v5
	v_lshlrev_b32_e32 v29, 25, v4
	v_cmp_gt_i32_e64 s12, 0, v18
	v_not_b32_e32 v5, v28
	v_ashrrev_i32_e32 v17, 31, v17
	v_xor_b32_e32 v7, s13, v7
	v_and_b32_e32 v3, v3, v6
	v_lshlrev_b32_e32 v4, 24, v4
	v_cmp_gt_i32_e64 s13, 0, v28
	v_not_b32_e32 v6, v29
	v_ashrrev_i32_e32 v5, 31, v5
	v_xor_b32_e32 v17, s12, v17
	v_and_b32_e32 v3, v3, v7
	v_cmp_gt_i32_e64 s12, 0, v29
	v_not_b32_e32 v7, v4
	v_ashrrev_i32_e32 v6, 31, v6
	v_xor_b32_e32 v5, s13, v5
	v_and_b32_e32 v3, v3, v17
	v_cmp_gt_i32_e64 s13, 0, v4
	v_ashrrev_i32_e32 v4, 31, v7
	v_xor_b32_e32 v6, s12, v6
	s_delay_alu instid0(VALU_DEP_4) | instskip(NEXT) | instid1(VALU_DEP_3)
	v_and_b32_e32 v3, v3, v5
	v_xor_b32_e32 v0, s13, v4
	s_delay_alu instid0(VALU_DEP_2)
	v_and_b32_e32 v5, v3, v6
	v_dual_mov_b32 v3, s16 :: v_dual_mov_b32 v4, s17
	ds_store_2addr_b64 v19, v[1:2], v[3:4] offset0:3 offset1:4
	ds_store_2addr_b64 v20, v[1:2], v[3:4] offset0:2 offset1:3
	v_and_b32_e32 v0, v5, v0
	v_bfe_u32 v5, v13, 8, 8
	s_waitcnt lgkmcnt(0)
	s_barrier
	buffer_gl0_inv
	v_mbcnt_lo_u32_b32 v17, v0, 0
	v_mad_u32_u24 v1, v5, 6, v26
	v_cmp_ne_u32_e64 s13, 0, v0
	; wave barrier
	s_delay_alu instid0(VALU_DEP_3) | instskip(NEXT) | instid1(VALU_DEP_3)
	v_cmp_eq_u32_e64 s12, 0, v17
	v_lshl_add_u32 v18, v1, 2, 24
	s_delay_alu instid0(VALU_DEP_2) | instskip(NEXT) | instid1(SALU_CYCLE_1)
	s_and_b32 s13, s13, s12
	s_and_saveexec_b32 s12, s13
	s_cbranch_execz .LBB353_44
; %bb.43:                               ;   in Loop: Header=BB353_2 Depth=1
	v_bcnt_u32_b32 v0, v0, 0
	ds_store_b32 v18, v0
.LBB353_44:                             ;   in Loop: Header=BB353_2 Depth=1
	s_or_b32 exec_lo, exec_lo, s12
	; wave barrier
	s_waitcnt lgkmcnt(0)
	s_barrier
	buffer_gl0_inv
	ds_load_2addr_b64 v[4:7], v19 offset0:3 offset1:4
	ds_load_2addr_b64 v[0:3], v20 offset0:2 offset1:3
	s_waitcnt lgkmcnt(1)
	v_add_nc_u32_e32 v28, v5, v4
	s_delay_alu instid0(VALU_DEP_1) | instskip(SKIP_1) | instid1(VALU_DEP_1)
	v_add3_u32 v28, v28, v6, v7
	s_waitcnt lgkmcnt(0)
	v_add3_u32 v28, v28, v0, v1
	s_delay_alu instid0(VALU_DEP_1) | instskip(NEXT) | instid1(VALU_DEP_1)
	v_add3_u32 v3, v28, v2, v3
	v_mov_b32_dpp v28, v3 row_shr:1 row_mask:0xf bank_mask:0xf
	s_delay_alu instid0(VALU_DEP_1) | instskip(NEXT) | instid1(VALU_DEP_1)
	v_cndmask_b32_e64 v28, v28, 0, s0
	v_add_nc_u32_e32 v3, v28, v3
	s_delay_alu instid0(VALU_DEP_1) | instskip(NEXT) | instid1(VALU_DEP_1)
	v_mov_b32_dpp v28, v3 row_shr:2 row_mask:0xf bank_mask:0xf
	v_cndmask_b32_e64 v28, 0, v28, s1
	s_delay_alu instid0(VALU_DEP_1) | instskip(NEXT) | instid1(VALU_DEP_1)
	v_add_nc_u32_e32 v3, v3, v28
	v_mov_b32_dpp v28, v3 row_shr:4 row_mask:0xf bank_mask:0xf
	s_delay_alu instid0(VALU_DEP_1) | instskip(NEXT) | instid1(VALU_DEP_1)
	v_cndmask_b32_e64 v28, 0, v28, s2
	v_add_nc_u32_e32 v3, v3, v28
	s_delay_alu instid0(VALU_DEP_1) | instskip(NEXT) | instid1(VALU_DEP_1)
	v_mov_b32_dpp v28, v3 row_shr:8 row_mask:0xf bank_mask:0xf
	v_cndmask_b32_e64 v28, 0, v28, s3
	s_delay_alu instid0(VALU_DEP_1) | instskip(SKIP_3) | instid1(VALU_DEP_1)
	v_add_nc_u32_e32 v3, v3, v28
	ds_swizzle_b32 v28, v3 offset:swizzle(BROADCAST,32,15)
	s_waitcnt lgkmcnt(0)
	v_cndmask_b32_e64 v28, v28, 0, s4
	v_add_nc_u32_e32 v3, v3, v28
	s_and_saveexec_b32 s12, s11
	s_cbranch_execz .LBB353_46
; %bb.45:                               ;   in Loop: Header=BB353_2 Depth=1
	ds_store_b32 v21, v3
.LBB353_46:                             ;   in Loop: Header=BB353_2 Depth=1
	s_or_b32 exec_lo, exec_lo, s12
	s_waitcnt lgkmcnt(0)
	s_barrier
	buffer_gl0_inv
	s_and_saveexec_b32 s12, s5
	s_cbranch_execz .LBB353_48
; %bb.47:                               ;   in Loop: Header=BB353_2 Depth=1
	ds_load_b32 v28, v23
	s_waitcnt lgkmcnt(0)
	v_mov_b32_dpp v29, v28 row_shr:1 row_mask:0xf bank_mask:0xf
	s_delay_alu instid0(VALU_DEP_1) | instskip(NEXT) | instid1(VALU_DEP_1)
	v_cndmask_b32_e64 v29, v29, 0, s8
	v_add_nc_u32_e32 v28, v29, v28
	s_delay_alu instid0(VALU_DEP_1) | instskip(NEXT) | instid1(VALU_DEP_1)
	v_mov_b32_dpp v29, v28 row_shr:2 row_mask:0xf bank_mask:0xf
	v_cndmask_b32_e64 v29, 0, v29, s9
	s_delay_alu instid0(VALU_DEP_1) | instskip(NEXT) | instid1(VALU_DEP_1)
	v_add_nc_u32_e32 v28, v28, v29
	v_mov_b32_dpp v29, v28 row_shr:4 row_mask:0xf bank_mask:0xf
	s_delay_alu instid0(VALU_DEP_1) | instskip(NEXT) | instid1(VALU_DEP_1)
	v_cndmask_b32_e64 v29, 0, v29, s10
	v_add_nc_u32_e32 v28, v28, v29
	ds_store_b32 v23, v28
.LBB353_48:                             ;   in Loop: Header=BB353_2 Depth=1
	s_or_b32 exec_lo, exec_lo, s12
	v_mov_b32_e32 v28, 0
	s_waitcnt lgkmcnt(0)
	s_barrier
	buffer_gl0_inv
	s_and_saveexec_b32 s12, s6
	s_cbranch_execz .LBB353_50
; %bb.49:                               ;   in Loop: Header=BB353_2 Depth=1
	ds_load_b32 v28, v24
.LBB353_50:                             ;   in Loop: Header=BB353_2 Depth=1
	s_or_b32 exec_lo, exec_lo, s12
	s_waitcnt lgkmcnt(0)
	v_add_nc_u32_e32 v3, v28, v3
	ds_bpermute_b32 v3, v22, v3
	s_waitcnt lgkmcnt(0)
	v_cndmask_b32_e32 v3, v3, v28, vcc_lo
	s_delay_alu instid0(VALU_DEP_1) | instskip(NEXT) | instid1(VALU_DEP_1)
	v_cndmask_b32_e64 v3, v3, 0, s7
	v_add_nc_u32_e32 v4, v3, v4
	s_delay_alu instid0(VALU_DEP_1) | instskip(NEXT) | instid1(VALU_DEP_1)
	v_add_nc_u32_e32 v5, v4, v5
	v_add_nc_u32_e32 v6, v5, v6
	s_delay_alu instid0(VALU_DEP_1) | instskip(NEXT) | instid1(VALU_DEP_1)
	v_add_nc_u32_e32 v28, v6, v7
	v_add_nc_u32_e32 v29, v28, v0
	s_delay_alu instid0(VALU_DEP_1) | instskip(NEXT) | instid1(VALU_DEP_1)
	v_add_nc_u32_e32 v0, v29, v1
	v_add_nc_u32_e32 v1, v0, v2
	ds_store_2addr_b64 v19, v[3:4], v[5:6] offset0:3 offset1:4
	ds_store_2addr_b64 v20, v[28:29], v[0:1] offset0:2 offset1:3
	s_waitcnt lgkmcnt(0)
	s_barrier
	buffer_gl0_inv
	ds_load_b32 v0, v18
	v_lshlrev_b32_e32 v1, 3, v17
	s_waitcnt lgkmcnt(0)
	s_barrier
	buffer_gl0_inv
	v_lshl_add_u32 v0, v0, 3, v1
	v_dual_mov_b32 v1, s22 :: v_dual_mov_b32 v2, s23
	ds_store_b64 v0, v[13:14]
	s_waitcnt lgkmcnt(0)
	s_barrier
	buffer_gl0_inv
	ds_load_b64 v[13:14], v25
	s_waitcnt lgkmcnt(0)
	s_barrier
	buffer_gl0_inv
	ds_store_b64 v0, v[15:16]
	s_waitcnt lgkmcnt(0)
	s_barrier
	buffer_gl0_inv
	ds_load_b64 v[15:16], v25
	s_waitcnt lgkmcnt(0)
	s_barrier
	buffer_gl0_inv
	v_bfe_u32 v3, v13, 16, 1
	v_lshrrev_b32_e32 v4, 16, v13
	s_delay_alu instid0(VALU_DEP_2) | instskip(NEXT) | instid1(VALU_DEP_1)
	v_add_co_u32 v3, s12, v3, -1
	v_cndmask_b32_e64 v5, 0, 1, s12
	s_delay_alu instid0(VALU_DEP_3)
	v_lshlrev_b32_e32 v6, 30, v4
	v_lshlrev_b32_e32 v7, 29, v4
	;; [unrolled: 1-line block ×4, first 2 shown]
	v_cmp_ne_u32_e64 s12, 0, v5
	v_not_b32_e32 v5, v6
	v_cmp_gt_i32_e64 s13, 0, v6
	v_not_b32_e32 v6, v7
	v_lshlrev_b32_e32 v28, 26, v4
	v_xor_b32_e32 v3, s12, v3
	v_ashrrev_i32_e32 v5, 31, v5
	v_cmp_gt_i32_e64 s12, 0, v7
	v_not_b32_e32 v7, v17
	v_ashrrev_i32_e32 v6, 31, v6
	v_and_b32_e32 v3, exec_lo, v3
	v_xor_b32_e32 v5, s13, v5
	v_cmp_gt_i32_e64 s13, 0, v17
	v_not_b32_e32 v17, v18
	v_ashrrev_i32_e32 v7, 31, v7
	v_xor_b32_e32 v6, s12, v6
	v_and_b32_e32 v3, v3, v5
	v_lshlrev_b32_e32 v29, 25, v4
	v_cmp_gt_i32_e64 s12, 0, v18
	v_not_b32_e32 v5, v28
	v_ashrrev_i32_e32 v17, 31, v17
	v_xor_b32_e32 v7, s13, v7
	v_and_b32_e32 v3, v3, v6
	v_lshlrev_b32_e32 v4, 24, v4
	v_cmp_gt_i32_e64 s13, 0, v28
	v_not_b32_e32 v6, v29
	v_ashrrev_i32_e32 v5, 31, v5
	v_xor_b32_e32 v17, s12, v17
	v_and_b32_e32 v3, v3, v7
	v_cmp_gt_i32_e64 s12, 0, v29
	v_not_b32_e32 v7, v4
	v_ashrrev_i32_e32 v6, 31, v6
	v_xor_b32_e32 v5, s13, v5
	v_and_b32_e32 v3, v3, v17
	v_cmp_gt_i32_e64 s13, 0, v4
	v_ashrrev_i32_e32 v4, 31, v7
	v_xor_b32_e32 v6, s12, v6
	s_delay_alu instid0(VALU_DEP_4) | instskip(NEXT) | instid1(VALU_DEP_3)
	v_and_b32_e32 v3, v3, v5
	v_xor_b32_e32 v0, s13, v4
	s_delay_alu instid0(VALU_DEP_2)
	v_and_b32_e32 v5, v3, v6
	v_dual_mov_b32 v3, s16 :: v_dual_mov_b32 v4, s17
	ds_store_2addr_b64 v19, v[1:2], v[3:4] offset0:3 offset1:4
	ds_store_2addr_b64 v20, v[1:2], v[3:4] offset0:2 offset1:3
	v_and_b32_e32 v0, v5, v0
	v_bfe_u32 v5, v13, 16, 8
	s_waitcnt lgkmcnt(0)
	s_barrier
	buffer_gl0_inv
	v_mbcnt_lo_u32_b32 v17, v0, 0
	v_mad_u32_u24 v1, v5, 6, v26
	v_cmp_ne_u32_e64 s13, 0, v0
	; wave barrier
	s_delay_alu instid0(VALU_DEP_3) | instskip(NEXT) | instid1(VALU_DEP_3)
	v_cmp_eq_u32_e64 s12, 0, v17
	v_lshl_add_u32 v18, v1, 2, 24
	s_delay_alu instid0(VALU_DEP_2) | instskip(NEXT) | instid1(SALU_CYCLE_1)
	s_and_b32 s13, s13, s12
	s_and_saveexec_b32 s12, s13
	s_cbranch_execz .LBB353_52
; %bb.51:                               ;   in Loop: Header=BB353_2 Depth=1
	v_bcnt_u32_b32 v0, v0, 0
	ds_store_b32 v18, v0
.LBB353_52:                             ;   in Loop: Header=BB353_2 Depth=1
	s_or_b32 exec_lo, exec_lo, s12
	; wave barrier
	s_waitcnt lgkmcnt(0)
	s_barrier
	buffer_gl0_inv
	ds_load_2addr_b64 v[4:7], v19 offset0:3 offset1:4
	ds_load_2addr_b64 v[0:3], v20 offset0:2 offset1:3
	s_waitcnt lgkmcnt(1)
	v_add_nc_u32_e32 v28, v5, v4
	s_delay_alu instid0(VALU_DEP_1) | instskip(SKIP_1) | instid1(VALU_DEP_1)
	v_add3_u32 v28, v28, v6, v7
	s_waitcnt lgkmcnt(0)
	v_add3_u32 v28, v28, v0, v1
	s_delay_alu instid0(VALU_DEP_1) | instskip(NEXT) | instid1(VALU_DEP_1)
	v_add3_u32 v3, v28, v2, v3
	v_mov_b32_dpp v28, v3 row_shr:1 row_mask:0xf bank_mask:0xf
	s_delay_alu instid0(VALU_DEP_1) | instskip(NEXT) | instid1(VALU_DEP_1)
	v_cndmask_b32_e64 v28, v28, 0, s0
	v_add_nc_u32_e32 v3, v28, v3
	s_delay_alu instid0(VALU_DEP_1) | instskip(NEXT) | instid1(VALU_DEP_1)
	v_mov_b32_dpp v28, v3 row_shr:2 row_mask:0xf bank_mask:0xf
	v_cndmask_b32_e64 v28, 0, v28, s1
	s_delay_alu instid0(VALU_DEP_1) | instskip(NEXT) | instid1(VALU_DEP_1)
	v_add_nc_u32_e32 v3, v3, v28
	v_mov_b32_dpp v28, v3 row_shr:4 row_mask:0xf bank_mask:0xf
	s_delay_alu instid0(VALU_DEP_1) | instskip(NEXT) | instid1(VALU_DEP_1)
	v_cndmask_b32_e64 v28, 0, v28, s2
	v_add_nc_u32_e32 v3, v3, v28
	s_delay_alu instid0(VALU_DEP_1) | instskip(NEXT) | instid1(VALU_DEP_1)
	v_mov_b32_dpp v28, v3 row_shr:8 row_mask:0xf bank_mask:0xf
	v_cndmask_b32_e64 v28, 0, v28, s3
	s_delay_alu instid0(VALU_DEP_1) | instskip(SKIP_3) | instid1(VALU_DEP_1)
	v_add_nc_u32_e32 v3, v3, v28
	ds_swizzle_b32 v28, v3 offset:swizzle(BROADCAST,32,15)
	s_waitcnt lgkmcnt(0)
	v_cndmask_b32_e64 v28, v28, 0, s4
	v_add_nc_u32_e32 v3, v3, v28
	s_and_saveexec_b32 s12, s11
	s_cbranch_execz .LBB353_54
; %bb.53:                               ;   in Loop: Header=BB353_2 Depth=1
	ds_store_b32 v21, v3
.LBB353_54:                             ;   in Loop: Header=BB353_2 Depth=1
	s_or_b32 exec_lo, exec_lo, s12
	s_waitcnt lgkmcnt(0)
	s_barrier
	buffer_gl0_inv
	s_and_saveexec_b32 s12, s5
	s_cbranch_execz .LBB353_56
; %bb.55:                               ;   in Loop: Header=BB353_2 Depth=1
	ds_load_b32 v28, v23
	s_waitcnt lgkmcnt(0)
	v_mov_b32_dpp v29, v28 row_shr:1 row_mask:0xf bank_mask:0xf
	s_delay_alu instid0(VALU_DEP_1) | instskip(NEXT) | instid1(VALU_DEP_1)
	v_cndmask_b32_e64 v29, v29, 0, s8
	v_add_nc_u32_e32 v28, v29, v28
	s_delay_alu instid0(VALU_DEP_1) | instskip(NEXT) | instid1(VALU_DEP_1)
	v_mov_b32_dpp v29, v28 row_shr:2 row_mask:0xf bank_mask:0xf
	v_cndmask_b32_e64 v29, 0, v29, s9
	s_delay_alu instid0(VALU_DEP_1) | instskip(NEXT) | instid1(VALU_DEP_1)
	v_add_nc_u32_e32 v28, v28, v29
	v_mov_b32_dpp v29, v28 row_shr:4 row_mask:0xf bank_mask:0xf
	s_delay_alu instid0(VALU_DEP_1) | instskip(NEXT) | instid1(VALU_DEP_1)
	v_cndmask_b32_e64 v29, 0, v29, s10
	v_add_nc_u32_e32 v28, v28, v29
	ds_store_b32 v23, v28
.LBB353_56:                             ;   in Loop: Header=BB353_2 Depth=1
	s_or_b32 exec_lo, exec_lo, s12
	v_mov_b32_e32 v28, 0
	s_waitcnt lgkmcnt(0)
	s_barrier
	buffer_gl0_inv
	s_and_saveexec_b32 s12, s6
	s_cbranch_execz .LBB353_58
; %bb.57:                               ;   in Loop: Header=BB353_2 Depth=1
	ds_load_b32 v28, v24
.LBB353_58:                             ;   in Loop: Header=BB353_2 Depth=1
	s_or_b32 exec_lo, exec_lo, s12
	s_waitcnt lgkmcnt(0)
	v_add_nc_u32_e32 v3, v28, v3
	ds_bpermute_b32 v3, v22, v3
	s_waitcnt lgkmcnt(0)
	v_cndmask_b32_e32 v3, v3, v28, vcc_lo
	s_delay_alu instid0(VALU_DEP_1) | instskip(NEXT) | instid1(VALU_DEP_1)
	v_cndmask_b32_e64 v3, v3, 0, s7
	v_add_nc_u32_e32 v4, v3, v4
	s_delay_alu instid0(VALU_DEP_1) | instskip(NEXT) | instid1(VALU_DEP_1)
	v_add_nc_u32_e32 v5, v4, v5
	v_add_nc_u32_e32 v6, v5, v6
	s_delay_alu instid0(VALU_DEP_1) | instskip(NEXT) | instid1(VALU_DEP_1)
	v_add_nc_u32_e32 v28, v6, v7
	v_add_nc_u32_e32 v29, v28, v0
	s_delay_alu instid0(VALU_DEP_1) | instskip(NEXT) | instid1(VALU_DEP_1)
	v_add_nc_u32_e32 v0, v29, v1
	v_add_nc_u32_e32 v1, v0, v2
	ds_store_2addr_b64 v19, v[3:4], v[5:6] offset0:3 offset1:4
	ds_store_2addr_b64 v20, v[28:29], v[0:1] offset0:2 offset1:3
	s_waitcnt lgkmcnt(0)
	s_barrier
	buffer_gl0_inv
	ds_load_b32 v0, v18
	v_lshlrev_b32_e32 v1, 3, v17
	s_waitcnt lgkmcnt(0)
	s_barrier
	buffer_gl0_inv
	v_lshl_add_u32 v0, v0, 3, v1
	ds_store_b64 v0, v[13:14]
	s_waitcnt lgkmcnt(0)
	s_barrier
	buffer_gl0_inv
	ds_load_b64 v[13:14], v25
	s_waitcnt lgkmcnt(0)
	s_barrier
	buffer_gl0_inv
	ds_store_b64 v0, v[15:16]
	s_waitcnt lgkmcnt(0)
	s_barrier
	buffer_gl0_inv
	v_bfe_u32 v1, v13, 24, 1
	v_lshrrev_b32_e32 v5, 24, v13
	s_delay_alu instid0(VALU_DEP_2) | instskip(NEXT) | instid1(VALU_DEP_1)
	v_add_co_u32 v1, s12, v1, -1
	v_cndmask_b32_e64 v2, 0, 1, s12
	s_delay_alu instid0(VALU_DEP_3)
	v_lshlrev_b32_e32 v3, 30, v5
	v_lshlrev_b32_e32 v4, 29, v5
	;; [unrolled: 1-line block ×4, first 2 shown]
	v_cmp_ne_u32_e64 s12, 0, v2
	v_not_b32_e32 v2, v3
	v_cmp_gt_i32_e64 s13, 0, v3
	v_not_b32_e32 v3, v4
	v_lshlrev_b32_e32 v17, 26, v5
	v_xor_b32_e32 v1, s12, v1
	v_ashrrev_i32_e32 v2, 31, v2
	v_cmp_gt_i32_e64 s12, 0, v4
	v_not_b32_e32 v4, v6
	v_ashrrev_i32_e32 v3, 31, v3
	v_and_b32_e32 v1, exec_lo, v1
	v_xor_b32_e32 v2, s13, v2
	v_cmp_gt_i32_e64 s13, 0, v6
	v_not_b32_e32 v6, v7
	v_ashrrev_i32_e32 v4, 31, v4
	v_xor_b32_e32 v3, s12, v3
	v_and_b32_e32 v1, v1, v2
	v_lshlrev_b32_e32 v18, 25, v5
	v_cmp_gt_i32_e64 s12, 0, v7
	v_not_b32_e32 v2, v17
	v_ashrrev_i32_e32 v6, 31, v6
	v_xor_b32_e32 v4, s13, v4
	v_and_b32_e32 v1, v1, v3
	v_cmp_gt_i32_e64 s13, 0, v17
	v_not_b32_e32 v3, v18
	v_ashrrev_i32_e32 v2, 31, v2
	v_xor_b32_e32 v6, s12, v6
	v_and_b32_e32 v1, v1, v4
	v_not_b32_e32 v4, v13
	v_cmp_gt_i32_e64 s12, 0, v18
	v_ashrrev_i32_e32 v3, 31, v3
	v_xor_b32_e32 v2, s13, v2
	v_and_b32_e32 v1, v1, v6
	v_cmp_gt_i32_e64 s13, 0, v13
	v_ashrrev_i32_e32 v4, 31, v4
	v_xor_b32_e32 v3, s12, v3
	ds_load_b64 v[17:18], v25
	v_and_b32_e32 v1, v1, v2
	s_waitcnt lgkmcnt(0)
	v_xor_b32_e32 v0, s13, v4
	s_barrier
	buffer_gl0_inv
	v_and_b32_e32 v3, v1, v3
	v_dual_mov_b32 v1, s22 :: v_dual_mov_b32 v2, s23
	s_delay_alu instid0(VALU_DEP_2)
	v_dual_mov_b32 v3, s16 :: v_dual_and_b32 v0, v3, v0
	v_mov_b32_e32 v4, s17
	ds_store_2addr_b64 v19, v[1:2], v[3:4] offset0:3 offset1:4
	ds_store_2addr_b64 v20, v[1:2], v[3:4] offset0:2 offset1:3
	v_mbcnt_lo_u32_b32 v15, v0, 0
	v_mad_u32_u24 v1, v5, 6, v26
	v_cmp_ne_u32_e64 s13, 0, v0
	s_waitcnt lgkmcnt(0)
	s_barrier
	v_cmp_eq_u32_e64 s12, 0, v15
	v_lshl_add_u32 v16, v1, 2, 24
	buffer_gl0_inv
	; wave barrier
	s_and_b32 s13, s13, s12
	s_delay_alu instid0(SALU_CYCLE_1)
	s_and_saveexec_b32 s12, s13
	s_cbranch_execz .LBB353_60
; %bb.59:                               ;   in Loop: Header=BB353_2 Depth=1
	v_bcnt_u32_b32 v0, v0, 0
	ds_store_b32 v16, v0
.LBB353_60:                             ;   in Loop: Header=BB353_2 Depth=1
	s_or_b32 exec_lo, exec_lo, s12
	; wave barrier
	s_waitcnt lgkmcnt(0)
	s_barrier
	buffer_gl0_inv
	ds_load_2addr_b64 v[4:7], v19 offset0:3 offset1:4
	ds_load_2addr_b64 v[0:3], v20 offset0:2 offset1:3
	s_waitcnt lgkmcnt(1)
	v_add_nc_u32_e32 v28, v5, v4
	s_delay_alu instid0(VALU_DEP_1) | instskip(SKIP_1) | instid1(VALU_DEP_1)
	v_add3_u32 v28, v28, v6, v7
	s_waitcnt lgkmcnt(0)
	v_add3_u32 v28, v28, v0, v1
	s_delay_alu instid0(VALU_DEP_1) | instskip(NEXT) | instid1(VALU_DEP_1)
	v_add3_u32 v3, v28, v2, v3
	v_mov_b32_dpp v28, v3 row_shr:1 row_mask:0xf bank_mask:0xf
	s_delay_alu instid0(VALU_DEP_1) | instskip(NEXT) | instid1(VALU_DEP_1)
	v_cndmask_b32_e64 v28, v28, 0, s0
	v_add_nc_u32_e32 v3, v28, v3
	s_delay_alu instid0(VALU_DEP_1) | instskip(NEXT) | instid1(VALU_DEP_1)
	v_mov_b32_dpp v28, v3 row_shr:2 row_mask:0xf bank_mask:0xf
	v_cndmask_b32_e64 v28, 0, v28, s1
	s_delay_alu instid0(VALU_DEP_1) | instskip(NEXT) | instid1(VALU_DEP_1)
	v_add_nc_u32_e32 v3, v3, v28
	v_mov_b32_dpp v28, v3 row_shr:4 row_mask:0xf bank_mask:0xf
	s_delay_alu instid0(VALU_DEP_1) | instskip(NEXT) | instid1(VALU_DEP_1)
	v_cndmask_b32_e64 v28, 0, v28, s2
	v_add_nc_u32_e32 v3, v3, v28
	s_delay_alu instid0(VALU_DEP_1) | instskip(NEXT) | instid1(VALU_DEP_1)
	v_mov_b32_dpp v28, v3 row_shr:8 row_mask:0xf bank_mask:0xf
	v_cndmask_b32_e64 v28, 0, v28, s3
	s_delay_alu instid0(VALU_DEP_1) | instskip(SKIP_3) | instid1(VALU_DEP_1)
	v_add_nc_u32_e32 v3, v3, v28
	ds_swizzle_b32 v28, v3 offset:swizzle(BROADCAST,32,15)
	s_waitcnt lgkmcnt(0)
	v_cndmask_b32_e64 v28, v28, 0, s4
	v_add_nc_u32_e32 v3, v3, v28
	s_and_saveexec_b32 s12, s11
	s_cbranch_execz .LBB353_62
; %bb.61:                               ;   in Loop: Header=BB353_2 Depth=1
	ds_store_b32 v21, v3
.LBB353_62:                             ;   in Loop: Header=BB353_2 Depth=1
	s_or_b32 exec_lo, exec_lo, s12
	s_waitcnt lgkmcnt(0)
	s_barrier
	buffer_gl0_inv
	s_and_saveexec_b32 s12, s5
	s_cbranch_execz .LBB353_64
; %bb.63:                               ;   in Loop: Header=BB353_2 Depth=1
	ds_load_b32 v28, v23
	s_waitcnt lgkmcnt(0)
	v_mov_b32_dpp v29, v28 row_shr:1 row_mask:0xf bank_mask:0xf
	s_delay_alu instid0(VALU_DEP_1) | instskip(NEXT) | instid1(VALU_DEP_1)
	v_cndmask_b32_e64 v29, v29, 0, s8
	v_add_nc_u32_e32 v28, v29, v28
	s_delay_alu instid0(VALU_DEP_1) | instskip(NEXT) | instid1(VALU_DEP_1)
	v_mov_b32_dpp v29, v28 row_shr:2 row_mask:0xf bank_mask:0xf
	v_cndmask_b32_e64 v29, 0, v29, s9
	s_delay_alu instid0(VALU_DEP_1) | instskip(NEXT) | instid1(VALU_DEP_1)
	v_add_nc_u32_e32 v28, v28, v29
	v_mov_b32_dpp v29, v28 row_shr:4 row_mask:0xf bank_mask:0xf
	s_delay_alu instid0(VALU_DEP_1) | instskip(NEXT) | instid1(VALU_DEP_1)
	v_cndmask_b32_e64 v29, 0, v29, s10
	v_add_nc_u32_e32 v28, v28, v29
	ds_store_b32 v23, v28
.LBB353_64:                             ;   in Loop: Header=BB353_2 Depth=1
	s_or_b32 exec_lo, exec_lo, s12
	v_mov_b32_e32 v28, 0
	s_waitcnt lgkmcnt(0)
	s_barrier
	buffer_gl0_inv
	s_and_saveexec_b32 s12, s6
	s_cbranch_execz .LBB353_1
; %bb.65:                               ;   in Loop: Header=BB353_2 Depth=1
	ds_load_b32 v28, v24
	s_branch .LBB353_1
.LBB353_66:
	s_waitcnt lgkmcnt(0)
	v_add3_u32 v0, v13, v15, 0x80000000
	v_add3_u32 v1, v14, v16, 0x80000000
	v_lshlrev_b32_e32 v2, 3, v8
	s_add_u32 s0, s18, s20
	s_addc_u32 s1, s19, s21
	global_store_b64 v2, v[0:1], s[0:1]
	s_nop 0
	s_sendmsg sendmsg(MSG_DEALLOC_VGPRS)
	s_endpgm
	.section	.rodata,"a",@progbits
	.p2align	6, 0x0
	.amdhsa_kernel _Z17sort_pairs_kernelI22helper_blocked_stripedN15benchmark_utils11custom_typeIiiEELj192ELj1ELj10EEvPKT0_PS4_
		.amdhsa_group_segment_fixed_size 6176
		.amdhsa_private_segment_fixed_size 0
		.amdhsa_kernarg_size 272
		.amdhsa_user_sgpr_count 15
		.amdhsa_user_sgpr_dispatch_ptr 0
		.amdhsa_user_sgpr_queue_ptr 0
		.amdhsa_user_sgpr_kernarg_segment_ptr 1
		.amdhsa_user_sgpr_dispatch_id 0
		.amdhsa_user_sgpr_private_segment_size 0
		.amdhsa_wavefront_size32 1
		.amdhsa_uses_dynamic_stack 0
		.amdhsa_enable_private_segment 0
		.amdhsa_system_sgpr_workgroup_id_x 1
		.amdhsa_system_sgpr_workgroup_id_y 0
		.amdhsa_system_sgpr_workgroup_id_z 0
		.amdhsa_system_sgpr_workgroup_info 0
		.amdhsa_system_vgpr_workitem_id 2
		.amdhsa_next_free_vgpr 30
		.amdhsa_next_free_sgpr 24
		.amdhsa_reserve_vcc 1
		.amdhsa_float_round_mode_32 0
		.amdhsa_float_round_mode_16_64 0
		.amdhsa_float_denorm_mode_32 3
		.amdhsa_float_denorm_mode_16_64 3
		.amdhsa_dx10_clamp 1
		.amdhsa_ieee_mode 1
		.amdhsa_fp16_overflow 0
		.amdhsa_workgroup_processor_mode 1
		.amdhsa_memory_ordered 1
		.amdhsa_forward_progress 0
		.amdhsa_shared_vgpr_count 0
		.amdhsa_exception_fp_ieee_invalid_op 0
		.amdhsa_exception_fp_denorm_src 0
		.amdhsa_exception_fp_ieee_div_zero 0
		.amdhsa_exception_fp_ieee_overflow 0
		.amdhsa_exception_fp_ieee_underflow 0
		.amdhsa_exception_fp_ieee_inexact 0
		.amdhsa_exception_int_div_zero 0
	.end_amdhsa_kernel
	.section	.text._Z17sort_pairs_kernelI22helper_blocked_stripedN15benchmark_utils11custom_typeIiiEELj192ELj1ELj10EEvPKT0_PS4_,"axG",@progbits,_Z17sort_pairs_kernelI22helper_blocked_stripedN15benchmark_utils11custom_typeIiiEELj192ELj1ELj10EEvPKT0_PS4_,comdat
.Lfunc_end353:
	.size	_Z17sort_pairs_kernelI22helper_blocked_stripedN15benchmark_utils11custom_typeIiiEELj192ELj1ELj10EEvPKT0_PS4_, .Lfunc_end353-_Z17sort_pairs_kernelI22helper_blocked_stripedN15benchmark_utils11custom_typeIiiEELj192ELj1ELj10EEvPKT0_PS4_
                                        ; -- End function
	.section	.AMDGPU.csdata,"",@progbits
; Kernel info:
; codeLenInByte = 8536
; NumSgprs: 26
; NumVgprs: 30
; ScratchSize: 0
; MemoryBound: 0
; FloatMode: 240
; IeeeMode: 1
; LDSByteSize: 6176 bytes/workgroup (compile time only)
; SGPRBlocks: 3
; VGPRBlocks: 3
; NumSGPRsForWavesPerEU: 26
; NumVGPRsForWavesPerEU: 30
; Occupancy: 15
; WaveLimiterHint : 0
; COMPUTE_PGM_RSRC2:SCRATCH_EN: 0
; COMPUTE_PGM_RSRC2:USER_SGPR: 15
; COMPUTE_PGM_RSRC2:TRAP_HANDLER: 0
; COMPUTE_PGM_RSRC2:TGID_X_EN: 1
; COMPUTE_PGM_RSRC2:TGID_Y_EN: 0
; COMPUTE_PGM_RSRC2:TGID_Z_EN: 0
; COMPUTE_PGM_RSRC2:TIDIG_COMP_CNT: 2
	.section	.text._Z16sort_keys_kernelI22helper_blocked_stripedN15benchmark_utils11custom_typeIiiEELj192ELj3ELj10EEvPKT0_PS4_,"axG",@progbits,_Z16sort_keys_kernelI22helper_blocked_stripedN15benchmark_utils11custom_typeIiiEELj192ELj3ELj10EEvPKT0_PS4_,comdat
	.protected	_Z16sort_keys_kernelI22helper_blocked_stripedN15benchmark_utils11custom_typeIiiEELj192ELj3ELj10EEvPKT0_PS4_ ; -- Begin function _Z16sort_keys_kernelI22helper_blocked_stripedN15benchmark_utils11custom_typeIiiEELj192ELj3ELj10EEvPKT0_PS4_
	.globl	_Z16sort_keys_kernelI22helper_blocked_stripedN15benchmark_utils11custom_typeIiiEELj192ELj3ELj10EEvPKT0_PS4_
	.p2align	8
	.type	_Z16sort_keys_kernelI22helper_blocked_stripedN15benchmark_utils11custom_typeIiiEELj192ELj3ELj10EEvPKT0_PS4_,@function
_Z16sort_keys_kernelI22helper_blocked_stripedN15benchmark_utils11custom_typeIiiEELj192ELj3ELj10EEvPKT0_PS4_: ; @_Z16sort_keys_kernelI22helper_blocked_stripedN15benchmark_utils11custom_typeIiiEELj192ELj3ELj10EEvPKT0_PS4_
; %bb.0:
	s_clause 0x1
	s_load_b128 s[16:19], s[0:1], 0x0
	s_load_b32 s2, s[0:1], 0x1c
	s_mov_b32 s23, 0
	s_mul_i32 s22, s15, 0x240
	v_mbcnt_lo_u32_b32 v12, -1, 0
	s_lshl_b64 s[20:21], s[22:23], 3
	s_mov_b32 s22, s23
	v_and_b32_e32 v8, 0x3ff, v0
	v_bfe_u32 v9, v0, 10, 10
	v_bfe_u32 v0, v0, 20, 10
	s_mov_b32 s14, s23
	s_mov_b32 s15, s23
	v_mul_u32_u24_e32 v1, 3, v8
	v_and_b32_e32 v14, 16, v12
	v_cmp_eq_u32_e64 s8, 0, v12
	s_delay_alu instid0(VALU_DEP_3) | instskip(NEXT) | instid1(VALU_DEP_3)
	v_lshlrev_b32_e32 v7, 3, v1
	v_cmp_eq_u32_e64 s4, 0, v14
	s_waitcnt lgkmcnt(0)
	s_add_u32 s0, s16, s20
	s_addc_u32 s1, s17, s21
	s_clause 0x2
	global_load_b64 v[5:6], v7, s[0:1] offset:16
	global_load_b128 v[1:4], v7, s[0:1]
	global_load_b64 v[1:2], v7, s[0:1]
	v_lshrrev_b32_e32 v7, 5, v8
	s_lshr_b32 s0, s2, 16
	s_delay_alu instid0(SALU_CYCLE_1) | instskip(SKIP_1) | instid1(VALU_DEP_2)
	v_mad_u32_u24 v0, v0, s0, v9
	s_and_b32 s0, s2, 0xffff
	v_mul_u32_u24_e32 v11, 0x60, v7
	v_lshlrev_b32_e32 v25, 2, v7
	s_delay_alu instid0(VALU_DEP_3) | instskip(NEXT) | instid1(VALU_DEP_3)
	v_mad_u64_u32 v[9:10], null, v0, s0, v[8:9]
	v_lshlrev_b32_e32 v13, 3, v11
	v_or_b32_e32 v0, v12, v11
	v_and_b32_e32 v11, 0xe0, v8
	v_and_b32_e32 v10, 15, v12
	v_add_nc_u32_e32 v27, -4, v25
	v_mad_u32_u24 v21, v12, 24, v13
	v_add_nc_u32_e32 v13, -1, v12
	v_lshlrev_b32_e32 v22, 3, v0
	v_min_u32_e32 v0, 0xa0, v11
	v_cmp_eq_u32_e64 s0, 0, v10
	v_cmp_lt_u32_e64 s1, 1, v10
	v_cmp_gt_i32_e32 vcc_lo, 0, v13
	v_cmp_lt_u32_e64 s2, 3, v10
	v_cmp_lt_u32_e64 s3, 7, v10
	v_or_b32_e32 v0, 31, v0
	v_lshrrev_b32_e32 v9, 5, v9
	v_cndmask_b32_e32 v10, v13, v12, vcc_lo
	s_delay_alu instid0(VALU_DEP_3) | instskip(SKIP_1) | instid1(VALU_DEP_3)
	v_cmp_eq_u32_e64 s5, v0, v8
	v_mul_u32_u24_e32 v0, 3, v11
	v_lshlrev_b32_e32 v24, 2, v10
	v_and_b32_e32 v10, 7, v12
	s_delay_alu instid0(VALU_DEP_3) | instskip(SKIP_1) | instid1(VALU_DEP_3)
	v_or_b32_e32 v0, v12, v0
	v_mov_b32_e32 v12, s14
	v_cmp_eq_u32_e64 s10, 0, v10
	v_cmp_lt_u32_e64 s11, 1, v10
	v_cmp_lt_u32_e64 s12, 3, v10
	v_dual_mov_b32 v10, s22 :: v_dual_mov_b32 v11, s23
	v_dual_mov_b32 v13, s15 :: v_dual_lshlrev_b32 v20, 5, v8
	v_lshlrev_b32_e32 v28, 3, v0
	v_lshlrev_b32_e32 v0, 2, v8
	v_cmp_gt_u32_e64 s6, 6, v8
	s_delay_alu instid0(VALU_DEP_4) | instskip(SKIP_3) | instid1(VALU_DEP_4)
	v_mad_i32_i24 v26, 0xffffffe4, v8, v20
	v_or_b32_e32 v23, 24, v20
	v_cmp_lt_u32_e64 s7, 31, v8
	v_cmp_eq_u32_e64 s9, 0, v8
	v_add_nc_u32_e32 v29, v26, v0
	s_branch .LBB354_2
.LBB354_1:                              ;   in Loop: Header=BB354_2 Depth=1
	s_barrier
	buffer_gl0_inv
	ds_store_b64 v6, v[14:15]
	ds_store_b64 v7, v[18:19]
	;; [unrolled: 1-line block ×3, first 2 shown]
	s_waitcnt lgkmcnt(0)
	s_barrier
	buffer_gl0_inv
	ds_load_2addr_stride64_b64 v[1:4], v29 offset1:3
	ds_load_b64 v[5:6], v29 offset:3072
	s_add_i32 s23, s23, 1
	s_delay_alu instid0(SALU_CYCLE_1)
	s_cmp_eq_u32 s23, 10
	s_waitcnt lgkmcnt(1)
	v_xor_b32_e32 v1, 0x80000000, v1
	v_xor_b32_e32 v2, 0x80000000, v2
	v_xor_b32_e32 v3, 0x80000000, v3
	v_xor_b32_e32 v4, 0x80000000, v4
	s_waitcnt lgkmcnt(0)
	v_xor_b32_e32 v5, 0x80000000, v5
	v_xor_b32_e32 v6, 0x80000000, v6
	s_cbranch_scc1 .LBB354_18
.LBB354_2:                              ; =>This Loop Header: Depth=1
                                        ;     Child Loop BB354_4 Depth 2
	s_waitcnt vmcnt(0)
	v_xor_b32_e32 v2, 0x80000000, v2
	v_xor_b32_e32 v1, 0x80000000, v1
	;; [unrolled: 1-line block ×6, first 2 shown]
	ds_store_2addr_b64 v21, v[1:2], v[3:4] offset1:1
	ds_store_b64 v21, v[5:6] offset:16
	; wave barrier
	ds_load_2addr_b64 v[0:3], v22 offset1:32
	ds_load_b64 v[4:5], v22 offset:512
	s_mov_b32 s16, 8
	s_mov_b32 s17, 32
	;; [unrolled: 1-line block ×3, first 2 shown]
	s_waitcnt lgkmcnt(0)
	s_barrier
	buffer_gl0_inv
	; wave barrier
	s_barrier
	s_branch .LBB354_4
.LBB354_3:                              ;   in Loop: Header=BB354_4 Depth=2
	s_barrier
	buffer_gl0_inv
	ds_store_b64 v6, v[14:15]
	ds_store_b64 v7, v[18:19]
	ds_store_b64 v30, v[16:17]
	s_waitcnt lgkmcnt(0)
	s_barrier
	buffer_gl0_inv
	ds_load_2addr_b64 v[0:3], v28 offset1:32
	ds_load_b64 v[4:5], v28 offset:512
	s_add_i32 s17, s17, -8
	s_add_i32 s16, s16, 8
	s_add_i32 s22, s22, 8
	s_waitcnt lgkmcnt(0)
	s_barrier
	s_cbranch_execz .LBB354_1
.LBB354_4:                              ;   Parent Loop BB354_2 Depth=1
                                        ; =>  This Inner Loop Header: Depth=2
	s_min_i32 s14, s16, 32
	s_cmp_lt_u32 s22, 32
	v_dual_mov_b32 v15, v1 :: v_dual_mov_b32 v14, v0
	s_cselect_b32 vcc_lo, -1, 0
	s_cmp_gt_u32 s22, 24
	buffer_gl0_inv
	s_cselect_b32 s13, -1, 0
	s_sub_i32 s14, s14, 32
	v_lshrrev_b32_e32 v1, s22, v15
	s_add_i32 s15, s14, s17
	ds_store_2addr_b64 v20, v[10:11], v[12:13] offset0:3 offset1:4
	ds_store_2addr_b64 v23, v[10:11], v[12:13] offset0:2 offset1:3
	s_lshl_b32 s15, -1, s15
	s_waitcnt lgkmcnt(0)
	s_not_b32 s15, s15
	s_cmp_lg_u32 s14, s22
	s_barrier
	s_cselect_b32 s24, s15, -1
	s_max_i32 s25, s17, 0
	s_max_i32 s14, s22, 32
	v_and_b32_e32 v1, s24, v1
	s_sub_i32 s15, s14, s25
	s_sub_i32 s26, s14, 32
	;; [unrolled: 1-line block ×3, first 2 shown]
	v_lshrrev_b32_e32 v0, s26, v14
	s_min_i32 s14, s15, 32
	buffer_gl0_inv
	s_sub_i32 s14, s14, s26
	s_delay_alu instid0(SALU_CYCLE_1) | instskip(NEXT) | instid1(SALU_CYCLE_1)
	s_lshl_b32 s15, -1, s14
	; wave barrier
	s_not_b32 s15, s15
	s_cmp_lg_u32 s14, 32
	v_cndmask_b32_e32 v1, 0, v1, vcc_lo
	s_cselect_b32 s27, s15, -1
	s_delay_alu instid0(SALU_CYCLE_1) | instskip(NEXT) | instid1(VALU_DEP_1)
	v_and_b32_e32 v0, s27, v0
	v_lshlrev_b32_e32 v0, s25, v0
	s_delay_alu instid0(VALU_DEP_1) | instskip(NEXT) | instid1(VALU_DEP_1)
	v_cndmask_b32_e64 v0, 0, v0, s13
	v_or_b32_e32 v6, v1, v0
	s_delay_alu instid0(VALU_DEP_1)
	v_and_b32_e32 v0, 1, v6
	v_lshlrev_b32_e32 v1, 30, v6
	v_lshlrev_b32_e32 v7, 29, v6
	;; [unrolled: 1-line block ×4, first 2 shown]
	v_add_co_u32 v0, s14, v0, -1
	s_delay_alu instid0(VALU_DEP_1)
	v_cndmask_b32_e64 v17, 0, 1, s14
	v_not_b32_e32 v31, v1
	v_cmp_gt_i32_e64 s15, 0, v1
	v_not_b32_e32 v1, v7
	v_lshlrev_b32_e32 v19, 26, v6
	v_cmp_ne_u32_e64 s14, 0, v17
	v_ashrrev_i32_e32 v31, 31, v31
	v_lshlrev_b32_e32 v30, 25, v6
	v_ashrrev_i32_e32 v1, 31, v1
	v_lshlrev_b32_e32 v17, 24, v6
	v_xor_b32_e32 v0, s14, v0
	v_cmp_gt_i32_e64 s14, 0, v7
	v_not_b32_e32 v7, v16
	v_xor_b32_e32 v31, s15, v31
	v_cmp_gt_i32_e64 s15, 0, v16
	v_and_b32_e32 v0, exec_lo, v0
	v_not_b32_e32 v16, v18
	v_ashrrev_i32_e32 v7, 31, v7
	v_xor_b32_e32 v1, s14, v1
	v_cmp_gt_i32_e64 s14, 0, v18
	v_and_b32_e32 v0, v0, v31
	v_not_b32_e32 v18, v19
	v_ashrrev_i32_e32 v16, 31, v16
	v_xor_b32_e32 v7, s15, v7
	v_cmp_gt_i32_e64 s15, 0, v19
	v_and_b32_e32 v0, v0, v1
	;; [unrolled: 5-line block ×4, first 2 shown]
	v_ashrrev_i32_e32 v7, 31, v7
	v_xor_b32_e32 v1, s14, v1
	v_dual_mov_b32 v17, v5 :: v_dual_mov_b32 v16, v4
	s_delay_alu instid0(VALU_DEP_4) | instskip(NEXT) | instid1(VALU_DEP_4)
	v_and_b32_e32 v0, v0, v18
	v_xor_b32_e32 v7, s15, v7
	v_dual_mov_b32 v19, v3 :: v_dual_mov_b32 v18, v2
	s_delay_alu instid0(VALU_DEP_3) | instskip(SKIP_1) | instid1(VALU_DEP_2)
	v_and_b32_e32 v0, v0, v1
	v_mad_u64_u32 v[1:2], null, v6, 6, v[9:10]
	v_and_b32_e32 v0, v0, v7
	s_delay_alu instid0(VALU_DEP_2) | instskip(NEXT) | instid1(VALU_DEP_2)
	v_lshl_add_u32 v31, v1, 2, 24
	v_mbcnt_lo_u32_b32 v30, v0, 0
	v_cmp_ne_u32_e64 s15, 0, v0
	s_delay_alu instid0(VALU_DEP_2) | instskip(NEXT) | instid1(VALU_DEP_1)
	v_cmp_eq_u32_e64 s14, 0, v30
	s_and_b32 s15, s14, s15
	s_delay_alu instid0(SALU_CYCLE_1)
	s_and_saveexec_b32 s14, s15
	s_cbranch_execz .LBB354_6
; %bb.5:                                ;   in Loop: Header=BB354_4 Depth=2
	v_bcnt_u32_b32 v0, v0, 0
	ds_store_b32 v31, v0
.LBB354_6:                              ;   in Loop: Header=BB354_4 Depth=2
	s_or_b32 exec_lo, exec_lo, s14
	v_lshrrev_b32_e32 v0, s26, v18
	v_lshrrev_b32_e32 v1, s22, v19
	; wave barrier
	s_delay_alu instid0(VALU_DEP_1) | instskip(NEXT) | instid1(VALU_DEP_1)
	v_and_b32_e32 v1, s24, v1
	v_dual_cndmask_b32 v1, 0, v1 :: v_dual_and_b32 v0, s27, v0
	s_delay_alu instid0(VALU_DEP_1) | instskip(NEXT) | instid1(VALU_DEP_1)
	v_lshlrev_b32_e32 v0, s25, v0
	v_cndmask_b32_e64 v0, 0, v0, s13
	s_delay_alu instid0(VALU_DEP_1) | instskip(NEXT) | instid1(VALU_DEP_1)
	v_or_b32_e32 v0, v1, v0
	v_and_b32_e32 v2, 1, v0
	v_lshlrev_b32_e32 v3, 30, v0
	v_lshlrev_b32_e32 v4, 29, v0
	;; [unrolled: 1-line block ×4, first 2 shown]
	v_add_co_u32 v2, s14, v2, -1
	s_delay_alu instid0(VALU_DEP_1)
	v_cndmask_b32_e64 v6, 0, 1, s14
	v_not_b32_e32 v34, v3
	v_cmp_gt_i32_e64 s15, 0, v3
	v_not_b32_e32 v3, v4
	v_lshlrev_b32_e32 v32, 26, v0
	v_cmp_ne_u32_e64 s14, 0, v6
	v_ashrrev_i32_e32 v6, 31, v34
	v_lshlrev_b32_e32 v33, 25, v0
	v_ashrrev_i32_e32 v3, 31, v3
	v_mul_lo_u32 v1, v0, 6
	v_xor_b32_e32 v2, s14, v2
	v_cmp_gt_i32_e64 s14, 0, v4
	v_not_b32_e32 v4, v5
	v_xor_b32_e32 v6, s15, v6
	v_cmp_gt_i32_e64 s15, 0, v5
	v_and_b32_e32 v2, exec_lo, v2
	v_not_b32_e32 v5, v7
	v_ashrrev_i32_e32 v4, 31, v4
	v_xor_b32_e32 v3, s14, v3
	v_cmp_gt_i32_e64 s14, 0, v7
	v_and_b32_e32 v2, v2, v6
	v_not_b32_e32 v6, v32
	v_ashrrev_i32_e32 v5, 31, v5
	v_xor_b32_e32 v4, s15, v4
	v_lshlrev_b32_e32 v0, 24, v0
	v_and_b32_e32 v2, v2, v3
	v_cmp_gt_i32_e64 s15, 0, v32
	v_not_b32_e32 v3, v33
	v_ashrrev_i32_e32 v6, 31, v6
	v_xor_b32_e32 v5, s14, v5
	v_and_b32_e32 v2, v2, v4
	v_cmp_gt_i32_e64 s14, 0, v33
	v_not_b32_e32 v4, v0
	v_ashrrev_i32_e32 v3, 31, v3
	v_xor_b32_e32 v6, s15, v6
	v_and_b32_e32 v2, v2, v5
	v_cmp_gt_i32_e64 s15, 0, v0
	v_ashrrev_i32_e32 v0, 31, v4
	v_xor_b32_e32 v3, s14, v3
	v_add_lshl_u32 v1, v1, v9, 2
	v_and_b32_e32 v2, v2, v6
	s_delay_alu instid0(VALU_DEP_4) | instskip(SKIP_3) | instid1(VALU_DEP_2)
	v_xor_b32_e32 v0, s15, v0
	ds_load_b32 v32, v1 offset:24
	v_and_b32_e32 v2, v2, v3
	v_add_nc_u32_e32 v34, 24, v1
	; wave barrier
	v_and_b32_e32 v0, v2, v0
	s_delay_alu instid0(VALU_DEP_1) | instskip(SKIP_1) | instid1(VALU_DEP_2)
	v_mbcnt_lo_u32_b32 v33, v0, 0
	v_cmp_ne_u32_e64 s15, 0, v0
	v_cmp_eq_u32_e64 s14, 0, v33
	s_delay_alu instid0(VALU_DEP_1) | instskip(NEXT) | instid1(SALU_CYCLE_1)
	s_and_b32 s15, s14, s15
	s_and_saveexec_b32 s14, s15
	s_cbranch_execz .LBB354_8
; %bb.7:                                ;   in Loop: Header=BB354_4 Depth=2
	s_waitcnt lgkmcnt(0)
	v_bcnt_u32_b32 v0, v0, v32
	ds_store_b32 v34, v0
.LBB354_8:                              ;   in Loop: Header=BB354_4 Depth=2
	s_or_b32 exec_lo, exec_lo, s14
	v_lshrrev_b32_e32 v0, s26, v16
	v_lshrrev_b32_e32 v1, s22, v17
	; wave barrier
	s_delay_alu instid0(VALU_DEP_1) | instskip(NEXT) | instid1(VALU_DEP_1)
	v_and_b32_e32 v1, s24, v1
	v_dual_cndmask_b32 v1, 0, v1 :: v_dual_and_b32 v0, s27, v0
	s_delay_alu instid0(VALU_DEP_1) | instskip(NEXT) | instid1(VALU_DEP_1)
	v_lshlrev_b32_e32 v0, s25, v0
	v_cndmask_b32_e64 v0, 0, v0, s13
	s_delay_alu instid0(VALU_DEP_1) | instskip(NEXT) | instid1(VALU_DEP_1)
	v_or_b32_e32 v0, v1, v0
	v_and_b32_e32 v2, 1, v0
	v_lshlrev_b32_e32 v3, 30, v0
	v_lshlrev_b32_e32 v4, 29, v0
	;; [unrolled: 1-line block ×4, first 2 shown]
	v_add_co_u32 v2, s13, v2, -1
	s_delay_alu instid0(VALU_DEP_1)
	v_cndmask_b32_e64 v6, 0, 1, s13
	v_not_b32_e32 v37, v3
	v_cmp_gt_i32_e64 s13, 0, v3
	v_not_b32_e32 v3, v4
	v_lshlrev_b32_e32 v35, 26, v0
	v_cmp_ne_u32_e32 vcc_lo, 0, v6
	v_ashrrev_i32_e32 v6, 31, v37
	v_lshlrev_b32_e32 v36, 25, v0
	v_ashrrev_i32_e32 v3, 31, v3
	v_mul_lo_u32 v1, v0, 6
	v_xor_b32_e32 v2, vcc_lo, v2
	v_cmp_gt_i32_e32 vcc_lo, 0, v4
	v_not_b32_e32 v4, v5
	v_xor_b32_e32 v6, s13, v6
	v_cmp_gt_i32_e64 s13, 0, v5
	v_and_b32_e32 v2, exec_lo, v2
	v_not_b32_e32 v5, v7
	v_ashrrev_i32_e32 v4, 31, v4
	v_xor_b32_e32 v3, vcc_lo, v3
	v_cmp_gt_i32_e32 vcc_lo, 0, v7
	v_and_b32_e32 v2, v2, v6
	v_not_b32_e32 v6, v35
	v_ashrrev_i32_e32 v5, 31, v5
	v_xor_b32_e32 v4, s13, v4
	v_lshlrev_b32_e32 v0, 24, v0
	v_and_b32_e32 v2, v2, v3
	v_cmp_gt_i32_e64 s13, 0, v35
	v_not_b32_e32 v3, v36
	v_ashrrev_i32_e32 v6, 31, v6
	v_xor_b32_e32 v5, vcc_lo, v5
	v_and_b32_e32 v2, v2, v4
	v_cmp_gt_i32_e32 vcc_lo, 0, v36
	v_not_b32_e32 v4, v0
	v_ashrrev_i32_e32 v3, 31, v3
	v_xor_b32_e32 v6, s13, v6
	v_and_b32_e32 v2, v2, v5
	v_cmp_gt_i32_e64 s13, 0, v0
	v_ashrrev_i32_e32 v0, 31, v4
	v_xor_b32_e32 v3, vcc_lo, v3
	v_add_lshl_u32 v1, v1, v9, 2
	v_and_b32_e32 v2, v2, v6
	s_delay_alu instid0(VALU_DEP_4) | instskip(SKIP_3) | instid1(VALU_DEP_2)
	v_xor_b32_e32 v0, s13, v0
	ds_load_b32 v35, v1 offset:24
	v_and_b32_e32 v2, v2, v3
	v_add_nc_u32_e32 v37, 24, v1
	; wave barrier
	v_and_b32_e32 v0, v2, v0
	s_delay_alu instid0(VALU_DEP_1) | instskip(SKIP_1) | instid1(VALU_DEP_2)
	v_mbcnt_lo_u32_b32 v36, v0, 0
	v_cmp_ne_u32_e64 s13, 0, v0
	v_cmp_eq_u32_e32 vcc_lo, 0, v36
	s_delay_alu instid0(VALU_DEP_2) | instskip(NEXT) | instid1(SALU_CYCLE_1)
	s_and_b32 s14, vcc_lo, s13
	s_and_saveexec_b32 s13, s14
	s_cbranch_execz .LBB354_10
; %bb.9:                                ;   in Loop: Header=BB354_4 Depth=2
	s_waitcnt lgkmcnt(0)
	v_bcnt_u32_b32 v0, v0, v35
	ds_store_b32 v37, v0
.LBB354_10:                             ;   in Loop: Header=BB354_4 Depth=2
	s_or_b32 exec_lo, exec_lo, s13
	; wave barrier
	s_waitcnt lgkmcnt(0)
	s_barrier
	buffer_gl0_inv
	ds_load_2addr_b64 v[4:7], v20 offset0:3 offset1:4
	ds_load_2addr_b64 v[0:3], v23 offset0:2 offset1:3
	s_waitcnt lgkmcnt(1)
	v_add_nc_u32_e32 v38, v5, v4
	s_delay_alu instid0(VALU_DEP_1) | instskip(SKIP_1) | instid1(VALU_DEP_1)
	v_add3_u32 v38, v38, v6, v7
	s_waitcnt lgkmcnt(0)
	v_add3_u32 v38, v38, v0, v1
	s_delay_alu instid0(VALU_DEP_1) | instskip(NEXT) | instid1(VALU_DEP_1)
	v_add3_u32 v3, v38, v2, v3
	v_mov_b32_dpp v38, v3 row_shr:1 row_mask:0xf bank_mask:0xf
	s_delay_alu instid0(VALU_DEP_1) | instskip(NEXT) | instid1(VALU_DEP_1)
	v_cndmask_b32_e64 v38, v38, 0, s0
	v_add_nc_u32_e32 v3, v38, v3
	s_delay_alu instid0(VALU_DEP_1) | instskip(NEXT) | instid1(VALU_DEP_1)
	v_mov_b32_dpp v38, v3 row_shr:2 row_mask:0xf bank_mask:0xf
	v_cndmask_b32_e64 v38, 0, v38, s1
	s_delay_alu instid0(VALU_DEP_1) | instskip(NEXT) | instid1(VALU_DEP_1)
	v_add_nc_u32_e32 v3, v3, v38
	v_mov_b32_dpp v38, v3 row_shr:4 row_mask:0xf bank_mask:0xf
	s_delay_alu instid0(VALU_DEP_1) | instskip(NEXT) | instid1(VALU_DEP_1)
	v_cndmask_b32_e64 v38, 0, v38, s2
	v_add_nc_u32_e32 v3, v3, v38
	s_delay_alu instid0(VALU_DEP_1) | instskip(NEXT) | instid1(VALU_DEP_1)
	v_mov_b32_dpp v38, v3 row_shr:8 row_mask:0xf bank_mask:0xf
	v_cndmask_b32_e64 v38, 0, v38, s3
	s_delay_alu instid0(VALU_DEP_1) | instskip(SKIP_3) | instid1(VALU_DEP_1)
	v_add_nc_u32_e32 v3, v3, v38
	ds_swizzle_b32 v38, v3 offset:swizzle(BROADCAST,32,15)
	s_waitcnt lgkmcnt(0)
	v_cndmask_b32_e64 v38, v38, 0, s4
	v_add_nc_u32_e32 v3, v3, v38
	s_and_saveexec_b32 s13, s5
	s_cbranch_execz .LBB354_12
; %bb.11:                               ;   in Loop: Header=BB354_4 Depth=2
	ds_store_b32 v25, v3
.LBB354_12:                             ;   in Loop: Header=BB354_4 Depth=2
	s_or_b32 exec_lo, exec_lo, s13
	s_waitcnt lgkmcnt(0)
	s_barrier
	buffer_gl0_inv
	s_and_saveexec_b32 s13, s6
	s_cbranch_execz .LBB354_14
; %bb.13:                               ;   in Loop: Header=BB354_4 Depth=2
	ds_load_b32 v38, v26
	s_waitcnt lgkmcnt(0)
	v_mov_b32_dpp v39, v38 row_shr:1 row_mask:0xf bank_mask:0xf
	s_delay_alu instid0(VALU_DEP_1) | instskip(NEXT) | instid1(VALU_DEP_1)
	v_cndmask_b32_e64 v39, v39, 0, s10
	v_add_nc_u32_e32 v38, v39, v38
	s_delay_alu instid0(VALU_DEP_1) | instskip(NEXT) | instid1(VALU_DEP_1)
	v_mov_b32_dpp v39, v38 row_shr:2 row_mask:0xf bank_mask:0xf
	v_cndmask_b32_e64 v39, 0, v39, s11
	s_delay_alu instid0(VALU_DEP_1) | instskip(NEXT) | instid1(VALU_DEP_1)
	v_add_nc_u32_e32 v38, v38, v39
	v_mov_b32_dpp v39, v38 row_shr:4 row_mask:0xf bank_mask:0xf
	s_delay_alu instid0(VALU_DEP_1) | instskip(NEXT) | instid1(VALU_DEP_1)
	v_cndmask_b32_e64 v39, 0, v39, s12
	v_add_nc_u32_e32 v38, v38, v39
	ds_store_b32 v26, v38
.LBB354_14:                             ;   in Loop: Header=BB354_4 Depth=2
	s_or_b32 exec_lo, exec_lo, s13
	v_mov_b32_e32 v38, 0
	s_waitcnt lgkmcnt(0)
	s_barrier
	buffer_gl0_inv
	s_and_saveexec_b32 s13, s7
	s_cbranch_execz .LBB354_16
; %bb.15:                               ;   in Loop: Header=BB354_4 Depth=2
	ds_load_b32 v38, v27
.LBB354_16:                             ;   in Loop: Header=BB354_4 Depth=2
	s_or_b32 exec_lo, exec_lo, s13
	s_waitcnt lgkmcnt(0)
	v_add_nc_u32_e32 v3, v38, v3
	s_cmp_gt_u32 s22, 55
	ds_bpermute_b32 v3, v24, v3
	s_waitcnt lgkmcnt(0)
	v_cndmask_b32_e64 v3, v3, v38, s8
	s_delay_alu instid0(VALU_DEP_1) | instskip(NEXT) | instid1(VALU_DEP_1)
	v_cndmask_b32_e64 v3, v3, 0, s9
	v_add_nc_u32_e32 v4, v3, v4
	s_delay_alu instid0(VALU_DEP_1) | instskip(NEXT) | instid1(VALU_DEP_1)
	v_add_nc_u32_e32 v5, v4, v5
	v_add_nc_u32_e32 v6, v5, v6
	s_delay_alu instid0(VALU_DEP_1) | instskip(NEXT) | instid1(VALU_DEP_1)
	v_add_nc_u32_e32 v38, v6, v7
	;; [unrolled: 3-line block ×3, first 2 shown]
	v_add_nc_u32_e32 v1, v0, v2
	ds_store_2addr_b64 v20, v[3:4], v[5:6] offset0:3 offset1:4
	ds_store_2addr_b64 v23, v[38:39], v[0:1] offset0:2 offset1:3
	s_waitcnt lgkmcnt(0)
	s_barrier
	buffer_gl0_inv
	ds_load_b32 v0, v34
	ds_load_b32 v1, v37
	;; [unrolled: 1-line block ×3, first 2 shown]
	v_lshlrev_b32_e32 v3, 3, v30
	v_lshlrev_b32_e32 v4, 3, v33
	;; [unrolled: 1-line block ×5, first 2 shown]
	s_waitcnt lgkmcnt(0)
	v_lshlrev_b32_e32 v0, 3, v0
	v_lshlrev_b32_e32 v1, 3, v1
	v_lshl_add_u32 v6, v2, 3, v3
	s_delay_alu instid0(VALU_DEP_3) | instskip(NEXT) | instid1(VALU_DEP_3)
	v_add3_u32 v7, v4, v5, v0
	v_add3_u32 v30, v30, v31, v1
	s_cbranch_scc0 .LBB354_3
; %bb.17:                               ;   in Loop: Header=BB354_2 Depth=1
                                        ; implicit-def: $sgpr22
                                        ; implicit-def: $vgpr0_vgpr1
                                        ; implicit-def: $vgpr4_vgpr5
                                        ; implicit-def: $sgpr17
                                        ; implicit-def: $sgpr16
	s_branch .LBB354_1
.LBB354_18:
	v_lshlrev_b32_e32 v0, 3, v8
	s_add_u32 s0, s18, s20
	s_addc_u32 s1, s19, s21
	s_clause 0x2
	global_store_b64 v0, v[1:2], s[0:1]
	global_store_b64 v0, v[3:4], s[0:1] offset:1536
	global_store_b64 v0, v[5:6], s[0:1] offset:3072
	s_nop 0
	s_sendmsg sendmsg(MSG_DEALLOC_VGPRS)
	s_endpgm
	.section	.rodata,"a",@progbits
	.p2align	6, 0x0
	.amdhsa_kernel _Z16sort_keys_kernelI22helper_blocked_stripedN15benchmark_utils11custom_typeIiiEELj192ELj3ELj10EEvPKT0_PS4_
		.amdhsa_group_segment_fixed_size 6176
		.amdhsa_private_segment_fixed_size 0
		.amdhsa_kernarg_size 272
		.amdhsa_user_sgpr_count 15
		.amdhsa_user_sgpr_dispatch_ptr 0
		.amdhsa_user_sgpr_queue_ptr 0
		.amdhsa_user_sgpr_kernarg_segment_ptr 1
		.amdhsa_user_sgpr_dispatch_id 0
		.amdhsa_user_sgpr_private_segment_size 0
		.amdhsa_wavefront_size32 1
		.amdhsa_uses_dynamic_stack 0
		.amdhsa_enable_private_segment 0
		.amdhsa_system_sgpr_workgroup_id_x 1
		.amdhsa_system_sgpr_workgroup_id_y 0
		.amdhsa_system_sgpr_workgroup_id_z 0
		.amdhsa_system_sgpr_workgroup_info 0
		.amdhsa_system_vgpr_workitem_id 2
		.amdhsa_next_free_vgpr 40
		.amdhsa_next_free_sgpr 28
		.amdhsa_reserve_vcc 1
		.amdhsa_float_round_mode_32 0
		.amdhsa_float_round_mode_16_64 0
		.amdhsa_float_denorm_mode_32 3
		.amdhsa_float_denorm_mode_16_64 3
		.amdhsa_dx10_clamp 1
		.amdhsa_ieee_mode 1
		.amdhsa_fp16_overflow 0
		.amdhsa_workgroup_processor_mode 1
		.amdhsa_memory_ordered 1
		.amdhsa_forward_progress 0
		.amdhsa_shared_vgpr_count 0
		.amdhsa_exception_fp_ieee_invalid_op 0
		.amdhsa_exception_fp_denorm_src 0
		.amdhsa_exception_fp_ieee_div_zero 0
		.amdhsa_exception_fp_ieee_overflow 0
		.amdhsa_exception_fp_ieee_underflow 0
		.amdhsa_exception_fp_ieee_inexact 0
		.amdhsa_exception_int_div_zero 0
	.end_amdhsa_kernel
	.section	.text._Z16sort_keys_kernelI22helper_blocked_stripedN15benchmark_utils11custom_typeIiiEELj192ELj3ELj10EEvPKT0_PS4_,"axG",@progbits,_Z16sort_keys_kernelI22helper_blocked_stripedN15benchmark_utils11custom_typeIiiEELj192ELj3ELj10EEvPKT0_PS4_,comdat
.Lfunc_end354:
	.size	_Z16sort_keys_kernelI22helper_blocked_stripedN15benchmark_utils11custom_typeIiiEELj192ELj3ELj10EEvPKT0_PS4_, .Lfunc_end354-_Z16sort_keys_kernelI22helper_blocked_stripedN15benchmark_utils11custom_typeIiiEELj192ELj3ELj10EEvPKT0_PS4_
                                        ; -- End function
	.section	.AMDGPU.csdata,"",@progbits
; Kernel info:
; codeLenInByte = 2716
; NumSgprs: 30
; NumVgprs: 40
; ScratchSize: 0
; MemoryBound: 0
; FloatMode: 240
; IeeeMode: 1
; LDSByteSize: 6176 bytes/workgroup (compile time only)
; SGPRBlocks: 3
; VGPRBlocks: 4
; NumSGPRsForWavesPerEU: 30
; NumVGPRsForWavesPerEU: 40
; Occupancy: 15
; WaveLimiterHint : 1
; COMPUTE_PGM_RSRC2:SCRATCH_EN: 0
; COMPUTE_PGM_RSRC2:USER_SGPR: 15
; COMPUTE_PGM_RSRC2:TRAP_HANDLER: 0
; COMPUTE_PGM_RSRC2:TGID_X_EN: 1
; COMPUTE_PGM_RSRC2:TGID_Y_EN: 0
; COMPUTE_PGM_RSRC2:TGID_Z_EN: 0
; COMPUTE_PGM_RSRC2:TIDIG_COMP_CNT: 2
	.section	.text._Z17sort_pairs_kernelI22helper_blocked_stripedN15benchmark_utils11custom_typeIiiEELj192ELj3ELj10EEvPKT0_PS4_,"axG",@progbits,_Z17sort_pairs_kernelI22helper_blocked_stripedN15benchmark_utils11custom_typeIiiEELj192ELj3ELj10EEvPKT0_PS4_,comdat
	.protected	_Z17sort_pairs_kernelI22helper_blocked_stripedN15benchmark_utils11custom_typeIiiEELj192ELj3ELj10EEvPKT0_PS4_ ; -- Begin function _Z17sort_pairs_kernelI22helper_blocked_stripedN15benchmark_utils11custom_typeIiiEELj192ELj3ELj10EEvPKT0_PS4_
	.globl	_Z17sort_pairs_kernelI22helper_blocked_stripedN15benchmark_utils11custom_typeIiiEELj192ELj3ELj10EEvPKT0_PS4_
	.p2align	8
	.type	_Z17sort_pairs_kernelI22helper_blocked_stripedN15benchmark_utils11custom_typeIiiEELj192ELj3ELj10EEvPKT0_PS4_,@function
_Z17sort_pairs_kernelI22helper_blocked_stripedN15benchmark_utils11custom_typeIiiEELj192ELj3ELj10EEvPKT0_PS4_: ; @_Z17sort_pairs_kernelI22helper_blocked_stripedN15benchmark_utils11custom_typeIiiEELj192ELj3ELj10EEvPKT0_PS4_
; %bb.0:
	s_clause 0x1
	s_load_b128 s[16:19], s[0:1], 0x0
	s_load_b32 s12, s[0:1], 0x1c
	s_mov_b32 s23, 0
	s_mul_i32 s22, s15, 0x240
	v_mbcnt_lo_u32_b32 v7, -1, 0
	s_lshl_b64 s[20:21], s[22:23], 3
	s_mov_b32 s22, s23
	s_delay_alu instid0(SALU_CYCLE_1) | instskip(SKIP_3) | instid1(VALU_DEP_2)
	v_dual_mov_b32 v10, s22 :: v_dual_and_b32 v9, 0x3ff, v0
	s_mov_b32 s14, s23
	s_mov_b32 s15, s23
	v_and_b32_e32 v13, 7, v7
	v_lshrrev_b32_e32 v14, 5, v9
	v_mul_u32_u24_e32 v1, 3, v9
	v_add_nc_u32_e32 v12, -1, v7
	v_and_b32_e32 v8, 16, v7
	v_cmp_eq_u32_e64 s9, 0, v13
	v_cmp_lt_u32_e64 s10, 1, v13
	v_cmp_lt_u32_e64 s11, 3, v13
	v_mul_u32_u24_e32 v13, 0x60, v14
	v_cmp_gt_i32_e32 vcc_lo, 0, v12
	v_lshlrev_b32_e32 v5, 3, v1
	v_lshlrev_b32_e32 v34, 2, v14
	s_waitcnt lgkmcnt(0)
	s_add_u32 s0, s16, s20
	v_lshlrev_b32_e32 v14, 3, v13
	v_or_b32_e32 v13, v7, v13
	s_addc_u32 s1, s17, s21
	v_dual_mov_b32 v11, s23 :: v_dual_and_b32 v6, 15, v7
	s_delay_alu instid0(VALU_DEP_3) | instskip(NEXT) | instid1(VALU_DEP_3)
	v_mad_u32_u24 v38, v7, 24, v14
	v_lshlrev_b32_e32 v39, 3, v13
	v_mov_b32_e32 v13, s14
	v_cmp_eq_u32_e64 s5, 0, v8
	v_cndmask_b32_e32 v8, v12, v7, vcc_lo
	s_clause 0x1
	global_load_b128 v[1:4], v5, s[0:1]
	global_load_b64 v[15:16], v5, s[0:1] offset:16
	v_bfe_u32 v5, v0, 10, 10
	v_bfe_u32 v0, v0, 20, 10
	v_cmp_eq_u32_e64 s1, 0, v6
	v_cmp_lt_u32_e64 s2, 1, v6
	v_cmp_lt_u32_e64 s3, 3, v6
	;; [unrolled: 1-line block ×3, first 2 shown]
	v_and_b32_e32 v6, 0xe0, v9
	s_lshr_b32 s13, s12, 16
	v_lshlrev_b32_e32 v31, 5, v9
	v_mad_u32_u24 v0, v0, s13, v5
	v_lshlrev_b32_e32 v33, 2, v8
	v_min_u32_e32 v17, 0xa0, v6
	v_mul_u32_u24_e32 v8, 3, v6
	s_and_b32 s12, s12, 0xffff
	v_lshlrev_b32_e32 v12, 2, v9
	v_mad_u64_u32 v[5:6], null, v0, s12, v[9:10]
	v_mad_i32_i24 v35, 0xffffffe4, v9, v31
	v_or_b32_e32 v17, 31, v17
	v_or_b32_e32 v0, v7, v8
	v_cmp_eq_u32_e64 s0, 0, v7
	v_cmp_gt_u32_e64 s6, 6, v9
	v_cmp_lt_u32_e64 s7, 31, v9
	v_cmp_eq_u32_e64 s8, 0, v9
	v_or_b32_e32 v32, 24, v31
	v_add_nc_u32_e32 v36, -4, v34
	v_add_nc_u32_e32 v37, v35, v12
	v_cmp_eq_u32_e64 s12, v17, v9
	v_lshlrev_b32_e32 v40, 3, v0
	v_lshrrev_b32_e32 v12, 5, v5
	v_mov_b32_e32 v14, s15
	s_waitcnt vmcnt(1)
	v_add_nc_u32_e32 v6, 1, v2
	v_add_nc_u32_e32 v5, 1, v1
	;; [unrolled: 1-line block ×4, first 2 shown]
	s_waitcnt vmcnt(0)
	v_add_nc_u32_e32 v18, 1, v16
	v_add_nc_u32_e32 v17, 1, v15
	s_branch .LBB355_2
.LBB355_1:                              ;   in Loop: Header=BB355_2 Depth=1
	s_barrier
	buffer_gl0_inv
	ds_store_b64 v8, v[15:16]
	ds_store_b64 v41, v[25:26]
	;; [unrolled: 1-line block ×3, first 2 shown]
	s_waitcnt lgkmcnt(0)
	s_barrier
	buffer_gl0_inv
	ds_load_2addr_stride64_b64 v[1:4], v37 offset1:3
	ds_load_b64 v[15:16], v37 offset:3072
	s_waitcnt lgkmcnt(0)
	s_barrier
	buffer_gl0_inv
	ds_store_b64 v8, v[21:22]
	ds_store_b64 v41, v[19:20]
	;; [unrolled: 1-line block ×3, first 2 shown]
	s_waitcnt lgkmcnt(0)
	s_barrier
	buffer_gl0_inv
	ds_load_2addr_stride64_b64 v[5:8], v37 offset1:3
	ds_load_b64 v[17:18], v37 offset:3072
	s_add_i32 s23, s23, 1
	s_delay_alu instid0(SALU_CYCLE_1)
	s_cmp_lg_u32 s23, 10
	v_xor_b32_e32 v1, 0x80000000, v1
	v_xor_b32_e32 v2, 0x80000000, v2
	;; [unrolled: 1-line block ×6, first 2 shown]
	s_cbranch_scc0 .LBB355_18
.LBB355_2:                              ; =>This Loop Header: Depth=1
                                        ;     Child Loop BB355_4 Depth 2
	v_xor_b32_e32 v2, 0x80000000, v2
	v_xor_b32_e32 v1, 0x80000000, v1
	v_xor_b32_e32 v4, 0x80000000, v4
	v_xor_b32_e32 v3, 0x80000000, v3
	v_xor_b32_e32 v16, 0x80000000, v16
	v_xor_b32_e32 v15, 0x80000000, v15
	ds_store_2addr_b64 v38, v[1:2], v[3:4] offset1:1
	ds_store_b64 v38, v[15:16] offset:16
	; wave barrier
	ds_load_2addr_b64 v[0:3], v39 offset1:32
	ds_load_b64 v[27:28], v39 offset:512
	; wave barrier
	s_waitcnt lgkmcnt(5)
	ds_store_2addr_b64 v38, v[5:6], v[7:8] offset1:1
	s_waitcnt lgkmcnt(5)
	ds_store_b64 v38, v[17:18] offset:16
	; wave barrier
	ds_load_2addr_b64 v[4:7], v39 offset1:32
	ds_load_b64 v[29:30], v39 offset:512
	s_mov_b32 s16, 8
	s_mov_b32 s17, 32
	;; [unrolled: 1-line block ×3, first 2 shown]
	s_waitcnt lgkmcnt(0)
	s_barrier
	s_branch .LBB355_4
.LBB355_3:                              ;   in Loop: Header=BB355_4 Depth=2
	s_barrier
	buffer_gl0_inv
	ds_store_b64 v8, v[15:16]
	ds_store_b64 v41, v[25:26]
	;; [unrolled: 1-line block ×3, first 2 shown]
	s_waitcnt lgkmcnt(0)
	s_barrier
	buffer_gl0_inv
	ds_load_2addr_b64 v[0:3], v40 offset1:32
	ds_load_b64 v[27:28], v40 offset:512
	s_waitcnt lgkmcnt(0)
	s_barrier
	buffer_gl0_inv
	ds_store_b64 v8, v[21:22]
	ds_store_b64 v41, v[19:20]
	;; [unrolled: 1-line block ×3, first 2 shown]
	s_waitcnt lgkmcnt(0)
	s_barrier
	buffer_gl0_inv
	ds_load_2addr_b64 v[4:7], v40 offset1:32
	ds_load_b64 v[29:30], v40 offset:512
	s_add_i32 s17, s17, -8
	s_add_i32 s16, s16, 8
	s_add_i32 s22, s22, 8
	s_waitcnt lgkmcnt(0)
	s_barrier
	s_cbranch_execz .LBB355_1
.LBB355_4:                              ;   Parent Loop BB355_2 Depth=1
                                        ; =>  This Inner Loop Header: Depth=2
	s_min_i32 s14, s16, 32
	s_cmp_lt_u32 s22, 32
	v_dual_mov_b32 v16, v1 :: v_dual_mov_b32 v15, v0
	s_cselect_b32 vcc_lo, -1, 0
	s_cmp_gt_u32 s22, 24
	buffer_gl0_inv
	s_cselect_b32 s13, -1, 0
	s_sub_i32 s14, s14, 32
	v_lshrrev_b32_e32 v1, s22, v16
	s_add_i32 s15, s14, s17
	ds_store_2addr_b64 v31, v[10:11], v[13:14] offset0:3 offset1:4
	ds_store_2addr_b64 v32, v[10:11], v[13:14] offset0:2 offset1:3
	s_lshl_b32 s15, -1, s15
	s_waitcnt lgkmcnt(0)
	s_not_b32 s15, s15
	s_cmp_lg_u32 s14, s22
	s_barrier
	s_cselect_b32 s24, s15, -1
	s_max_i32 s25, s17, 0
	s_max_i32 s14, s22, 32
	v_and_b32_e32 v1, s24, v1
	s_sub_i32 s15, s14, s25
	s_sub_i32 s26, s14, 32
	;; [unrolled: 1-line block ×3, first 2 shown]
	v_lshrrev_b32_e32 v0, s26, v15
	s_min_i32 s14, s15, 32
	buffer_gl0_inv
	s_sub_i32 s14, s14, s26
	s_delay_alu instid0(SALU_CYCLE_1) | instskip(NEXT) | instid1(SALU_CYCLE_1)
	s_lshl_b32 s15, -1, s14
	; wave barrier
	s_not_b32 s15, s15
	s_cmp_lg_u32 s14, 32
	v_cndmask_b32_e32 v1, 0, v1, vcc_lo
	s_cselect_b32 s27, s15, -1
	v_mov_b32_e32 v26, v3
	v_dual_mov_b32 v25, v2 :: v_dual_and_b32 v0, s27, v0
	s_delay_alu instid0(VALU_DEP_1) | instskip(NEXT) | instid1(VALU_DEP_1)
	v_lshlrev_b32_e32 v0, s25, v0
	v_cndmask_b32_e64 v0, 0, v0, s13
	s_delay_alu instid0(VALU_DEP_1) | instskip(NEXT) | instid1(VALU_DEP_1)
	v_or_b32_e32 v8, v1, v0
	v_and_b32_e32 v0, 1, v8
	v_lshlrev_b32_e32 v1, 30, v8
	v_lshlrev_b32_e32 v17, 29, v8
	;; [unrolled: 1-line block ×4, first 2 shown]
	v_add_co_u32 v0, s14, v0, -1
	s_delay_alu instid0(VALU_DEP_1)
	v_cndmask_b32_e64 v19, 0, 1, s14
	v_not_b32_e32 v23, v1
	v_cmp_gt_i32_e64 s15, 0, v1
	v_not_b32_e32 v1, v17
	v_lshlrev_b32_e32 v20, 27, v8
	v_cmp_ne_u32_e64 s14, 0, v19
	v_ashrrev_i32_e32 v23, 31, v23
	v_lshlrev_b32_e32 v22, 25, v8
	v_ashrrev_i32_e32 v1, 31, v1
	v_lshlrev_b32_e32 v19, 24, v8
	v_xor_b32_e32 v0, s14, v0
	v_cmp_gt_i32_e64 s14, 0, v17
	v_not_b32_e32 v17, v18
	v_xor_b32_e32 v23, s15, v23
	v_cmp_gt_i32_e64 s15, 0, v18
	v_and_b32_e32 v0, exec_lo, v0
	v_not_b32_e32 v18, v20
	v_ashrrev_i32_e32 v17, 31, v17
	v_xor_b32_e32 v1, s14, v1
	v_cmp_gt_i32_e64 s14, 0, v20
	v_and_b32_e32 v0, v0, v23
	v_not_b32_e32 v20, v21
	v_ashrrev_i32_e32 v18, 31, v18
	v_xor_b32_e32 v17, s15, v17
	v_cmp_gt_i32_e64 s15, 0, v21
	v_and_b32_e32 v0, v0, v1
	v_not_b32_e32 v1, v22
	v_ashrrev_i32_e32 v20, 31, v20
	v_xor_b32_e32 v18, s14, v18
	v_cmp_gt_i32_e64 s14, 0, v22
	v_and_b32_e32 v0, v0, v17
	v_not_b32_e32 v17, v19
	v_ashrrev_i32_e32 v1, 31, v1
	v_xor_b32_e32 v20, s15, v20
	v_cmp_gt_i32_e64 s15, 0, v19
	v_and_b32_e32 v0, v0, v18
	v_ashrrev_i32_e32 v17, 31, v17
	v_xor_b32_e32 v1, s14, v1
	v_dual_mov_b32 v22, v5 :: v_dual_mov_b32 v21, v4
	s_delay_alu instid0(VALU_DEP_4) | instskip(NEXT) | instid1(VALU_DEP_4)
	v_and_b32_e32 v0, v0, v20
	v_xor_b32_e32 v23, s15, v17
	v_dual_mov_b32 v20, v7 :: v_dual_mov_b32 v17, v29
	s_delay_alu instid0(VALU_DEP_3) | instskip(SKIP_2) | instid1(VALU_DEP_3)
	v_dual_mov_b32 v19, v6 :: v_dual_and_b32 v0, v0, v1
	v_mad_u64_u32 v[1:2], null, v8, 6, v[12:13]
	v_mov_b32_e32 v18, v30
	v_dual_mov_b32 v23, v27 :: v_dual_and_b32 v0, v0, v23
	v_mov_b32_e32 v24, v28
	s_delay_alu instid0(VALU_DEP_4) | instskip(NEXT) | instid1(VALU_DEP_3)
	v_lshl_add_u32 v27, v1, 2, 24
	v_mbcnt_lo_u32_b32 v8, v0, 0
	v_cmp_ne_u32_e64 s15, 0, v0
	s_delay_alu instid0(VALU_DEP_2) | instskip(NEXT) | instid1(VALU_DEP_1)
	v_cmp_eq_u32_e64 s14, 0, v8
	s_and_b32 s15, s14, s15
	s_delay_alu instid0(SALU_CYCLE_1)
	s_and_saveexec_b32 s14, s15
	s_cbranch_execz .LBB355_6
; %bb.5:                                ;   in Loop: Header=BB355_4 Depth=2
	v_bcnt_u32_b32 v0, v0, 0
	ds_store_b32 v27, v0
.LBB355_6:                              ;   in Loop: Header=BB355_4 Depth=2
	s_or_b32 exec_lo, exec_lo, s14
	v_lshrrev_b32_e32 v0, s26, v25
	v_lshrrev_b32_e32 v1, s22, v26
	; wave barrier
	s_delay_alu instid0(VALU_DEP_1) | instskip(NEXT) | instid1(VALU_DEP_1)
	v_and_b32_e32 v1, s24, v1
	v_dual_cndmask_b32 v1, 0, v1 :: v_dual_and_b32 v0, s27, v0
	s_delay_alu instid0(VALU_DEP_1) | instskip(NEXT) | instid1(VALU_DEP_1)
	v_lshlrev_b32_e32 v0, s25, v0
	v_cndmask_b32_e64 v0, 0, v0, s13
	s_delay_alu instid0(VALU_DEP_1) | instskip(NEXT) | instid1(VALU_DEP_1)
	v_or_b32_e32 v0, v1, v0
	v_and_b32_e32 v2, 1, v0
	v_lshlrev_b32_e32 v3, 30, v0
	v_lshlrev_b32_e32 v4, 29, v0
	;; [unrolled: 1-line block ×4, first 2 shown]
	v_add_co_u32 v2, s14, v2, -1
	s_delay_alu instid0(VALU_DEP_1)
	v_cndmask_b32_e64 v6, 0, 1, s14
	v_not_b32_e32 v30, v3
	v_cmp_gt_i32_e64 s15, 0, v3
	v_not_b32_e32 v3, v4
	v_lshlrev_b32_e32 v28, 26, v0
	v_cmp_ne_u32_e64 s14, 0, v6
	v_ashrrev_i32_e32 v6, 31, v30
	v_lshlrev_b32_e32 v29, 25, v0
	v_ashrrev_i32_e32 v3, 31, v3
	v_mul_lo_u32 v1, v0, 6
	v_xor_b32_e32 v2, s14, v2
	v_cmp_gt_i32_e64 s14, 0, v4
	v_not_b32_e32 v4, v5
	v_xor_b32_e32 v6, s15, v6
	v_cmp_gt_i32_e64 s15, 0, v5
	v_and_b32_e32 v2, exec_lo, v2
	v_not_b32_e32 v5, v7
	v_ashrrev_i32_e32 v4, 31, v4
	v_xor_b32_e32 v3, s14, v3
	v_cmp_gt_i32_e64 s14, 0, v7
	v_and_b32_e32 v2, v2, v6
	v_not_b32_e32 v6, v28
	v_ashrrev_i32_e32 v5, 31, v5
	v_xor_b32_e32 v4, s15, v4
	v_lshlrev_b32_e32 v0, 24, v0
	v_and_b32_e32 v2, v2, v3
	v_cmp_gt_i32_e64 s15, 0, v28
	v_not_b32_e32 v3, v29
	v_ashrrev_i32_e32 v6, 31, v6
	v_xor_b32_e32 v5, s14, v5
	v_and_b32_e32 v2, v2, v4
	v_cmp_gt_i32_e64 s14, 0, v29
	v_not_b32_e32 v4, v0
	v_ashrrev_i32_e32 v3, 31, v3
	v_xor_b32_e32 v6, s15, v6
	v_and_b32_e32 v2, v2, v5
	v_cmp_gt_i32_e64 s15, 0, v0
	v_ashrrev_i32_e32 v0, 31, v4
	v_xor_b32_e32 v3, s14, v3
	v_add_lshl_u32 v1, v1, v12, 2
	v_and_b32_e32 v2, v2, v6
	s_delay_alu instid0(VALU_DEP_4) | instskip(SKIP_3) | instid1(VALU_DEP_2)
	v_xor_b32_e32 v0, s15, v0
	ds_load_b32 v28, v1 offset:24
	v_and_b32_e32 v2, v2, v3
	v_add_nc_u32_e32 v30, 24, v1
	; wave barrier
	v_and_b32_e32 v0, v2, v0
	s_delay_alu instid0(VALU_DEP_1) | instskip(SKIP_1) | instid1(VALU_DEP_2)
	v_mbcnt_lo_u32_b32 v29, v0, 0
	v_cmp_ne_u32_e64 s15, 0, v0
	v_cmp_eq_u32_e64 s14, 0, v29
	s_delay_alu instid0(VALU_DEP_1) | instskip(NEXT) | instid1(SALU_CYCLE_1)
	s_and_b32 s15, s14, s15
	s_and_saveexec_b32 s14, s15
	s_cbranch_execz .LBB355_8
; %bb.7:                                ;   in Loop: Header=BB355_4 Depth=2
	s_waitcnt lgkmcnt(0)
	v_bcnt_u32_b32 v0, v0, v28
	ds_store_b32 v30, v0
.LBB355_8:                              ;   in Loop: Header=BB355_4 Depth=2
	s_or_b32 exec_lo, exec_lo, s14
	v_lshrrev_b32_e32 v0, s26, v23
	v_lshrrev_b32_e32 v1, s22, v24
	; wave barrier
	s_delay_alu instid0(VALU_DEP_1) | instskip(NEXT) | instid1(VALU_DEP_1)
	v_and_b32_e32 v1, s24, v1
	v_dual_cndmask_b32 v1, 0, v1 :: v_dual_and_b32 v0, s27, v0
	s_delay_alu instid0(VALU_DEP_1) | instskip(NEXT) | instid1(VALU_DEP_1)
	v_lshlrev_b32_e32 v0, s25, v0
	v_cndmask_b32_e64 v0, 0, v0, s13
	s_delay_alu instid0(VALU_DEP_1) | instskip(NEXT) | instid1(VALU_DEP_1)
	v_or_b32_e32 v0, v1, v0
	v_and_b32_e32 v2, 1, v0
	v_lshlrev_b32_e32 v3, 30, v0
	v_lshlrev_b32_e32 v4, 29, v0
	;; [unrolled: 1-line block ×4, first 2 shown]
	v_add_co_u32 v2, s13, v2, -1
	s_delay_alu instid0(VALU_DEP_1)
	v_cndmask_b32_e64 v6, 0, 1, s13
	v_not_b32_e32 v43, v3
	v_cmp_gt_i32_e64 s13, 0, v3
	v_not_b32_e32 v3, v4
	v_lshlrev_b32_e32 v41, 26, v0
	v_cmp_ne_u32_e32 vcc_lo, 0, v6
	v_ashrrev_i32_e32 v6, 31, v43
	v_lshlrev_b32_e32 v42, 25, v0
	v_ashrrev_i32_e32 v3, 31, v3
	v_mul_lo_u32 v1, v0, 6
	v_xor_b32_e32 v2, vcc_lo, v2
	v_cmp_gt_i32_e32 vcc_lo, 0, v4
	v_not_b32_e32 v4, v5
	v_xor_b32_e32 v6, s13, v6
	v_cmp_gt_i32_e64 s13, 0, v5
	v_and_b32_e32 v2, exec_lo, v2
	v_not_b32_e32 v5, v7
	v_ashrrev_i32_e32 v4, 31, v4
	v_xor_b32_e32 v3, vcc_lo, v3
	v_cmp_gt_i32_e32 vcc_lo, 0, v7
	v_and_b32_e32 v2, v2, v6
	v_not_b32_e32 v6, v41
	v_ashrrev_i32_e32 v5, 31, v5
	v_xor_b32_e32 v4, s13, v4
	v_lshlrev_b32_e32 v0, 24, v0
	v_and_b32_e32 v2, v2, v3
	v_cmp_gt_i32_e64 s13, 0, v41
	v_not_b32_e32 v3, v42
	v_ashrrev_i32_e32 v6, 31, v6
	v_xor_b32_e32 v5, vcc_lo, v5
	v_and_b32_e32 v2, v2, v4
	v_cmp_gt_i32_e32 vcc_lo, 0, v42
	v_not_b32_e32 v4, v0
	v_ashrrev_i32_e32 v3, 31, v3
	v_xor_b32_e32 v6, s13, v6
	v_and_b32_e32 v2, v2, v5
	v_cmp_gt_i32_e64 s13, 0, v0
	v_ashrrev_i32_e32 v0, 31, v4
	v_xor_b32_e32 v3, vcc_lo, v3
	v_add_lshl_u32 v1, v1, v12, 2
	v_and_b32_e32 v2, v2, v6
	s_delay_alu instid0(VALU_DEP_4) | instskip(SKIP_3) | instid1(VALU_DEP_2)
	v_xor_b32_e32 v0, s13, v0
	ds_load_b32 v41, v1 offset:24
	v_and_b32_e32 v2, v2, v3
	v_add_nc_u32_e32 v43, 24, v1
	; wave barrier
	v_and_b32_e32 v0, v2, v0
	s_delay_alu instid0(VALU_DEP_1) | instskip(SKIP_1) | instid1(VALU_DEP_2)
	v_mbcnt_lo_u32_b32 v42, v0, 0
	v_cmp_ne_u32_e64 s13, 0, v0
	v_cmp_eq_u32_e32 vcc_lo, 0, v42
	s_delay_alu instid0(VALU_DEP_2) | instskip(NEXT) | instid1(SALU_CYCLE_1)
	s_and_b32 s14, vcc_lo, s13
	s_and_saveexec_b32 s13, s14
	s_cbranch_execz .LBB355_10
; %bb.9:                                ;   in Loop: Header=BB355_4 Depth=2
	s_waitcnt lgkmcnt(0)
	v_bcnt_u32_b32 v0, v0, v41
	ds_store_b32 v43, v0
.LBB355_10:                             ;   in Loop: Header=BB355_4 Depth=2
	s_or_b32 exec_lo, exec_lo, s13
	; wave barrier
	s_waitcnt lgkmcnt(0)
	s_barrier
	buffer_gl0_inv
	ds_load_2addr_b64 v[4:7], v31 offset0:3 offset1:4
	ds_load_2addr_b64 v[0:3], v32 offset0:2 offset1:3
	s_waitcnt lgkmcnt(1)
	v_add_nc_u32_e32 v44, v5, v4
	s_delay_alu instid0(VALU_DEP_1) | instskip(SKIP_1) | instid1(VALU_DEP_1)
	v_add3_u32 v44, v44, v6, v7
	s_waitcnt lgkmcnt(0)
	v_add3_u32 v44, v44, v0, v1
	s_delay_alu instid0(VALU_DEP_1) | instskip(NEXT) | instid1(VALU_DEP_1)
	v_add3_u32 v3, v44, v2, v3
	v_mov_b32_dpp v44, v3 row_shr:1 row_mask:0xf bank_mask:0xf
	s_delay_alu instid0(VALU_DEP_1) | instskip(NEXT) | instid1(VALU_DEP_1)
	v_cndmask_b32_e64 v44, v44, 0, s1
	v_add_nc_u32_e32 v3, v44, v3
	s_delay_alu instid0(VALU_DEP_1) | instskip(NEXT) | instid1(VALU_DEP_1)
	v_mov_b32_dpp v44, v3 row_shr:2 row_mask:0xf bank_mask:0xf
	v_cndmask_b32_e64 v44, 0, v44, s2
	s_delay_alu instid0(VALU_DEP_1) | instskip(NEXT) | instid1(VALU_DEP_1)
	v_add_nc_u32_e32 v3, v3, v44
	v_mov_b32_dpp v44, v3 row_shr:4 row_mask:0xf bank_mask:0xf
	s_delay_alu instid0(VALU_DEP_1) | instskip(NEXT) | instid1(VALU_DEP_1)
	v_cndmask_b32_e64 v44, 0, v44, s3
	v_add_nc_u32_e32 v3, v3, v44
	s_delay_alu instid0(VALU_DEP_1) | instskip(NEXT) | instid1(VALU_DEP_1)
	v_mov_b32_dpp v44, v3 row_shr:8 row_mask:0xf bank_mask:0xf
	v_cndmask_b32_e64 v44, 0, v44, s4
	s_delay_alu instid0(VALU_DEP_1) | instskip(SKIP_3) | instid1(VALU_DEP_1)
	v_add_nc_u32_e32 v3, v3, v44
	ds_swizzle_b32 v44, v3 offset:swizzle(BROADCAST,32,15)
	s_waitcnt lgkmcnt(0)
	v_cndmask_b32_e64 v44, v44, 0, s5
	v_add_nc_u32_e32 v3, v3, v44
	s_and_saveexec_b32 s13, s12
	s_cbranch_execz .LBB355_12
; %bb.11:                               ;   in Loop: Header=BB355_4 Depth=2
	ds_store_b32 v34, v3
.LBB355_12:                             ;   in Loop: Header=BB355_4 Depth=2
	s_or_b32 exec_lo, exec_lo, s13
	s_waitcnt lgkmcnt(0)
	s_barrier
	buffer_gl0_inv
	s_and_saveexec_b32 s13, s6
	s_cbranch_execz .LBB355_14
; %bb.13:                               ;   in Loop: Header=BB355_4 Depth=2
	ds_load_b32 v44, v35
	s_waitcnt lgkmcnt(0)
	v_mov_b32_dpp v45, v44 row_shr:1 row_mask:0xf bank_mask:0xf
	s_delay_alu instid0(VALU_DEP_1) | instskip(NEXT) | instid1(VALU_DEP_1)
	v_cndmask_b32_e64 v45, v45, 0, s9
	v_add_nc_u32_e32 v44, v45, v44
	s_delay_alu instid0(VALU_DEP_1) | instskip(NEXT) | instid1(VALU_DEP_1)
	v_mov_b32_dpp v45, v44 row_shr:2 row_mask:0xf bank_mask:0xf
	v_cndmask_b32_e64 v45, 0, v45, s10
	s_delay_alu instid0(VALU_DEP_1) | instskip(NEXT) | instid1(VALU_DEP_1)
	v_add_nc_u32_e32 v44, v44, v45
	v_mov_b32_dpp v45, v44 row_shr:4 row_mask:0xf bank_mask:0xf
	s_delay_alu instid0(VALU_DEP_1) | instskip(NEXT) | instid1(VALU_DEP_1)
	v_cndmask_b32_e64 v45, 0, v45, s11
	v_add_nc_u32_e32 v44, v44, v45
	ds_store_b32 v35, v44
.LBB355_14:                             ;   in Loop: Header=BB355_4 Depth=2
	s_or_b32 exec_lo, exec_lo, s13
	v_mov_b32_e32 v44, 0
	s_waitcnt lgkmcnt(0)
	s_barrier
	buffer_gl0_inv
	s_and_saveexec_b32 s13, s7
	s_cbranch_execz .LBB355_16
; %bb.15:                               ;   in Loop: Header=BB355_4 Depth=2
	ds_load_b32 v44, v36
.LBB355_16:                             ;   in Loop: Header=BB355_4 Depth=2
	s_or_b32 exec_lo, exec_lo, s13
	s_waitcnt lgkmcnt(0)
	v_add_nc_u32_e32 v3, v44, v3
	s_cmp_gt_u32 s22, 55
	ds_bpermute_b32 v3, v33, v3
	s_waitcnt lgkmcnt(0)
	v_cndmask_b32_e64 v3, v3, v44, s0
	s_delay_alu instid0(VALU_DEP_1) | instskip(NEXT) | instid1(VALU_DEP_1)
	v_cndmask_b32_e64 v3, v3, 0, s8
	v_add_nc_u32_e32 v4, v3, v4
	s_delay_alu instid0(VALU_DEP_1) | instskip(NEXT) | instid1(VALU_DEP_1)
	v_add_nc_u32_e32 v5, v4, v5
	v_add_nc_u32_e32 v6, v5, v6
	s_delay_alu instid0(VALU_DEP_1) | instskip(SKIP_1) | instid1(VALU_DEP_2)
	v_add_nc_u32_e32 v44, v6, v7
	v_lshlrev_b32_e32 v7, 3, v41
	v_add_nc_u32_e32 v45, v44, v0
	s_delay_alu instid0(VALU_DEP_1) | instskip(NEXT) | instid1(VALU_DEP_1)
	v_add_nc_u32_e32 v0, v45, v1
	v_add_nc_u32_e32 v1, v0, v2
	ds_store_2addr_b64 v31, v[3:4], v[5:6] offset0:3 offset1:4
	ds_store_2addr_b64 v32, v[44:45], v[0:1] offset0:2 offset1:3
	s_waitcnt lgkmcnt(0)
	s_barrier
	buffer_gl0_inv
	ds_load_b32 v0, v30
	ds_load_b32 v1, v43
	ds_load_b32 v2, v27
	v_lshlrev_b32_e32 v3, 3, v8
	v_lshlrev_b32_e32 v4, 3, v29
	;; [unrolled: 1-line block ×4, first 2 shown]
	s_waitcnt lgkmcnt(0)
	v_lshlrev_b32_e32 v0, 3, v0
	v_lshlrev_b32_e32 v1, 3, v1
	v_lshl_add_u32 v8, v2, 3, v3
	s_delay_alu instid0(VALU_DEP_3) | instskip(NEXT) | instid1(VALU_DEP_3)
	v_add3_u32 v41, v4, v5, v0
	v_add3_u32 v42, v6, v7, v1
	s_cbranch_scc0 .LBB355_3
; %bb.17:                               ;   in Loop: Header=BB355_2 Depth=1
                                        ; implicit-def: $sgpr22
                                        ; implicit-def: $vgpr4_vgpr5
                                        ; implicit-def: $vgpr29_vgpr30
                                        ; implicit-def: $vgpr0_vgpr1
                                        ; implicit-def: $vgpr27_vgpr28
                                        ; implicit-def: $sgpr17
                                        ; implicit-def: $sgpr16
	s_branch .LBB355_1
.LBB355_18:
	s_waitcnt lgkmcnt(1)
	v_add_nc_u32_e32 v0, v1, v5
	v_add_nc_u32_e32 v1, v2, v6
	v_lshlrev_b32_e32 v6, 3, v9
	v_add_nc_u32_e32 v2, v3, v7
	v_add_nc_u32_e32 v3, v4, v8
	s_waitcnt lgkmcnt(0)
	v_add_nc_u32_e32 v4, v15, v17
	v_add_nc_u32_e32 v5, v16, v18
	s_add_u32 s0, s18, s20
	s_addc_u32 s1, s19, s21
	s_clause 0x2
	global_store_b64 v6, v[0:1], s[0:1]
	global_store_b64 v6, v[2:3], s[0:1] offset:1536
	global_store_b64 v6, v[4:5], s[0:1] offset:3072
	s_nop 0
	s_sendmsg sendmsg(MSG_DEALLOC_VGPRS)
	s_endpgm
	.section	.rodata,"a",@progbits
	.p2align	6, 0x0
	.amdhsa_kernel _Z17sort_pairs_kernelI22helper_blocked_stripedN15benchmark_utils11custom_typeIiiEELj192ELj3ELj10EEvPKT0_PS4_
		.amdhsa_group_segment_fixed_size 6176
		.amdhsa_private_segment_fixed_size 0
		.amdhsa_kernarg_size 272
		.amdhsa_user_sgpr_count 15
		.amdhsa_user_sgpr_dispatch_ptr 0
		.amdhsa_user_sgpr_queue_ptr 0
		.amdhsa_user_sgpr_kernarg_segment_ptr 1
		.amdhsa_user_sgpr_dispatch_id 0
		.amdhsa_user_sgpr_private_segment_size 0
		.amdhsa_wavefront_size32 1
		.amdhsa_uses_dynamic_stack 0
		.amdhsa_enable_private_segment 0
		.amdhsa_system_sgpr_workgroup_id_x 1
		.amdhsa_system_sgpr_workgroup_id_y 0
		.amdhsa_system_sgpr_workgroup_id_z 0
		.amdhsa_system_sgpr_workgroup_info 0
		.amdhsa_system_vgpr_workitem_id 2
		.amdhsa_next_free_vgpr 46
		.amdhsa_next_free_sgpr 28
		.amdhsa_reserve_vcc 1
		.amdhsa_float_round_mode_32 0
		.amdhsa_float_round_mode_16_64 0
		.amdhsa_float_denorm_mode_32 3
		.amdhsa_float_denorm_mode_16_64 3
		.amdhsa_dx10_clamp 1
		.amdhsa_ieee_mode 1
		.amdhsa_fp16_overflow 0
		.amdhsa_workgroup_processor_mode 1
		.amdhsa_memory_ordered 1
		.amdhsa_forward_progress 0
		.amdhsa_shared_vgpr_count 0
		.amdhsa_exception_fp_ieee_invalid_op 0
		.amdhsa_exception_fp_denorm_src 0
		.amdhsa_exception_fp_ieee_div_zero 0
		.amdhsa_exception_fp_ieee_overflow 0
		.amdhsa_exception_fp_ieee_underflow 0
		.amdhsa_exception_fp_ieee_inexact 0
		.amdhsa_exception_int_div_zero 0
	.end_amdhsa_kernel
	.section	.text._Z17sort_pairs_kernelI22helper_blocked_stripedN15benchmark_utils11custom_typeIiiEELj192ELj3ELj10EEvPKT0_PS4_,"axG",@progbits,_Z17sort_pairs_kernelI22helper_blocked_stripedN15benchmark_utils11custom_typeIiiEELj192ELj3ELj10EEvPKT0_PS4_,comdat
.Lfunc_end355:
	.size	_Z17sort_pairs_kernelI22helper_blocked_stripedN15benchmark_utils11custom_typeIiiEELj192ELj3ELj10EEvPKT0_PS4_, .Lfunc_end355-_Z17sort_pairs_kernelI22helper_blocked_stripedN15benchmark_utils11custom_typeIiiEELj192ELj3ELj10EEvPKT0_PS4_
                                        ; -- End function
	.section	.AMDGPU.csdata,"",@progbits
; Kernel info:
; codeLenInByte = 2936
; NumSgprs: 30
; NumVgprs: 46
; ScratchSize: 0
; MemoryBound: 0
; FloatMode: 240
; IeeeMode: 1
; LDSByteSize: 6176 bytes/workgroup (compile time only)
; SGPRBlocks: 3
; VGPRBlocks: 5
; NumSGPRsForWavesPerEU: 30
; NumVGPRsForWavesPerEU: 46
; Occupancy: 15
; WaveLimiterHint : 1
; COMPUTE_PGM_RSRC2:SCRATCH_EN: 0
; COMPUTE_PGM_RSRC2:USER_SGPR: 15
; COMPUTE_PGM_RSRC2:TRAP_HANDLER: 0
; COMPUTE_PGM_RSRC2:TGID_X_EN: 1
; COMPUTE_PGM_RSRC2:TGID_Y_EN: 0
; COMPUTE_PGM_RSRC2:TGID_Z_EN: 0
; COMPUTE_PGM_RSRC2:TIDIG_COMP_CNT: 2
	.section	.text._Z16sort_keys_kernelI22helper_blocked_stripedN15benchmark_utils11custom_typeIiiEELj192ELj4ELj10EEvPKT0_PS4_,"axG",@progbits,_Z16sort_keys_kernelI22helper_blocked_stripedN15benchmark_utils11custom_typeIiiEELj192ELj4ELj10EEvPKT0_PS4_,comdat
	.protected	_Z16sort_keys_kernelI22helper_blocked_stripedN15benchmark_utils11custom_typeIiiEELj192ELj4ELj10EEvPKT0_PS4_ ; -- Begin function _Z16sort_keys_kernelI22helper_blocked_stripedN15benchmark_utils11custom_typeIiiEELj192ELj4ELj10EEvPKT0_PS4_
	.globl	_Z16sort_keys_kernelI22helper_blocked_stripedN15benchmark_utils11custom_typeIiiEELj192ELj4ELj10EEvPKT0_PS4_
	.p2align	8
	.type	_Z16sort_keys_kernelI22helper_blocked_stripedN15benchmark_utils11custom_typeIiiEELj192ELj4ELj10EEvPKT0_PS4_,@function
_Z16sort_keys_kernelI22helper_blocked_stripedN15benchmark_utils11custom_typeIiiEELj192ELj4ELj10EEvPKT0_PS4_: ; @_Z16sort_keys_kernelI22helper_blocked_stripedN15benchmark_utils11custom_typeIiiEELj192ELj4ELj10EEvPKT0_PS4_
; %bb.0:
	s_clause 0x1
	s_load_b128 s[20:23], s[0:1], 0x0
	s_load_b32 s3, s[0:1], 0x1c
	v_mbcnt_lo_u32_b32 v12, -1, 0
	s_mov_b32 s27, 0
	s_mul_i32 s26, s15, 0x300
	v_bfe_u32 v10, v0, 10, 10
	s_lshl_b64 s[24:25], s[26:27], 3
	v_add_nc_u32_e32 v14, -1, v12
	s_mov_b32 s26, s27
	v_and_b32_e32 v9, 0x3ff, v0
	v_bfe_u32 v0, v0, 20, 10
	s_mov_b32 s18, s27
	v_cmp_gt_i32_e32 vcc_lo, 0, v14
	s_mov_b32 s19, s27
	v_lshlrev_b32_e32 v23, 5, v9
	v_and_b32_e32 v13, 3, v12
	v_lshlrev_b32_e32 v24, 2, v9
	v_and_b32_e32 v25, 28, v12
	v_cmp_eq_u32_e64 s12, 0, v12
	s_delay_alu instid0(VALU_DEP_4)
	v_cmp_eq_u32_e64 s2, 2, v13
	s_waitcnt lgkmcnt(0)
	s_add_u32 s0, s20, s24
	s_addc_u32 s1, s21, s25
	s_clause 0x2
	global_load_b128 v[1:4], v23, s[0:1] offset:16
	global_load_b128 v[5:8], v23, s[0:1]
	global_load_b64 v[5:6], v23, s[0:1]
	s_lshr_b32 s1, s3, 16
	s_and_b32 s3, s3, 0xffff
	v_mad_u32_u24 v0, v0, s1, v10
	v_cmp_eq_u32_e64 s0, 0, v13
	v_cmp_eq_u32_e64 s1, 1, v13
	v_or_b32_e32 v26, 32, v25
	v_or_b32_e32 v27, 64, v25
	v_mad_u64_u32 v[10:11], null, v0, s3, v[9:10]
	v_and_b32_e32 v11, 0xe0, v9
	v_and_b32_e32 v0, 15, v12
	v_cmp_eq_u32_e64 s3, 3, v13
	v_and_b32_e32 v13, 16, v12
	v_or_b32_e32 v28, 0x60, v25
	v_min_u32_e32 v11, 0xa0, v11
	v_cmp_eq_u32_e64 s4, 0, v0
	v_cmp_lt_u32_e64 s5, 1, v0
	v_cmp_lt_u32_e64 s6, 3, v0
	;; [unrolled: 1-line block ×3, first 2 shown]
	v_or_b32_e32 v11, 31, v11
	v_cndmask_b32_e32 v0, v14, v12, vcc_lo
	v_cmp_eq_u32_e64 s8, 0, v13
	v_mov_b32_e32 v13, s18
	v_or_b32_e32 v29, 24, v23
	v_cmp_eq_u32_e64 s9, v11, v9
	v_lshrrev_b32_e32 v11, 3, v9
	v_lshlrev_b32_e32 v30, 2, v0
	v_and_b32_e32 v0, 7, v12
	v_lshrrev_b32_e32 v10, 5, v10
	s_delay_alu instid0(VALU_DEP_4) | instskip(SKIP_1) | instid1(VALU_DEP_4)
	v_dual_mov_b32 v14, s19 :: v_dual_and_b32 v31, 28, v11
	v_and_or_b32 v11, 0x380, v24, v12
	v_cmp_eq_u32_e64 s14, 0, v0
	v_cmp_lt_u32_e64 s15, 1, v0
	v_cmp_lt_u32_e64 s16, 3, v0
	v_add_nc_u32_e32 v33, -4, v31
	v_dual_mov_b32 v11, s26 :: v_dual_lshlrev_b32 v34, 3, v11
	v_mov_b32_e32 v12, s27
	v_cmp_gt_u32_e64 s10, 6, v9
	v_cmp_lt_u32_e64 s11, 31, v9
	v_cmp_eq_u32_e64 s13, 0, v9
	v_mad_i32_i24 v32, 0xffffffe4, v9, v23
	s_branch .LBB356_2
.LBB356_1:                              ;   in Loop: Header=BB356_2 Depth=1
	v_add_nc_u32_e32 v4, v32, v24
	s_barrier
	buffer_gl0_inv
	ds_store_b64 v35, v[15:16]
	ds_store_b64 v36, v[19:20]
	;; [unrolled: 1-line block ×4, first 2 shown]
	s_waitcnt lgkmcnt(0)
	s_barrier
	buffer_gl0_inv
	ds_load_2addr_stride64_b64 v[0:3], v4 offset1:3
	ds_load_2addr_stride64_b64 v[15:18], v4 offset0:6 offset1:9
	s_add_i32 s27, s27, 1
	s_delay_alu instid0(SALU_CYCLE_1)
	s_cmp_eq_u32 s27, 10
	s_waitcnt lgkmcnt(1)
	v_xor_b32_e32 v5, 0x80000000, v0
	v_xor_b32_e32 v6, 0x80000000, v1
	;; [unrolled: 1-line block ×4, first 2 shown]
	s_waitcnt lgkmcnt(0)
	v_xor_b32_e32 v1, 0x80000000, v15
	v_xor_b32_e32 v2, 0x80000000, v16
	;; [unrolled: 1-line block ×4, first 2 shown]
	s_cbranch_scc1 .LBB356_20
.LBB356_2:                              ; =>This Loop Header: Depth=1
                                        ;     Child Loop BB356_4 Depth 2
	s_waitcnt vmcnt(0)
	v_xor_b32_e32 v0, 0x80000000, v6
	v_xor_b32_e32 v5, 0x80000000, v5
	;; [unrolled: 1-line block ×5, first 2 shown]
	ds_bpermute_b32 v8, v25, v0
	ds_bpermute_b32 v15, v25, v5
	;; [unrolled: 1-line block ×4, first 2 shown]
	v_xor_b32_e32 v2, 0x80000000, v2
	v_xor_b32_e32 v3, 0x80000000, v3
	ds_bpermute_b32 v18, v26, v0
	ds_bpermute_b32 v21, v25, v16
	v_xor_b32_e32 v4, 0x80000000, v4
	ds_bpermute_b32 v19, v26, v5
	ds_bpermute_b32 v20, v25, v2
	;; [unrolled: 1-line block ×11, first 2 shown]
	s_waitcnt lgkmcnt(16)
	v_cndmask_b32_e64 v8, 0, v8, s0
	s_waitcnt lgkmcnt(15)
	v_cndmask_b32_e64 v15, 0, v15, s0
	ds_bpermute_b32 v43, v27, v7
	ds_bpermute_b32 v7, v28, v7
	;; [unrolled: 1-line block ×3, first 2 shown]
	s_waitcnt lgkmcnt(16)
	v_cndmask_b32_e64 v1, v8, v1, s1
	v_cndmask_b32_e64 v8, v15, v17, s1
	ds_bpermute_b32 v15, v28, v0
	s_waitcnt lgkmcnt(16)
	v_cndmask_b32_e64 v0, 0, v18, s0
	ds_bpermute_b32 v38, v26, v16
	s_waitcnt lgkmcnt(15)
	v_cndmask_b32_e64 v17, 0, v19, s0
	v_cndmask_b32_e64 v8, v8, v21, s2
	s_waitcnt lgkmcnt(14)
	v_cndmask_b32_e64 v1, v1, v20, s2
	s_waitcnt lgkmcnt(12)
	v_cndmask_b32_e64 v18, v0, v35, s1
	ds_bpermute_b32 v19, v27, v2
	ds_bpermute_b32 v20, v27, v16
	v_cndmask_b32_e64 v0, v8, v22, s3
	ds_bpermute_b32 v8, v26, v4
	ds_bpermute_b32 v2, v28, v2
	;; [unrolled: 1-line block ×3, first 2 shown]
	s_waitcnt lgkmcnt(16)
	v_cndmask_b32_e64 v17, v17, v36, s1
	s_waitcnt lgkmcnt(15)
	v_cndmask_b32_e64 v1, v1, v37, s3
	ds_bpermute_b32 v21, v26, v3
	ds_bpermute_b32 v22, v27, v4
	;; [unrolled: 1-line block ×5, first 2 shown]
	s_waitcnt lgkmcnt(19)
	v_cndmask_b32_e64 v3, v18, v39, s2
	s_waitcnt lgkmcnt(17)
	v_cndmask_b32_e64 v4, 0, v41, s0
	v_cndmask_b32_e64 v18, 0, v40, s0
	s_waitcnt lgkmcnt(11)
	v_cndmask_b32_e64 v15, 0, v15, s0
	;; [unrolled: 3-line block ×3, first 2 shown]
	v_cndmask_b32_e64 v4, v4, v43, s1
	v_cndmask_b32_e64 v18, v18, v42, s1
	v_cndmask_b32_e64 v7, v15, v7, s1
	v_cndmask_b32_e64 v5, v5, v6, s1
	s_waitcnt lgkmcnt(7)
	v_cndmask_b32_e64 v3, v3, v8, s3
	v_cndmask_b32_e64 v4, v4, v19, s2
	;; [unrolled: 1-line block ×3, first 2 shown]
	s_waitcnt lgkmcnt(6)
	v_cndmask_b32_e64 v7, v7, v2, s2
	s_waitcnt lgkmcnt(5)
	v_cndmask_b32_e64 v8, v5, v16, s2
	s_waitcnt lgkmcnt(4)
	v_cndmask_b32_e64 v2, v17, v21, s3
	s_waitcnt lgkmcnt(3)
	v_cndmask_b32_e64 v5, v4, v22, s3
	s_waitcnt lgkmcnt(2)
	v_cndmask_b32_e64 v4, v6, v35, s3
	s_waitcnt lgkmcnt(1)
	v_cndmask_b32_e64 v7, v7, v36, s3
	s_waitcnt lgkmcnt(0)
	v_cndmask_b32_e64 v6, v8, v37, s3
	s_mov_b32 s20, 8
	s_mov_b32 s21, 32
	;; [unrolled: 1-line block ×3, first 2 shown]
	s_barrier
	s_branch .LBB356_4
.LBB356_3:                              ;   in Loop: Header=BB356_4 Depth=2
	s_barrier
	buffer_gl0_inv
	ds_store_b64 v35, v[15:16]
	ds_store_b64 v36, v[19:20]
	;; [unrolled: 1-line block ×4, first 2 shown]
	s_waitcnt lgkmcnt(0)
	s_barrier
	buffer_gl0_inv
	ds_load_2addr_b64 v[0:3], v34 offset1:32
	ds_load_2addr_b64 v[4:7], v34 offset0:64 offset1:96
	s_add_i32 s21, s21, -8
	s_add_i32 s20, s20, 8
	s_add_i32 s26, s26, 8
	s_waitcnt lgkmcnt(0)
	s_barrier
	s_cbranch_execz .LBB356_1
.LBB356_4:                              ;   Parent Loop BB356_2 Depth=1
                                        ; =>  This Inner Loop Header: Depth=2
	s_min_i32 s18, s20, 32
	s_cmp_lt_u32 s26, 32
	v_dual_mov_b32 v16, v1 :: v_dual_mov_b32 v15, v0
	s_cselect_b32 vcc_lo, -1, 0
	s_cmp_gt_u32 s26, 24
	buffer_gl0_inv
	s_cselect_b32 s17, -1, 0
	s_sub_i32 s18, s18, 32
	v_lshrrev_b32_e32 v1, s26, v16
	s_add_i32 s19, s18, s21
	ds_store_2addr_b64 v23, v[11:12], v[13:14] offset0:3 offset1:4
	ds_store_2addr_b64 v29, v[11:12], v[13:14] offset0:2 offset1:3
	s_lshl_b32 s19, -1, s19
	s_waitcnt lgkmcnt(0)
	s_not_b32 s19, s19
	s_cmp_lg_u32 s18, s26
	s_barrier
	s_cselect_b32 s28, s19, -1
	s_max_i32 s29, s21, 0
	s_max_i32 s18, s26, 32
	v_and_b32_e32 v1, s28, v1
	s_sub_i32 s19, s18, s29
	s_sub_i32 s30, s18, 32
	;; [unrolled: 1-line block ×3, first 2 shown]
	v_lshrrev_b32_e32 v0, s30, v15
	s_min_i32 s18, s19, 32
	buffer_gl0_inv
	s_sub_i32 s18, s18, s30
	s_delay_alu instid0(SALU_CYCLE_1) | instskip(NEXT) | instid1(SALU_CYCLE_1)
	s_lshl_b32 s19, -1, s18
	; wave barrier
	s_not_b32 s19, s19
	s_cmp_lg_u32 s18, 32
	v_cndmask_b32_e32 v1, 0, v1, vcc_lo
	s_cselect_b32 s31, s19, -1
	s_delay_alu instid0(SALU_CYCLE_1) | instskip(NEXT) | instid1(VALU_DEP_1)
	v_and_b32_e32 v0, s31, v0
	v_lshlrev_b32_e32 v0, s29, v0
	s_delay_alu instid0(VALU_DEP_1) | instskip(NEXT) | instid1(VALU_DEP_1)
	v_cndmask_b32_e64 v0, 0, v0, s17
	v_or_b32_e32 v8, v1, v0
	s_delay_alu instid0(VALU_DEP_1)
	v_and_b32_e32 v0, 1, v8
	v_lshlrev_b32_e32 v1, 30, v8
	v_lshlrev_b32_e32 v17, 29, v8
	;; [unrolled: 1-line block ×4, first 2 shown]
	v_add_co_u32 v0, s18, v0, -1
	s_delay_alu instid0(VALU_DEP_1)
	v_cndmask_b32_e64 v19, 0, 1, s18
	v_not_b32_e32 v35, v1
	v_cmp_gt_i32_e64 s19, 0, v1
	v_not_b32_e32 v1, v17
	v_lshlrev_b32_e32 v21, 26, v8
	v_cmp_ne_u32_e64 s18, 0, v19
	v_ashrrev_i32_e32 v35, 31, v35
	v_lshlrev_b32_e32 v22, 25, v8
	v_ashrrev_i32_e32 v1, 31, v1
	v_lshlrev_b32_e32 v19, 24, v8
	v_xor_b32_e32 v0, s18, v0
	v_cmp_gt_i32_e64 s18, 0, v17
	v_not_b32_e32 v17, v18
	v_xor_b32_e32 v35, s19, v35
	v_cmp_gt_i32_e64 s19, 0, v18
	v_and_b32_e32 v0, exec_lo, v0
	v_not_b32_e32 v18, v20
	v_ashrrev_i32_e32 v17, 31, v17
	v_xor_b32_e32 v1, s18, v1
	v_cmp_gt_i32_e64 s18, 0, v20
	v_and_b32_e32 v0, v0, v35
	v_not_b32_e32 v20, v21
	v_ashrrev_i32_e32 v18, 31, v18
	v_xor_b32_e32 v17, s19, v17
	v_cmp_gt_i32_e64 s19, 0, v21
	v_and_b32_e32 v0, v0, v1
	;; [unrolled: 5-line block ×4, first 2 shown]
	v_ashrrev_i32_e32 v17, 31, v17
	v_xor_b32_e32 v1, s18, v1
	v_dual_mov_b32 v22, v5 :: v_dual_mov_b32 v21, v4
	s_delay_alu instid0(VALU_DEP_4) | instskip(NEXT) | instid1(VALU_DEP_4)
	v_and_b32_e32 v0, v0, v20
	v_xor_b32_e32 v17, s19, v17
	v_dual_mov_b32 v20, v3 :: v_dual_mov_b32 v19, v2
	s_delay_alu instid0(VALU_DEP_3) | instskip(SKIP_1) | instid1(VALU_DEP_2)
	v_and_b32_e32 v0, v0, v1
	v_mad_u64_u32 v[1:2], null, v8, 6, v[10:11]
	v_and_b32_e32 v0, v0, v17
	v_dual_mov_b32 v18, v7 :: v_dual_mov_b32 v17, v6
	s_delay_alu instid0(VALU_DEP_3) | instskip(NEXT) | instid1(VALU_DEP_3)
	v_lshl_add_u32 v35, v1, 2, 24
	v_mbcnt_lo_u32_b32 v8, v0, 0
	v_cmp_ne_u32_e64 s19, 0, v0
	s_delay_alu instid0(VALU_DEP_2) | instskip(NEXT) | instid1(VALU_DEP_1)
	v_cmp_eq_u32_e64 s18, 0, v8
	s_and_b32 s19, s18, s19
	s_delay_alu instid0(SALU_CYCLE_1)
	s_and_saveexec_b32 s18, s19
	s_cbranch_execz .LBB356_6
; %bb.5:                                ;   in Loop: Header=BB356_4 Depth=2
	v_bcnt_u32_b32 v0, v0, 0
	ds_store_b32 v35, v0
.LBB356_6:                              ;   in Loop: Header=BB356_4 Depth=2
	s_or_b32 exec_lo, exec_lo, s18
	v_lshrrev_b32_e32 v0, s30, v19
	v_lshrrev_b32_e32 v1, s26, v20
	; wave barrier
	s_delay_alu instid0(VALU_DEP_1) | instskip(NEXT) | instid1(VALU_DEP_1)
	v_and_b32_e32 v1, s28, v1
	v_dual_cndmask_b32 v1, 0, v1 :: v_dual_and_b32 v0, s31, v0
	s_delay_alu instid0(VALU_DEP_1) | instskip(NEXT) | instid1(VALU_DEP_1)
	v_lshlrev_b32_e32 v0, s29, v0
	v_cndmask_b32_e64 v0, 0, v0, s17
	s_delay_alu instid0(VALU_DEP_1) | instskip(NEXT) | instid1(VALU_DEP_1)
	v_or_b32_e32 v0, v1, v0
	v_and_b32_e32 v2, 1, v0
	v_lshlrev_b32_e32 v3, 30, v0
	v_lshlrev_b32_e32 v4, 29, v0
	;; [unrolled: 1-line block ×4, first 2 shown]
	v_add_co_u32 v2, s18, v2, -1
	s_delay_alu instid0(VALU_DEP_1)
	v_cndmask_b32_e64 v6, 0, 1, s18
	v_not_b32_e32 v38, v3
	v_cmp_gt_i32_e64 s19, 0, v3
	v_not_b32_e32 v3, v4
	v_lshlrev_b32_e32 v36, 26, v0
	v_cmp_ne_u32_e64 s18, 0, v6
	v_ashrrev_i32_e32 v6, 31, v38
	v_lshlrev_b32_e32 v37, 25, v0
	v_ashrrev_i32_e32 v3, 31, v3
	v_mul_lo_u32 v1, v0, 6
	v_xor_b32_e32 v2, s18, v2
	v_cmp_gt_i32_e64 s18, 0, v4
	v_not_b32_e32 v4, v5
	v_xor_b32_e32 v6, s19, v6
	v_cmp_gt_i32_e64 s19, 0, v5
	v_and_b32_e32 v2, exec_lo, v2
	v_not_b32_e32 v5, v7
	v_ashrrev_i32_e32 v4, 31, v4
	v_xor_b32_e32 v3, s18, v3
	v_cmp_gt_i32_e64 s18, 0, v7
	v_and_b32_e32 v2, v2, v6
	v_not_b32_e32 v6, v36
	v_ashrrev_i32_e32 v5, 31, v5
	v_xor_b32_e32 v4, s19, v4
	v_lshlrev_b32_e32 v0, 24, v0
	v_and_b32_e32 v2, v2, v3
	v_cmp_gt_i32_e64 s19, 0, v36
	v_not_b32_e32 v3, v37
	v_ashrrev_i32_e32 v6, 31, v6
	v_xor_b32_e32 v5, s18, v5
	v_and_b32_e32 v2, v2, v4
	v_cmp_gt_i32_e64 s18, 0, v37
	v_not_b32_e32 v4, v0
	v_ashrrev_i32_e32 v3, 31, v3
	v_xor_b32_e32 v6, s19, v6
	v_and_b32_e32 v2, v2, v5
	v_cmp_gt_i32_e64 s19, 0, v0
	v_ashrrev_i32_e32 v0, 31, v4
	v_xor_b32_e32 v3, s18, v3
	v_add_lshl_u32 v1, v1, v10, 2
	v_and_b32_e32 v2, v2, v6
	s_delay_alu instid0(VALU_DEP_4) | instskip(SKIP_3) | instid1(VALU_DEP_2)
	v_xor_b32_e32 v0, s19, v0
	ds_load_b32 v36, v1 offset:24
	v_and_b32_e32 v2, v2, v3
	v_add_nc_u32_e32 v38, 24, v1
	; wave barrier
	v_and_b32_e32 v0, v2, v0
	s_delay_alu instid0(VALU_DEP_1) | instskip(SKIP_1) | instid1(VALU_DEP_2)
	v_mbcnt_lo_u32_b32 v37, v0, 0
	v_cmp_ne_u32_e64 s19, 0, v0
	v_cmp_eq_u32_e64 s18, 0, v37
	s_delay_alu instid0(VALU_DEP_1) | instskip(NEXT) | instid1(SALU_CYCLE_1)
	s_and_b32 s19, s18, s19
	s_and_saveexec_b32 s18, s19
	s_cbranch_execz .LBB356_8
; %bb.7:                                ;   in Loop: Header=BB356_4 Depth=2
	s_waitcnt lgkmcnt(0)
	v_bcnt_u32_b32 v0, v0, v36
	ds_store_b32 v38, v0
.LBB356_8:                              ;   in Loop: Header=BB356_4 Depth=2
	s_or_b32 exec_lo, exec_lo, s18
	v_lshrrev_b32_e32 v0, s30, v21
	v_lshrrev_b32_e32 v1, s26, v22
	; wave barrier
	s_delay_alu instid0(VALU_DEP_1) | instskip(NEXT) | instid1(VALU_DEP_1)
	v_and_b32_e32 v1, s28, v1
	v_dual_cndmask_b32 v1, 0, v1 :: v_dual_and_b32 v0, s31, v0
	s_delay_alu instid0(VALU_DEP_1) | instskip(NEXT) | instid1(VALU_DEP_1)
	v_lshlrev_b32_e32 v0, s29, v0
	v_cndmask_b32_e64 v0, 0, v0, s17
	s_delay_alu instid0(VALU_DEP_1) | instskip(NEXT) | instid1(VALU_DEP_1)
	v_or_b32_e32 v0, v1, v0
	v_and_b32_e32 v2, 1, v0
	v_lshlrev_b32_e32 v3, 30, v0
	v_lshlrev_b32_e32 v4, 29, v0
	;; [unrolled: 1-line block ×4, first 2 shown]
	v_add_co_u32 v2, s18, v2, -1
	s_delay_alu instid0(VALU_DEP_1)
	v_cndmask_b32_e64 v6, 0, 1, s18
	v_not_b32_e32 v41, v3
	v_cmp_gt_i32_e64 s19, 0, v3
	v_not_b32_e32 v3, v4
	v_lshlrev_b32_e32 v39, 26, v0
	v_cmp_ne_u32_e64 s18, 0, v6
	v_ashrrev_i32_e32 v6, 31, v41
	v_lshlrev_b32_e32 v40, 25, v0
	v_ashrrev_i32_e32 v3, 31, v3
	v_mul_lo_u32 v1, v0, 6
	v_xor_b32_e32 v2, s18, v2
	v_cmp_gt_i32_e64 s18, 0, v4
	v_not_b32_e32 v4, v5
	v_xor_b32_e32 v6, s19, v6
	v_cmp_gt_i32_e64 s19, 0, v5
	v_and_b32_e32 v2, exec_lo, v2
	v_not_b32_e32 v5, v7
	v_ashrrev_i32_e32 v4, 31, v4
	v_xor_b32_e32 v3, s18, v3
	v_cmp_gt_i32_e64 s18, 0, v7
	v_and_b32_e32 v2, v2, v6
	v_not_b32_e32 v6, v39
	v_ashrrev_i32_e32 v5, 31, v5
	v_xor_b32_e32 v4, s19, v4
	v_lshlrev_b32_e32 v0, 24, v0
	v_and_b32_e32 v2, v2, v3
	v_cmp_gt_i32_e64 s19, 0, v39
	v_not_b32_e32 v3, v40
	v_ashrrev_i32_e32 v6, 31, v6
	v_xor_b32_e32 v5, s18, v5
	v_and_b32_e32 v2, v2, v4
	v_cmp_gt_i32_e64 s18, 0, v40
	v_not_b32_e32 v4, v0
	v_ashrrev_i32_e32 v3, 31, v3
	v_xor_b32_e32 v6, s19, v6
	v_and_b32_e32 v2, v2, v5
	v_cmp_gt_i32_e64 s19, 0, v0
	v_ashrrev_i32_e32 v0, 31, v4
	v_xor_b32_e32 v3, s18, v3
	v_add_lshl_u32 v1, v1, v10, 2
	v_and_b32_e32 v2, v2, v6
	s_delay_alu instid0(VALU_DEP_4) | instskip(SKIP_3) | instid1(VALU_DEP_2)
	v_xor_b32_e32 v0, s19, v0
	ds_load_b32 v39, v1 offset:24
	v_and_b32_e32 v2, v2, v3
	v_add_nc_u32_e32 v41, 24, v1
	; wave barrier
	v_and_b32_e32 v0, v2, v0
	s_delay_alu instid0(VALU_DEP_1) | instskip(SKIP_1) | instid1(VALU_DEP_2)
	v_mbcnt_lo_u32_b32 v40, v0, 0
	v_cmp_ne_u32_e64 s19, 0, v0
	v_cmp_eq_u32_e64 s18, 0, v40
	s_delay_alu instid0(VALU_DEP_1) | instskip(NEXT) | instid1(SALU_CYCLE_1)
	s_and_b32 s19, s18, s19
	s_and_saveexec_b32 s18, s19
	s_cbranch_execz .LBB356_10
; %bb.9:                                ;   in Loop: Header=BB356_4 Depth=2
	s_waitcnt lgkmcnt(0)
	v_bcnt_u32_b32 v0, v0, v39
	ds_store_b32 v41, v0
.LBB356_10:                             ;   in Loop: Header=BB356_4 Depth=2
	s_or_b32 exec_lo, exec_lo, s18
	v_lshrrev_b32_e32 v0, s30, v17
	v_lshrrev_b32_e32 v1, s26, v18
	; wave barrier
	s_delay_alu instid0(VALU_DEP_1) | instskip(NEXT) | instid1(VALU_DEP_1)
	v_and_b32_e32 v1, s28, v1
	v_dual_cndmask_b32 v1, 0, v1 :: v_dual_and_b32 v0, s31, v0
	s_delay_alu instid0(VALU_DEP_1) | instskip(NEXT) | instid1(VALU_DEP_1)
	v_lshlrev_b32_e32 v0, s29, v0
	v_cndmask_b32_e64 v0, 0, v0, s17
	s_delay_alu instid0(VALU_DEP_1) | instskip(NEXT) | instid1(VALU_DEP_1)
	v_or_b32_e32 v0, v1, v0
	v_and_b32_e32 v2, 1, v0
	v_lshlrev_b32_e32 v3, 30, v0
	v_lshlrev_b32_e32 v4, 29, v0
	;; [unrolled: 1-line block ×4, first 2 shown]
	v_add_co_u32 v2, s17, v2, -1
	s_delay_alu instid0(VALU_DEP_1)
	v_cndmask_b32_e64 v6, 0, 1, s17
	v_not_b32_e32 v44, v3
	v_cmp_gt_i32_e64 s17, 0, v3
	v_not_b32_e32 v3, v4
	v_lshlrev_b32_e32 v42, 26, v0
	v_cmp_ne_u32_e32 vcc_lo, 0, v6
	v_ashrrev_i32_e32 v6, 31, v44
	v_lshlrev_b32_e32 v43, 25, v0
	v_ashrrev_i32_e32 v3, 31, v3
	v_mul_lo_u32 v1, v0, 6
	v_xor_b32_e32 v2, vcc_lo, v2
	v_cmp_gt_i32_e32 vcc_lo, 0, v4
	v_not_b32_e32 v4, v5
	v_xor_b32_e32 v6, s17, v6
	v_cmp_gt_i32_e64 s17, 0, v5
	v_and_b32_e32 v2, exec_lo, v2
	v_not_b32_e32 v5, v7
	v_ashrrev_i32_e32 v4, 31, v4
	v_xor_b32_e32 v3, vcc_lo, v3
	v_cmp_gt_i32_e32 vcc_lo, 0, v7
	v_and_b32_e32 v2, v2, v6
	v_not_b32_e32 v6, v42
	v_ashrrev_i32_e32 v5, 31, v5
	v_xor_b32_e32 v4, s17, v4
	v_lshlrev_b32_e32 v0, 24, v0
	v_and_b32_e32 v2, v2, v3
	v_cmp_gt_i32_e64 s17, 0, v42
	v_not_b32_e32 v3, v43
	v_ashrrev_i32_e32 v6, 31, v6
	v_xor_b32_e32 v5, vcc_lo, v5
	v_and_b32_e32 v2, v2, v4
	v_cmp_gt_i32_e32 vcc_lo, 0, v43
	v_not_b32_e32 v4, v0
	v_ashrrev_i32_e32 v3, 31, v3
	v_xor_b32_e32 v6, s17, v6
	v_and_b32_e32 v2, v2, v5
	v_cmp_gt_i32_e64 s17, 0, v0
	v_ashrrev_i32_e32 v0, 31, v4
	v_xor_b32_e32 v3, vcc_lo, v3
	v_add_lshl_u32 v1, v1, v10, 2
	v_and_b32_e32 v2, v2, v6
	s_delay_alu instid0(VALU_DEP_4) | instskip(SKIP_3) | instid1(VALU_DEP_2)
	v_xor_b32_e32 v0, s17, v0
	ds_load_b32 v42, v1 offset:24
	v_and_b32_e32 v2, v2, v3
	v_add_nc_u32_e32 v44, 24, v1
	; wave barrier
	v_and_b32_e32 v0, v2, v0
	s_delay_alu instid0(VALU_DEP_1) | instskip(SKIP_1) | instid1(VALU_DEP_2)
	v_mbcnt_lo_u32_b32 v43, v0, 0
	v_cmp_ne_u32_e64 s17, 0, v0
	v_cmp_eq_u32_e32 vcc_lo, 0, v43
	s_delay_alu instid0(VALU_DEP_2) | instskip(NEXT) | instid1(SALU_CYCLE_1)
	s_and_b32 s18, vcc_lo, s17
	s_and_saveexec_b32 s17, s18
	s_cbranch_execz .LBB356_12
; %bb.11:                               ;   in Loop: Header=BB356_4 Depth=2
	s_waitcnt lgkmcnt(0)
	v_bcnt_u32_b32 v0, v0, v42
	ds_store_b32 v44, v0
.LBB356_12:                             ;   in Loop: Header=BB356_4 Depth=2
	s_or_b32 exec_lo, exec_lo, s17
	; wave barrier
	s_waitcnt lgkmcnt(0)
	s_barrier
	buffer_gl0_inv
	ds_load_2addr_b64 v[4:7], v23 offset0:3 offset1:4
	ds_load_2addr_b64 v[0:3], v29 offset0:2 offset1:3
	s_waitcnt lgkmcnt(1)
	v_add_nc_u32_e32 v45, v5, v4
	s_delay_alu instid0(VALU_DEP_1) | instskip(SKIP_1) | instid1(VALU_DEP_1)
	v_add3_u32 v45, v45, v6, v7
	s_waitcnt lgkmcnt(0)
	v_add3_u32 v45, v45, v0, v1
	s_delay_alu instid0(VALU_DEP_1) | instskip(NEXT) | instid1(VALU_DEP_1)
	v_add3_u32 v3, v45, v2, v3
	v_mov_b32_dpp v45, v3 row_shr:1 row_mask:0xf bank_mask:0xf
	s_delay_alu instid0(VALU_DEP_1) | instskip(NEXT) | instid1(VALU_DEP_1)
	v_cndmask_b32_e64 v45, v45, 0, s4
	v_add_nc_u32_e32 v3, v45, v3
	s_delay_alu instid0(VALU_DEP_1) | instskip(NEXT) | instid1(VALU_DEP_1)
	v_mov_b32_dpp v45, v3 row_shr:2 row_mask:0xf bank_mask:0xf
	v_cndmask_b32_e64 v45, 0, v45, s5
	s_delay_alu instid0(VALU_DEP_1) | instskip(NEXT) | instid1(VALU_DEP_1)
	v_add_nc_u32_e32 v3, v3, v45
	v_mov_b32_dpp v45, v3 row_shr:4 row_mask:0xf bank_mask:0xf
	s_delay_alu instid0(VALU_DEP_1) | instskip(NEXT) | instid1(VALU_DEP_1)
	v_cndmask_b32_e64 v45, 0, v45, s6
	v_add_nc_u32_e32 v3, v3, v45
	s_delay_alu instid0(VALU_DEP_1) | instskip(NEXT) | instid1(VALU_DEP_1)
	v_mov_b32_dpp v45, v3 row_shr:8 row_mask:0xf bank_mask:0xf
	v_cndmask_b32_e64 v45, 0, v45, s7
	s_delay_alu instid0(VALU_DEP_1) | instskip(SKIP_3) | instid1(VALU_DEP_1)
	v_add_nc_u32_e32 v3, v3, v45
	ds_swizzle_b32 v45, v3 offset:swizzle(BROADCAST,32,15)
	s_waitcnt lgkmcnt(0)
	v_cndmask_b32_e64 v45, v45, 0, s8
	v_add_nc_u32_e32 v3, v3, v45
	s_and_saveexec_b32 s17, s9
	s_cbranch_execz .LBB356_14
; %bb.13:                               ;   in Loop: Header=BB356_4 Depth=2
	ds_store_b32 v31, v3
.LBB356_14:                             ;   in Loop: Header=BB356_4 Depth=2
	s_or_b32 exec_lo, exec_lo, s17
	s_waitcnt lgkmcnt(0)
	s_barrier
	buffer_gl0_inv
	s_and_saveexec_b32 s17, s10
	s_cbranch_execz .LBB356_16
; %bb.15:                               ;   in Loop: Header=BB356_4 Depth=2
	ds_load_b32 v45, v32
	s_waitcnt lgkmcnt(0)
	v_mov_b32_dpp v46, v45 row_shr:1 row_mask:0xf bank_mask:0xf
	s_delay_alu instid0(VALU_DEP_1) | instskip(NEXT) | instid1(VALU_DEP_1)
	v_cndmask_b32_e64 v46, v46, 0, s14
	v_add_nc_u32_e32 v45, v46, v45
	s_delay_alu instid0(VALU_DEP_1) | instskip(NEXT) | instid1(VALU_DEP_1)
	v_mov_b32_dpp v46, v45 row_shr:2 row_mask:0xf bank_mask:0xf
	v_cndmask_b32_e64 v46, 0, v46, s15
	s_delay_alu instid0(VALU_DEP_1) | instskip(NEXT) | instid1(VALU_DEP_1)
	v_add_nc_u32_e32 v45, v45, v46
	v_mov_b32_dpp v46, v45 row_shr:4 row_mask:0xf bank_mask:0xf
	s_delay_alu instid0(VALU_DEP_1) | instskip(NEXT) | instid1(VALU_DEP_1)
	v_cndmask_b32_e64 v46, 0, v46, s16
	v_add_nc_u32_e32 v45, v45, v46
	ds_store_b32 v32, v45
.LBB356_16:                             ;   in Loop: Header=BB356_4 Depth=2
	s_or_b32 exec_lo, exec_lo, s17
	v_mov_b32_e32 v45, 0
	s_waitcnt lgkmcnt(0)
	s_barrier
	buffer_gl0_inv
	s_and_saveexec_b32 s17, s11
	s_cbranch_execz .LBB356_18
; %bb.17:                               ;   in Loop: Header=BB356_4 Depth=2
	ds_load_b32 v45, v33
.LBB356_18:                             ;   in Loop: Header=BB356_4 Depth=2
	s_or_b32 exec_lo, exec_lo, s17
	s_waitcnt lgkmcnt(0)
	v_add_nc_u32_e32 v3, v45, v3
	s_cmp_gt_u32 s26, 55
	ds_bpermute_b32 v3, v30, v3
	s_waitcnt lgkmcnt(0)
	v_cndmask_b32_e64 v3, v3, v45, s12
	s_delay_alu instid0(VALU_DEP_1) | instskip(NEXT) | instid1(VALU_DEP_1)
	v_cndmask_b32_e64 v3, v3, 0, s13
	v_add_nc_u32_e32 v4, v3, v4
	s_delay_alu instid0(VALU_DEP_1) | instskip(NEXT) | instid1(VALU_DEP_1)
	v_add_nc_u32_e32 v5, v4, v5
	v_add_nc_u32_e32 v6, v5, v6
	s_delay_alu instid0(VALU_DEP_1) | instskip(SKIP_1) | instid1(VALU_DEP_2)
	v_add_nc_u32_e32 v45, v6, v7
	v_lshlrev_b32_e32 v7, 3, v40
	v_add_nc_u32_e32 v46, v45, v0
	s_delay_alu instid0(VALU_DEP_1) | instskip(NEXT) | instid1(VALU_DEP_1)
	v_add_nc_u32_e32 v0, v46, v1
	v_add_nc_u32_e32 v1, v0, v2
	ds_store_2addr_b64 v23, v[3:4], v[5:6] offset0:3 offset1:4
	ds_store_2addr_b64 v29, v[45:46], v[0:1] offset0:2 offset1:3
	s_waitcnt lgkmcnt(0)
	s_barrier
	buffer_gl0_inv
	ds_load_b32 v0, v38
	ds_load_b32 v1, v41
	;; [unrolled: 1-line block ×4, first 2 shown]
	v_lshlrev_b32_e32 v4, 3, v8
	v_lshlrev_b32_e32 v5, 3, v37
	;; [unrolled: 1-line block ×6, first 2 shown]
	s_waitcnt lgkmcnt(0)
	v_lshlrev_b32_e32 v0, 3, v0
	v_lshlrev_b32_e32 v1, 3, v1
	;; [unrolled: 1-line block ×3, first 2 shown]
	v_lshl_add_u32 v35, v3, 3, v4
	s_delay_alu instid0(VALU_DEP_4) | instskip(NEXT) | instid1(VALU_DEP_4)
	v_add3_u32 v36, v5, v6, v0
	v_add3_u32 v37, v7, v8, v1
	s_delay_alu instid0(VALU_DEP_4)
	v_add3_u32 v8, v38, v39, v2
	s_cbranch_scc0 .LBB356_3
; %bb.19:                               ;   in Loop: Header=BB356_2 Depth=1
                                        ; implicit-def: $sgpr26
                                        ; implicit-def: $vgpr0_vgpr1
                                        ; implicit-def: $vgpr4_vgpr5
                                        ; implicit-def: $sgpr21
                                        ; implicit-def: $sgpr20
	s_branch .LBB356_1
.LBB356_20:
	v_lshlrev_b32_e32 v0, 3, v9
	s_add_u32 s0, s22, s24
	s_addc_u32 s1, s23, s25
	s_delay_alu instid0(VALU_DEP_1) | instskip(NEXT) | instid1(VALU_DEP_1)
	v_add_co_u32 v9, s2, s0, v0
	v_add_co_ci_u32_e64 v10, null, s1, 0, s2
	s_delay_alu instid0(VALU_DEP_2) | instskip(NEXT) | instid1(VALU_DEP_2)
	v_add_co_u32 v9, vcc_lo, 0x1000, v9
	v_add_co_ci_u32_e32 v10, vcc_lo, 0, v10, vcc_lo
	s_clause 0x3
	global_store_b64 v0, v[5:6], s[0:1]
	global_store_b64 v0, v[7:8], s[0:1] offset:1536
	global_store_b64 v0, v[1:2], s[0:1] offset:3072
	global_store_b64 v[9:10], v[3:4], off offset:512
	s_nop 0
	s_sendmsg sendmsg(MSG_DEALLOC_VGPRS)
	s_endpgm
	.section	.rodata,"a",@progbits
	.p2align	6, 0x0
	.amdhsa_kernel _Z16sort_keys_kernelI22helper_blocked_stripedN15benchmark_utils11custom_typeIiiEELj192ELj4ELj10EEvPKT0_PS4_
		.amdhsa_group_segment_fixed_size 6176
		.amdhsa_private_segment_fixed_size 0
		.amdhsa_kernarg_size 272
		.amdhsa_user_sgpr_count 15
		.amdhsa_user_sgpr_dispatch_ptr 0
		.amdhsa_user_sgpr_queue_ptr 0
		.amdhsa_user_sgpr_kernarg_segment_ptr 1
		.amdhsa_user_sgpr_dispatch_id 0
		.amdhsa_user_sgpr_private_segment_size 0
		.amdhsa_wavefront_size32 1
		.amdhsa_uses_dynamic_stack 0
		.amdhsa_enable_private_segment 0
		.amdhsa_system_sgpr_workgroup_id_x 1
		.amdhsa_system_sgpr_workgroup_id_y 0
		.amdhsa_system_sgpr_workgroup_id_z 0
		.amdhsa_system_sgpr_workgroup_info 0
		.amdhsa_system_vgpr_workitem_id 2
		.amdhsa_next_free_vgpr 47
		.amdhsa_next_free_sgpr 32
		.amdhsa_reserve_vcc 1
		.amdhsa_float_round_mode_32 0
		.amdhsa_float_round_mode_16_64 0
		.amdhsa_float_denorm_mode_32 3
		.amdhsa_float_denorm_mode_16_64 3
		.amdhsa_dx10_clamp 1
		.amdhsa_ieee_mode 1
		.amdhsa_fp16_overflow 0
		.amdhsa_workgroup_processor_mode 1
		.amdhsa_memory_ordered 1
		.amdhsa_forward_progress 0
		.amdhsa_shared_vgpr_count 0
		.amdhsa_exception_fp_ieee_invalid_op 0
		.amdhsa_exception_fp_denorm_src 0
		.amdhsa_exception_fp_ieee_div_zero 0
		.amdhsa_exception_fp_ieee_overflow 0
		.amdhsa_exception_fp_ieee_underflow 0
		.amdhsa_exception_fp_ieee_inexact 0
		.amdhsa_exception_int_div_zero 0
	.end_amdhsa_kernel
	.section	.text._Z16sort_keys_kernelI22helper_blocked_stripedN15benchmark_utils11custom_typeIiiEELj192ELj4ELj10EEvPKT0_PS4_,"axG",@progbits,_Z16sort_keys_kernelI22helper_blocked_stripedN15benchmark_utils11custom_typeIiiEELj192ELj4ELj10EEvPKT0_PS4_,comdat
.Lfunc_end356:
	.size	_Z16sort_keys_kernelI22helper_blocked_stripedN15benchmark_utils11custom_typeIiiEELj192ELj4ELj10EEvPKT0_PS4_, .Lfunc_end356-_Z16sort_keys_kernelI22helper_blocked_stripedN15benchmark_utils11custom_typeIiiEELj192ELj4ELj10EEvPKT0_PS4_
                                        ; -- End function
	.section	.AMDGPU.csdata,"",@progbits
; Kernel info:
; codeLenInByte = 3792
; NumSgprs: 34
; NumVgprs: 47
; ScratchSize: 0
; MemoryBound: 0
; FloatMode: 240
; IeeeMode: 1
; LDSByteSize: 6176 bytes/workgroup (compile time only)
; SGPRBlocks: 4
; VGPRBlocks: 5
; NumSGPRsForWavesPerEU: 34
; NumVGPRsForWavesPerEU: 47
; Occupancy: 15
; WaveLimiterHint : 1
; COMPUTE_PGM_RSRC2:SCRATCH_EN: 0
; COMPUTE_PGM_RSRC2:USER_SGPR: 15
; COMPUTE_PGM_RSRC2:TRAP_HANDLER: 0
; COMPUTE_PGM_RSRC2:TGID_X_EN: 1
; COMPUTE_PGM_RSRC2:TGID_Y_EN: 0
; COMPUTE_PGM_RSRC2:TGID_Z_EN: 0
; COMPUTE_PGM_RSRC2:TIDIG_COMP_CNT: 2
	.section	.text._Z17sort_pairs_kernelI22helper_blocked_stripedN15benchmark_utils11custom_typeIiiEELj192ELj4ELj10EEvPKT0_PS4_,"axG",@progbits,_Z17sort_pairs_kernelI22helper_blocked_stripedN15benchmark_utils11custom_typeIiiEELj192ELj4ELj10EEvPKT0_PS4_,comdat
	.protected	_Z17sort_pairs_kernelI22helper_blocked_stripedN15benchmark_utils11custom_typeIiiEELj192ELj4ELj10EEvPKT0_PS4_ ; -- Begin function _Z17sort_pairs_kernelI22helper_blocked_stripedN15benchmark_utils11custom_typeIiiEELj192ELj4ELj10EEvPKT0_PS4_
	.globl	_Z17sort_pairs_kernelI22helper_blocked_stripedN15benchmark_utils11custom_typeIiiEELj192ELj4ELj10EEvPKT0_PS4_
	.p2align	8
	.type	_Z17sort_pairs_kernelI22helper_blocked_stripedN15benchmark_utils11custom_typeIiiEELj192ELj4ELj10EEvPKT0_PS4_,@function
_Z17sort_pairs_kernelI22helper_blocked_stripedN15benchmark_utils11custom_typeIiiEELj192ELj4ELj10EEvPKT0_PS4_: ; @_Z17sort_pairs_kernelI22helper_blocked_stripedN15benchmark_utils11custom_typeIiiEELj192ELj4ELj10EEvPKT0_PS4_
; %bb.0:
	s_clause 0x1
	s_load_b128 s[20:23], s[0:1], 0x0
	s_load_b32 s16, s[0:1], 0x1c
	v_and_b32_e32 v22, 0x3ff, v0
	s_mov_b32 s27, 0
	s_mul_i32 s26, s15, 0x300
	v_mbcnt_lo_u32_b32 v7, -1, 0
	s_lshl_b64 s[24:25], s[26:27], 3
	v_lshlrev_b32_e32 v34, 5, v22
	v_bfe_u32 v6, v0, 10, 10
	v_bfe_u32 v0, v0, 20, 10
	v_and_b32_e32 v5, 3, v7
	v_add_nc_u32_e32 v10, -1, v7
	v_and_b32_e32 v8, 15, v7
	v_and_b32_e32 v9, 16, v7
	v_lshlrev_b32_e32 v36, 2, v22
	v_cmp_eq_u32_e64 s2, 1, v5
	v_cmp_eq_u32_e64 s3, 2, v5
	;; [unrolled: 1-line block ×3, first 2 shown]
	v_cmp_gt_i32_e32 vcc_lo, 0, v10
	v_cmp_eq_u32_e64 s5, 0, v8
	s_waitcnt lgkmcnt(0)
	s_add_u32 s0, s20, s24
	s_addc_u32 s1, s21, s25
	s_lshr_b32 s17, s16, 16
	s_clause 0x1
	global_load_b128 v[18:21], v34, s[0:1]
	global_load_b128 v[1:4], v34, s[0:1] offset:16
	v_cmp_eq_u32_e64 s1, 0, v5
	v_and_b32_e32 v5, 0xe0, v22
	v_mad_u32_u24 v0, v0, s17, v6
	v_cmp_lt_u32_e64 s6, 1, v8
	v_cmp_lt_u32_e64 s7, 3, v8
	;; [unrolled: 1-line block ×3, first 2 shown]
	v_cndmask_b32_e32 v8, v10, v7, vcc_lo
	v_cmp_eq_u32_e64 s9, 0, v9
	v_lshrrev_b32_e32 v9, 3, v22
	v_min_u32_e32 v10, 0xa0, v5
	s_and_b32 s16, s16, 0xffff
	v_and_b32_e32 v35, 28, v7
	v_mad_u64_u32 v[5:6], null, v0, s16, v[22:23]
	v_and_b32_e32 v11, 7, v7
	v_and_b32_e32 v41, 28, v9
	v_and_or_b32 v0, 0x380, v36, v7
	v_or_b32_e32 v6, 31, v10
	v_cmp_eq_u32_e64 s0, 0, v7
	v_or_b32_e32 v37, 32, v35
	v_or_b32_e32 v38, 64, v35
	v_or_b32_e32 v39, 0x60, v35
	v_cmp_gt_u32_e64 s10, 6, v22
	v_cmp_lt_u32_e64 s11, 31, v22
	v_cmp_eq_u32_e64 s12, 0, v22
	v_cmp_eq_u32_e64 s13, 0, v11
	v_cmp_lt_u32_e64 s14, 1, v11
	v_cmp_lt_u32_e64 s15, 3, v11
	v_or_b32_e32 v40, 24, v34
	v_lshlrev_b32_e32 v42, 2, v8
	v_mad_i32_i24 v43, 0xffffffe4, v22, v34
	v_add_nc_u32_e32 v44, -4, v41
	v_lshlrev_b32_e32 v45, 3, v0
	v_cmp_eq_u32_e64 s16, v6, v22
	v_lshrrev_b32_e32 v23, 5, v5
	s_mov_b32 s26, s27
	s_mov_b32 s20, s27
	s_mov_b32 s21, s27
	s_mov_b32 s28, s27
	s_waitcnt vmcnt(1)
	v_add_nc_u32_e32 v15, 1, v19
	v_add_nc_u32_e32 v14, 1, v18
	;; [unrolled: 1-line block ×4, first 2 shown]
	s_waitcnt vmcnt(0)
	v_add_nc_u32_e32 v9, 1, v2
	v_add_nc_u32_e32 v8, 1, v1
	;; [unrolled: 1-line block ×4, first 2 shown]
	s_branch .LBB357_2
.LBB357_1:                              ;   in Loop: Header=BB357_2 Depth=1
	v_add_nc_u32_e32 v8, v43, v36
	s_barrier
	buffer_gl0_inv
	ds_store_b64 v46, v[16:17]
	ds_store_b64 v47, v[32:33]
	ds_store_b64 v48, v[30:31]
	ds_store_b64 v49, v[28:29]
	s_waitcnt lgkmcnt(0)
	s_barrier
	buffer_gl0_inv
	ds_load_2addr_stride64_b64 v[0:3], v8 offset1:3
	ds_load_2addr_stride64_b64 v[4:7], v8 offset0:6 offset1:9
	s_waitcnt lgkmcnt(0)
	s_barrier
	buffer_gl0_inv
	ds_store_b64 v46, v[24:25]
	ds_store_b64 v47, v[20:21]
	;; [unrolled: 1-line block ×4, first 2 shown]
	s_waitcnt lgkmcnt(0)
	s_barrier
	buffer_gl0_inv
	ds_load_2addr_stride64_b64 v[14:17], v8 offset1:3
	ds_load_2addr_stride64_b64 v[8:11], v8 offset0:6 offset1:9
	s_add_i32 s28, s28, 1
	s_delay_alu instid0(SALU_CYCLE_1)
	s_cmp_lg_u32 s28, 10
	v_xor_b32_e32 v18, 0x80000000, v0
	v_xor_b32_e32 v19, 0x80000000, v1
	;; [unrolled: 1-line block ×8, first 2 shown]
	s_cbranch_scc0 .LBB357_20
.LBB357_2:                              ; =>This Loop Header: Depth=1
                                        ;     Child Loop BB357_4 Depth 2
	v_xor_b32_e32 v0, 0x80000000, v19
	v_xor_b32_e32 v5, 0x80000000, v18
	;; [unrolled: 1-line block ×5, first 2 shown]
	ds_bpermute_b32 v1, v35, v0
	v_xor_b32_e32 v13, 0x80000000, v2
	ds_bpermute_b32 v2, v35, v5
	v_xor_b32_e32 v18, 0x80000000, v3
	ds_bpermute_b32 v3, v35, v7
	ds_bpermute_b32 v19, v35, v6
	;; [unrolled: 1-line block ×6, first 2 shown]
	v_xor_b32_e32 v4, 0x80000000, v4
	ds_bpermute_b32 v20, v35, v12
	ds_bpermute_b32 v24, v35, v13
	;; [unrolled: 1-line block ×9, first 2 shown]
	s_waitcnt lgkmcnt(16)
	v_cndmask_b32_e64 v1, 0, v1, s1
	ds_bpermute_b32 v47, v37, v4
	s_waitcnt lgkmcnt(16)
	v_cndmask_b32_e64 v2, 0, v2, s1
	ds_bpermute_b32 v48, v38, v7
	ds_bpermute_b32 v49, v38, v6
	s_waitcnt lgkmcnt(17)
	v_cndmask_b32_e64 v1, v1, v3, s2
	s_waitcnt lgkmcnt(15)
	v_cndmask_b32_e64 v3, 0, v21, s1
	v_cndmask_b32_e64 v2, v2, v19, s2
	s_waitcnt lgkmcnt(14)
	v_cndmask_b32_e64 v19, 0, v26, s1
	ds_bpermute_b32 v21, v39, v0
	ds_bpermute_b32 v50, v38, v12
	s_waitcnt lgkmcnt(15)
	v_cndmask_b32_e64 v0, v3, v28, s2
	ds_bpermute_b32 v51, v38, v13
	s_waitcnt lgkmcnt(15)
	v_cndmask_b32_e64 v3, v19, v29, s2
	s_waitcnt lgkmcnt(13)
	v_cndmask_b32_e64 v1, v1, v24, s3
	v_cndmask_b32_e64 v2, v2, v20, s3
	ds_bpermute_b32 v5, v39, v5
	s_waitcnt lgkmcnt(10)
	v_cndmask_b32_e64 v24, v0, v31, s3
	v_cndmask_b32_e64 v26, v3, v30, s3
	;; [unrolled: 1-line block ×4, first 2 shown]
	ds_bpermute_b32 v7, v39, v7
	ds_bpermute_b32 v27, v35, v14
	s_waitcnt lgkmcnt(11)
	v_cndmask_b32_e64 v2, v26, v46, s4
	ds_bpermute_b32 v26, v35, v15
	s_waitcnt lgkmcnt(11)
	v_cndmask_b32_e64 v19, 0, v32, s1
	s_waitcnt lgkmcnt(10)
	v_cndmask_b32_e64 v20, 0, v33, s1
	ds_bpermute_b32 v25, v38, v4
	ds_bpermute_b32 v6, v39, v6
	;; [unrolled: 1-line block ×4, first 2 shown]
	s_waitcnt lgkmcnt(12)
	v_cndmask_b32_e64 v19, v19, v48, s2
	s_waitcnt lgkmcnt(11)
	v_cndmask_b32_e64 v20, v20, v49, s2
	v_cndmask_b32_e64 v3, v24, v47, s4
	ds_bpermute_b32 v24, v38, v18
	ds_bpermute_b32 v13, v39, v13
	ds_bpermute_b32 v12, v39, v12
	ds_bpermute_b32 v32, v35, v9
	ds_bpermute_b32 v33, v35, v8
	ds_bpermute_b32 v46, v37, v15
	ds_bpermute_b32 v47, v37, v14
	s_waitcnt lgkmcnt(15)
	v_cndmask_b32_e64 v19, v19, v51, s3
	v_cndmask_b32_e64 v20, v20, v50, s3
	;; [unrolled: 1-line block ×3, first 2 shown]
	ds_bpermute_b32 v31, v39, v4
	ds_bpermute_b32 v18, v39, v18
	;; [unrolled: 1-line block ×6, first 2 shown]
	s_waitcnt lgkmcnt(20)
	v_cndmask_b32_e64 v30, 0, v5, s1
	s_waitcnt lgkmcnt(19)
	v_cndmask_b32_e64 v4, v21, v7, s2
	;; [unrolled: 2-line block ×3, first 2 shown]
	v_cndmask_b32_e64 v21, 0, v27, s1
	s_waitcnt lgkmcnt(16)
	v_cndmask_b32_e64 v5, v19, v25, s4
	s_waitcnt lgkmcnt(15)
	;; [unrolled: 2-line block ×3, first 2 shown]
	v_cndmask_b32_e64 v13, v4, v13, s3
	v_cndmask_b32_e64 v19, v7, v28, s2
	;; [unrolled: 1-line block ×4, first 2 shown]
	s_waitcnt lgkmcnt(10)
	v_cndmask_b32_e64 v6, v6, v12, s3
	s_waitcnt lgkmcnt(7)
	v_cndmask_b32_e64 v20, 0, v46, s1
	v_cndmask_b32_e64 v12, v19, v32, s3
	;; [unrolled: 1-line block ×3, first 2 shown]
	s_waitcnt lgkmcnt(6)
	v_cndmask_b32_e64 v21, 0, v47, s1
	s_waitcnt lgkmcnt(5)
	v_cndmask_b32_e64 v7, v13, v31, s4
	;; [unrolled: 2-line block ×7, first 2 shown]
	ds_bpermute_b32 v20, v37, v9
	ds_bpermute_b32 v21, v38, v15
	;; [unrolled: 1-line block ×20, first 2 shown]
	s_waitcnt lgkmcnt(19)
	v_cndmask_b32_e64 v18, v18, v20, s3
	s_waitcnt lgkmcnt(18)
	v_cndmask_b32_e64 v20, 0, v21, s1
	;; [unrolled: 2-line block ×5, first 2 shown]
	s_mov_b32 s29, 8
	s_waitcnt lgkmcnt(14)
	v_cndmask_b32_e64 v20, v20, v26, s2
	s_waitcnt lgkmcnt(13)
	v_cndmask_b32_e64 v21, v21, v27, s2
	;; [unrolled: 2-line block ×15, first 2 shown]
	s_mov_b32 s30, 32
	s_mov_b32 s31, 0
	s_barrier
	s_branch .LBB357_4
.LBB357_3:                              ;   in Loop: Header=BB357_4 Depth=2
	s_barrier
	buffer_gl0_inv
	ds_store_b64 v46, v[16:17]
	ds_store_b64 v47, v[32:33]
	;; [unrolled: 1-line block ×4, first 2 shown]
	s_waitcnt lgkmcnt(0)
	s_barrier
	buffer_gl0_inv
	ds_load_2addr_b64 v[0:3], v45 offset1:32
	ds_load_2addr_b64 v[4:7], v45 offset0:64 offset1:96
	s_waitcnt lgkmcnt(0)
	s_barrier
	buffer_gl0_inv
	ds_store_b64 v46, v[24:25]
	ds_store_b64 v47, v[20:21]
	ds_store_b64 v48, v[18:19]
	ds_store_b64 v49, v[26:27]
	s_waitcnt lgkmcnt(0)
	s_barrier
	buffer_gl0_inv
	ds_load_2addr_b64 v[12:15], v45 offset1:32
	ds_load_2addr_b64 v[8:11], v45 offset0:64 offset1:96
	s_add_i32 s30, s30, -8
	s_add_i32 s29, s29, 8
	s_add_i32 s31, s31, 8
	s_waitcnt lgkmcnt(0)
	s_barrier
	s_cbranch_execz .LBB357_1
.LBB357_4:                              ;   Parent Loop BB357_2 Depth=1
                                        ; =>  This Inner Loop Header: Depth=2
	s_min_i32 s18, s29, 32
	s_cmp_lt_u32 s31, 32
	v_dual_mov_b32 v17, v1 :: v_dual_mov_b32 v16, v0
	s_cselect_b32 vcc_lo, -1, 0
	s_cmp_gt_u32 s31, 24
	buffer_gl0_inv
	s_cselect_b32 s17, -1, 0
	s_sub_i32 s18, s18, 32
	v_lshrrev_b32_e32 v1, s31, v17
	s_add_i32 s19, s18, s30
	v_mov_b32_e32 v33, v3
	s_lshl_b32 s19, -1, s19
	v_mov_b32_e32 v32, v2
	s_not_b32 s19, s19
	s_cmp_lg_u32 s18, s31
	v_mov_b32_e32 v31, v5
	s_cselect_b32 s33, s19, -1
	s_max_i32 s34, s30, 0
	s_max_i32 s18, s31, 32
	v_and_b32_e32 v1, s33, v1
	s_sub_i32 s19, s18, s34
	s_sub_i32 s35, s18, 32
	;; [unrolled: 1-line block ×3, first 2 shown]
	v_lshrrev_b32_e32 v0, s35, v16
	s_min_i32 s18, s19, 32
	v_cndmask_b32_e32 v1, 0, v1, vcc_lo
	s_sub_i32 s18, s18, s35
	v_mov_b32_e32 v30, v4
	s_lshl_b32 s19, -1, s18
	v_mov_b32_e32 v29, v7
	s_not_b32 s19, s19
	s_cmp_lg_u32 s18, 32
	v_mov_b32_e32 v28, v6
	s_cselect_b32 s36, s19, -1
	s_delay_alu instid0(SALU_CYCLE_1) | instskip(SKIP_1) | instid1(VALU_DEP_2)
	v_dual_mov_b32 v3, s20 :: v_dual_and_b32 v0, s36, v0
	v_mov_b32_e32 v4, s21
	v_lshlrev_b32_e32 v0, s34, v0
	s_delay_alu instid0(VALU_DEP_1) | instskip(NEXT) | instid1(VALU_DEP_1)
	v_cndmask_b32_e64 v0, 0, v0, s17
	v_or_b32_e32 v46, v1, v0
	s_delay_alu instid0(VALU_DEP_1)
	v_and_b32_e32 v0, 1, v46
	v_lshlrev_b32_e32 v1, 30, v46
	v_lshlrev_b32_e32 v18, 29, v46
	;; [unrolled: 1-line block ×4, first 2 shown]
	v_add_co_u32 v0, s18, v0, -1
	s_delay_alu instid0(VALU_DEP_1)
	v_cndmask_b32_e64 v20, 0, 1, s18
	v_not_b32_e32 v26, v1
	v_cmp_gt_i32_e64 s19, 0, v1
	v_not_b32_e32 v1, v18
	v_lshlrev_b32_e32 v24, 26, v46
	v_cmp_ne_u32_e64 s18, 0, v20
	v_ashrrev_i32_e32 v26, 31, v26
	v_lshlrev_b32_e32 v20, 24, v46
	v_ashrrev_i32_e32 v1, 31, v1
	v_lshlrev_b32_e32 v25, 25, v46
	v_xor_b32_e32 v0, s18, v0
	v_cmp_gt_i32_e64 s18, 0, v18
	v_not_b32_e32 v18, v19
	v_xor_b32_e32 v26, s19, v26
	v_cmp_gt_i32_e64 s19, 0, v19
	v_and_b32_e32 v0, exec_lo, v0
	v_not_b32_e32 v19, v21
	v_ashrrev_i32_e32 v18, 31, v18
	v_xor_b32_e32 v1, s18, v1
	v_cmp_gt_i32_e64 s18, 0, v21
	v_and_b32_e32 v0, v0, v26
	v_ashrrev_i32_e32 v19, 31, v19
	v_xor_b32_e32 v18, s19, v18
	s_delay_alu instid0(VALU_DEP_3) | instskip(NEXT) | instid1(VALU_DEP_3)
	v_and_b32_e32 v0, v0, v1
	v_xor_b32_e32 v19, s18, v19
	v_not_b32_e32 v1, v25
	v_cmp_gt_i32_e64 s18, 0, v25
	s_delay_alu instid0(VALU_DEP_4) | instskip(SKIP_1) | instid1(VALU_DEP_4)
	v_and_b32_e32 v0, v0, v18
	v_not_b32_e32 v18, v20
	v_ashrrev_i32_e32 v1, 31, v1
	s_delay_alu instid0(VALU_DEP_3) | instskip(NEXT) | instid1(VALU_DEP_3)
	v_and_b32_e32 v0, v0, v19
	v_ashrrev_i32_e32 v26, 31, v18
	v_mov_b32_e32 v19, v9
	v_not_b32_e32 v21, v24
	v_cmp_gt_i32_e64 s19, 0, v24
	v_xor_b32_e32 v1, s18, v1
	v_dual_mov_b32 v18, v8 :: v_dual_mov_b32 v25, v13
	s_delay_alu instid0(VALU_DEP_4) | instskip(SKIP_1) | instid1(VALU_DEP_2)
	v_ashrrev_i32_e32 v21, 31, v21
	v_mov_b32_e32 v24, v12
	v_xor_b32_e32 v21, s19, v21
	v_cmp_gt_i32_e64 s19, 0, v20
	s_delay_alu instid0(VALU_DEP_3) | instskip(NEXT) | instid1(VALU_DEP_3)
	v_mad_u64_u32 v[5:6], null, v46, 6, v[23:24]
	v_and_b32_e32 v0, v0, v21
	s_delay_alu instid0(VALU_DEP_3) | instskip(SKIP_2) | instid1(VALU_DEP_4)
	v_xor_b32_e32 v8, s19, v26
	v_mov_b32_e32 v21, v15
	v_dual_mov_b32 v27, v11 :: v_dual_mov_b32 v20, v14
	v_dual_mov_b32 v1, s26 :: v_dual_and_b32 v0, v0, v1
	v_mov_b32_e32 v26, v10
	v_mov_b32_e32 v2, s27
	v_lshl_add_u32 v9, v5, 2, 24
	s_delay_alu instid0(VALU_DEP_4)
	v_and_b32_e32 v0, v0, v8
	ds_store_2addr_b64 v34, v[1:2], v[3:4] offset0:3 offset1:4
	ds_store_2addr_b64 v40, v[1:2], v[3:4] offset0:2 offset1:3
	s_waitcnt lgkmcnt(0)
	v_mbcnt_lo_u32_b32 v8, v0, 0
	v_cmp_ne_u32_e64 s19, 0, v0
	s_barrier
	buffer_gl0_inv
	v_cmp_eq_u32_e64 s18, 0, v8
	; wave barrier
	s_delay_alu instid0(VALU_DEP_1) | instskip(NEXT) | instid1(SALU_CYCLE_1)
	s_and_b32 s19, s18, s19
	s_and_saveexec_b32 s18, s19
	s_cbranch_execz .LBB357_6
; %bb.5:                                ;   in Loop: Header=BB357_4 Depth=2
	v_bcnt_u32_b32 v0, v0, 0
	ds_store_b32 v9, v0
.LBB357_6:                              ;   in Loop: Header=BB357_4 Depth=2
	s_or_b32 exec_lo, exec_lo, s18
	v_lshrrev_b32_e32 v0, s35, v32
	v_lshrrev_b32_e32 v1, s31, v33
	; wave barrier
	s_delay_alu instid0(VALU_DEP_1) | instskip(NEXT) | instid1(VALU_DEP_1)
	v_and_b32_e32 v1, s33, v1
	v_dual_cndmask_b32 v1, 0, v1 :: v_dual_and_b32 v0, s36, v0
	s_delay_alu instid0(VALU_DEP_1) | instskip(NEXT) | instid1(VALU_DEP_1)
	v_lshlrev_b32_e32 v0, s34, v0
	v_cndmask_b32_e64 v0, 0, v0, s17
	s_delay_alu instid0(VALU_DEP_1) | instskip(NEXT) | instid1(VALU_DEP_1)
	v_or_b32_e32 v0, v1, v0
	v_and_b32_e32 v2, 1, v0
	v_lshlrev_b32_e32 v3, 30, v0
	v_lshlrev_b32_e32 v4, 29, v0
	;; [unrolled: 1-line block ×4, first 2 shown]
	v_add_co_u32 v2, s18, v2, -1
	s_delay_alu instid0(VALU_DEP_1)
	v_cndmask_b32_e64 v6, 0, 1, s18
	v_not_b32_e32 v12, v3
	v_cmp_gt_i32_e64 s19, 0, v3
	v_not_b32_e32 v3, v4
	v_lshlrev_b32_e32 v10, 26, v0
	v_cmp_ne_u32_e64 s18, 0, v6
	v_ashrrev_i32_e32 v6, 31, v12
	v_lshlrev_b32_e32 v11, 25, v0
	v_ashrrev_i32_e32 v3, 31, v3
	v_mul_lo_u32 v1, v0, 6
	v_xor_b32_e32 v2, s18, v2
	v_cmp_gt_i32_e64 s18, 0, v4
	v_not_b32_e32 v4, v5
	v_xor_b32_e32 v6, s19, v6
	v_cmp_gt_i32_e64 s19, 0, v5
	v_and_b32_e32 v2, exec_lo, v2
	v_not_b32_e32 v5, v7
	v_ashrrev_i32_e32 v4, 31, v4
	v_xor_b32_e32 v3, s18, v3
	v_cmp_gt_i32_e64 s18, 0, v7
	v_and_b32_e32 v2, v2, v6
	v_not_b32_e32 v6, v10
	v_ashrrev_i32_e32 v5, 31, v5
	v_xor_b32_e32 v4, s19, v4
	v_lshlrev_b32_e32 v0, 24, v0
	v_and_b32_e32 v2, v2, v3
	v_cmp_gt_i32_e64 s19, 0, v10
	v_not_b32_e32 v3, v11
	v_ashrrev_i32_e32 v6, 31, v6
	v_xor_b32_e32 v5, s18, v5
	v_and_b32_e32 v2, v2, v4
	v_cmp_gt_i32_e64 s18, 0, v11
	v_not_b32_e32 v4, v0
	v_ashrrev_i32_e32 v3, 31, v3
	v_xor_b32_e32 v6, s19, v6
	v_and_b32_e32 v2, v2, v5
	v_cmp_gt_i32_e64 s19, 0, v0
	v_ashrrev_i32_e32 v0, 31, v4
	v_xor_b32_e32 v3, s18, v3
	v_add_lshl_u32 v1, v1, v23, 2
	v_and_b32_e32 v2, v2, v6
	s_delay_alu instid0(VALU_DEP_4) | instskip(SKIP_3) | instid1(VALU_DEP_2)
	v_xor_b32_e32 v0, s19, v0
	ds_load_b32 v10, v1 offset:24
	v_and_b32_e32 v2, v2, v3
	v_add_nc_u32_e32 v12, 24, v1
	; wave barrier
	v_and_b32_e32 v0, v2, v0
	s_delay_alu instid0(VALU_DEP_1) | instskip(SKIP_1) | instid1(VALU_DEP_2)
	v_mbcnt_lo_u32_b32 v11, v0, 0
	v_cmp_ne_u32_e64 s19, 0, v0
	v_cmp_eq_u32_e64 s18, 0, v11
	s_delay_alu instid0(VALU_DEP_1) | instskip(NEXT) | instid1(SALU_CYCLE_1)
	s_and_b32 s19, s18, s19
	s_and_saveexec_b32 s18, s19
	s_cbranch_execz .LBB357_8
; %bb.7:                                ;   in Loop: Header=BB357_4 Depth=2
	s_waitcnt lgkmcnt(0)
	v_bcnt_u32_b32 v0, v0, v10
	ds_store_b32 v12, v0
.LBB357_8:                              ;   in Loop: Header=BB357_4 Depth=2
	s_or_b32 exec_lo, exec_lo, s18
	v_lshrrev_b32_e32 v0, s35, v30
	v_lshrrev_b32_e32 v1, s31, v31
	; wave barrier
	s_delay_alu instid0(VALU_DEP_1) | instskip(NEXT) | instid1(VALU_DEP_1)
	v_and_b32_e32 v1, s33, v1
	v_dual_cndmask_b32 v1, 0, v1 :: v_dual_and_b32 v0, s36, v0
	s_delay_alu instid0(VALU_DEP_1) | instskip(NEXT) | instid1(VALU_DEP_1)
	v_lshlrev_b32_e32 v0, s34, v0
	v_cndmask_b32_e64 v0, 0, v0, s17
	s_delay_alu instid0(VALU_DEP_1) | instskip(NEXT) | instid1(VALU_DEP_1)
	v_or_b32_e32 v0, v1, v0
	v_and_b32_e32 v2, 1, v0
	v_lshlrev_b32_e32 v3, 30, v0
	v_lshlrev_b32_e32 v4, 29, v0
	;; [unrolled: 1-line block ×4, first 2 shown]
	v_add_co_u32 v2, s18, v2, -1
	s_delay_alu instid0(VALU_DEP_1)
	v_cndmask_b32_e64 v6, 0, 1, s18
	v_not_b32_e32 v15, v3
	v_cmp_gt_i32_e64 s19, 0, v3
	v_not_b32_e32 v3, v4
	v_lshlrev_b32_e32 v13, 26, v0
	v_cmp_ne_u32_e64 s18, 0, v6
	v_ashrrev_i32_e32 v6, 31, v15
	v_lshlrev_b32_e32 v14, 25, v0
	v_ashrrev_i32_e32 v3, 31, v3
	v_mul_lo_u32 v1, v0, 6
	v_xor_b32_e32 v2, s18, v2
	v_cmp_gt_i32_e64 s18, 0, v4
	v_not_b32_e32 v4, v5
	v_xor_b32_e32 v6, s19, v6
	v_cmp_gt_i32_e64 s19, 0, v5
	v_and_b32_e32 v2, exec_lo, v2
	v_not_b32_e32 v5, v7
	v_ashrrev_i32_e32 v4, 31, v4
	v_xor_b32_e32 v3, s18, v3
	v_cmp_gt_i32_e64 s18, 0, v7
	v_and_b32_e32 v2, v2, v6
	v_not_b32_e32 v6, v13
	v_ashrrev_i32_e32 v5, 31, v5
	v_xor_b32_e32 v4, s19, v4
	v_lshlrev_b32_e32 v0, 24, v0
	v_and_b32_e32 v2, v2, v3
	v_cmp_gt_i32_e64 s19, 0, v13
	v_not_b32_e32 v3, v14
	v_ashrrev_i32_e32 v6, 31, v6
	v_xor_b32_e32 v5, s18, v5
	v_and_b32_e32 v2, v2, v4
	v_cmp_gt_i32_e64 s18, 0, v14
	v_not_b32_e32 v4, v0
	v_ashrrev_i32_e32 v3, 31, v3
	v_xor_b32_e32 v6, s19, v6
	v_and_b32_e32 v2, v2, v5
	v_cmp_gt_i32_e64 s19, 0, v0
	v_ashrrev_i32_e32 v0, 31, v4
	v_xor_b32_e32 v3, s18, v3
	v_add_lshl_u32 v1, v1, v23, 2
	v_and_b32_e32 v2, v2, v6
	s_delay_alu instid0(VALU_DEP_4) | instskip(SKIP_3) | instid1(VALU_DEP_2)
	v_xor_b32_e32 v0, s19, v0
	ds_load_b32 v13, v1 offset:24
	v_and_b32_e32 v2, v2, v3
	v_add_nc_u32_e32 v15, 24, v1
	; wave barrier
	v_and_b32_e32 v0, v2, v0
	s_delay_alu instid0(VALU_DEP_1) | instskip(SKIP_1) | instid1(VALU_DEP_2)
	v_mbcnt_lo_u32_b32 v14, v0, 0
	v_cmp_ne_u32_e64 s19, 0, v0
	v_cmp_eq_u32_e64 s18, 0, v14
	s_delay_alu instid0(VALU_DEP_1) | instskip(NEXT) | instid1(SALU_CYCLE_1)
	s_and_b32 s19, s18, s19
	s_and_saveexec_b32 s18, s19
	s_cbranch_execz .LBB357_10
; %bb.9:                                ;   in Loop: Header=BB357_4 Depth=2
	s_waitcnt lgkmcnt(0)
	v_bcnt_u32_b32 v0, v0, v13
	ds_store_b32 v15, v0
.LBB357_10:                             ;   in Loop: Header=BB357_4 Depth=2
	s_or_b32 exec_lo, exec_lo, s18
	v_lshrrev_b32_e32 v0, s35, v28
	v_lshrrev_b32_e32 v1, s31, v29
	; wave barrier
	s_delay_alu instid0(VALU_DEP_1) | instskip(NEXT) | instid1(VALU_DEP_1)
	v_and_b32_e32 v1, s33, v1
	v_dual_cndmask_b32 v1, 0, v1 :: v_dual_and_b32 v0, s36, v0
	s_delay_alu instid0(VALU_DEP_1) | instskip(NEXT) | instid1(VALU_DEP_1)
	v_lshlrev_b32_e32 v0, s34, v0
	v_cndmask_b32_e64 v0, 0, v0, s17
	s_delay_alu instid0(VALU_DEP_1) | instskip(NEXT) | instid1(VALU_DEP_1)
	v_or_b32_e32 v0, v1, v0
	v_and_b32_e32 v2, 1, v0
	v_lshlrev_b32_e32 v3, 30, v0
	v_lshlrev_b32_e32 v4, 29, v0
	;; [unrolled: 1-line block ×4, first 2 shown]
	v_add_co_u32 v2, s17, v2, -1
	s_delay_alu instid0(VALU_DEP_1)
	v_cndmask_b32_e64 v6, 0, 1, s17
	v_not_b32_e32 v48, v3
	v_cmp_gt_i32_e64 s17, 0, v3
	v_not_b32_e32 v3, v4
	v_lshlrev_b32_e32 v46, 26, v0
	v_cmp_ne_u32_e32 vcc_lo, 0, v6
	v_ashrrev_i32_e32 v6, 31, v48
	v_lshlrev_b32_e32 v47, 25, v0
	v_ashrrev_i32_e32 v3, 31, v3
	v_mul_lo_u32 v1, v0, 6
	v_xor_b32_e32 v2, vcc_lo, v2
	v_cmp_gt_i32_e32 vcc_lo, 0, v4
	v_not_b32_e32 v4, v5
	v_xor_b32_e32 v6, s17, v6
	v_cmp_gt_i32_e64 s17, 0, v5
	v_and_b32_e32 v2, exec_lo, v2
	v_not_b32_e32 v5, v7
	v_ashrrev_i32_e32 v4, 31, v4
	v_xor_b32_e32 v3, vcc_lo, v3
	v_cmp_gt_i32_e32 vcc_lo, 0, v7
	v_and_b32_e32 v2, v2, v6
	v_not_b32_e32 v6, v46
	v_ashrrev_i32_e32 v5, 31, v5
	v_xor_b32_e32 v4, s17, v4
	v_lshlrev_b32_e32 v0, 24, v0
	v_and_b32_e32 v2, v2, v3
	v_cmp_gt_i32_e64 s17, 0, v46
	v_not_b32_e32 v3, v47
	v_ashrrev_i32_e32 v6, 31, v6
	v_xor_b32_e32 v5, vcc_lo, v5
	v_and_b32_e32 v2, v2, v4
	v_cmp_gt_i32_e32 vcc_lo, 0, v47
	v_not_b32_e32 v4, v0
	v_ashrrev_i32_e32 v3, 31, v3
	v_xor_b32_e32 v6, s17, v6
	v_and_b32_e32 v2, v2, v5
	v_cmp_gt_i32_e64 s17, 0, v0
	v_ashrrev_i32_e32 v0, 31, v4
	v_xor_b32_e32 v3, vcc_lo, v3
	v_add_lshl_u32 v1, v1, v23, 2
	v_and_b32_e32 v2, v2, v6
	s_delay_alu instid0(VALU_DEP_4) | instskip(SKIP_3) | instid1(VALU_DEP_2)
	v_xor_b32_e32 v0, s17, v0
	ds_load_b32 v46, v1 offset:24
	v_and_b32_e32 v2, v2, v3
	v_add_nc_u32_e32 v48, 24, v1
	; wave barrier
	v_and_b32_e32 v0, v2, v0
	s_delay_alu instid0(VALU_DEP_1) | instskip(SKIP_1) | instid1(VALU_DEP_2)
	v_mbcnt_lo_u32_b32 v47, v0, 0
	v_cmp_ne_u32_e64 s17, 0, v0
	v_cmp_eq_u32_e32 vcc_lo, 0, v47
	s_delay_alu instid0(VALU_DEP_2) | instskip(NEXT) | instid1(SALU_CYCLE_1)
	s_and_b32 s18, vcc_lo, s17
	s_and_saveexec_b32 s17, s18
	s_cbranch_execz .LBB357_12
; %bb.11:                               ;   in Loop: Header=BB357_4 Depth=2
	s_waitcnt lgkmcnt(0)
	v_bcnt_u32_b32 v0, v0, v46
	ds_store_b32 v48, v0
.LBB357_12:                             ;   in Loop: Header=BB357_4 Depth=2
	s_or_b32 exec_lo, exec_lo, s17
	; wave barrier
	s_waitcnt lgkmcnt(0)
	s_barrier
	buffer_gl0_inv
	ds_load_2addr_b64 v[4:7], v34 offset0:3 offset1:4
	ds_load_2addr_b64 v[0:3], v40 offset0:2 offset1:3
	s_waitcnt lgkmcnt(1)
	v_add_nc_u32_e32 v49, v5, v4
	s_delay_alu instid0(VALU_DEP_1) | instskip(SKIP_1) | instid1(VALU_DEP_1)
	v_add3_u32 v49, v49, v6, v7
	s_waitcnt lgkmcnt(0)
	v_add3_u32 v49, v49, v0, v1
	s_delay_alu instid0(VALU_DEP_1) | instskip(NEXT) | instid1(VALU_DEP_1)
	v_add3_u32 v3, v49, v2, v3
	v_mov_b32_dpp v49, v3 row_shr:1 row_mask:0xf bank_mask:0xf
	s_delay_alu instid0(VALU_DEP_1) | instskip(NEXT) | instid1(VALU_DEP_1)
	v_cndmask_b32_e64 v49, v49, 0, s5
	v_add_nc_u32_e32 v3, v49, v3
	s_delay_alu instid0(VALU_DEP_1) | instskip(NEXT) | instid1(VALU_DEP_1)
	v_mov_b32_dpp v49, v3 row_shr:2 row_mask:0xf bank_mask:0xf
	v_cndmask_b32_e64 v49, 0, v49, s6
	s_delay_alu instid0(VALU_DEP_1) | instskip(NEXT) | instid1(VALU_DEP_1)
	v_add_nc_u32_e32 v3, v3, v49
	v_mov_b32_dpp v49, v3 row_shr:4 row_mask:0xf bank_mask:0xf
	s_delay_alu instid0(VALU_DEP_1) | instskip(NEXT) | instid1(VALU_DEP_1)
	v_cndmask_b32_e64 v49, 0, v49, s7
	v_add_nc_u32_e32 v3, v3, v49
	s_delay_alu instid0(VALU_DEP_1) | instskip(NEXT) | instid1(VALU_DEP_1)
	v_mov_b32_dpp v49, v3 row_shr:8 row_mask:0xf bank_mask:0xf
	v_cndmask_b32_e64 v49, 0, v49, s8
	s_delay_alu instid0(VALU_DEP_1) | instskip(SKIP_3) | instid1(VALU_DEP_1)
	v_add_nc_u32_e32 v3, v3, v49
	ds_swizzle_b32 v49, v3 offset:swizzle(BROADCAST,32,15)
	s_waitcnt lgkmcnt(0)
	v_cndmask_b32_e64 v49, v49, 0, s9
	v_add_nc_u32_e32 v3, v3, v49
	s_and_saveexec_b32 s17, s16
	s_cbranch_execz .LBB357_14
; %bb.13:                               ;   in Loop: Header=BB357_4 Depth=2
	ds_store_b32 v41, v3
.LBB357_14:                             ;   in Loop: Header=BB357_4 Depth=2
	s_or_b32 exec_lo, exec_lo, s17
	s_waitcnt lgkmcnt(0)
	s_barrier
	buffer_gl0_inv
	s_and_saveexec_b32 s17, s10
	s_cbranch_execz .LBB357_16
; %bb.15:                               ;   in Loop: Header=BB357_4 Depth=2
	ds_load_b32 v49, v43
	s_waitcnt lgkmcnt(0)
	v_mov_b32_dpp v50, v49 row_shr:1 row_mask:0xf bank_mask:0xf
	s_delay_alu instid0(VALU_DEP_1) | instskip(NEXT) | instid1(VALU_DEP_1)
	v_cndmask_b32_e64 v50, v50, 0, s13
	v_add_nc_u32_e32 v49, v50, v49
	s_delay_alu instid0(VALU_DEP_1) | instskip(NEXT) | instid1(VALU_DEP_1)
	v_mov_b32_dpp v50, v49 row_shr:2 row_mask:0xf bank_mask:0xf
	v_cndmask_b32_e64 v50, 0, v50, s14
	s_delay_alu instid0(VALU_DEP_1) | instskip(NEXT) | instid1(VALU_DEP_1)
	v_add_nc_u32_e32 v49, v49, v50
	v_mov_b32_dpp v50, v49 row_shr:4 row_mask:0xf bank_mask:0xf
	s_delay_alu instid0(VALU_DEP_1) | instskip(NEXT) | instid1(VALU_DEP_1)
	v_cndmask_b32_e64 v50, 0, v50, s15
	v_add_nc_u32_e32 v49, v49, v50
	ds_store_b32 v43, v49
.LBB357_16:                             ;   in Loop: Header=BB357_4 Depth=2
	s_or_b32 exec_lo, exec_lo, s17
	v_mov_b32_e32 v49, 0
	s_waitcnt lgkmcnt(0)
	s_barrier
	buffer_gl0_inv
	s_and_saveexec_b32 s17, s11
	s_cbranch_execz .LBB357_18
; %bb.17:                               ;   in Loop: Header=BB357_4 Depth=2
	ds_load_b32 v49, v44
.LBB357_18:                             ;   in Loop: Header=BB357_4 Depth=2
	s_or_b32 exec_lo, exec_lo, s17
	s_waitcnt lgkmcnt(0)
	v_add_nc_u32_e32 v3, v49, v3
	s_cmp_gt_u32 s31, 55
	ds_bpermute_b32 v3, v42, v3
	s_waitcnt lgkmcnt(0)
	v_cndmask_b32_e64 v3, v3, v49, s0
	s_delay_alu instid0(VALU_DEP_1) | instskip(NEXT) | instid1(VALU_DEP_1)
	v_cndmask_b32_e64 v3, v3, 0, s12
	v_add_nc_u32_e32 v4, v3, v4
	s_delay_alu instid0(VALU_DEP_1) | instskip(NEXT) | instid1(VALU_DEP_1)
	v_add_nc_u32_e32 v5, v4, v5
	v_add_nc_u32_e32 v6, v5, v6
	s_delay_alu instid0(VALU_DEP_1) | instskip(SKIP_1) | instid1(VALU_DEP_2)
	v_add_nc_u32_e32 v49, v6, v7
	v_lshlrev_b32_e32 v7, 3, v14
	v_add_nc_u32_e32 v50, v49, v0
	s_delay_alu instid0(VALU_DEP_1) | instskip(NEXT) | instid1(VALU_DEP_1)
	v_add_nc_u32_e32 v0, v50, v1
	v_add_nc_u32_e32 v1, v0, v2
	ds_store_2addr_b64 v34, v[3:4], v[5:6] offset0:3 offset1:4
	ds_store_2addr_b64 v40, v[49:50], v[0:1] offset0:2 offset1:3
	s_waitcnt lgkmcnt(0)
	s_barrier
	buffer_gl0_inv
	ds_load_b32 v0, v12
	ds_load_b32 v1, v15
	;; [unrolled: 1-line block ×4, first 2 shown]
	v_lshlrev_b32_e32 v4, 3, v8
	v_lshlrev_b32_e32 v5, 3, v11
	;; [unrolled: 1-line block ×6, first 2 shown]
	s_waitcnt lgkmcnt(0)
	v_lshlrev_b32_e32 v0, 3, v0
	v_lshlrev_b32_e32 v1, 3, v1
	;; [unrolled: 1-line block ×3, first 2 shown]
	v_lshl_add_u32 v46, v3, 3, v4
	s_delay_alu instid0(VALU_DEP_4) | instskip(NEXT) | instid1(VALU_DEP_4)
	v_add3_u32 v47, v5, v6, v0
	v_add3_u32 v48, v7, v8, v1
	s_delay_alu instid0(VALU_DEP_4)
	v_add3_u32 v49, v9, v10, v2
	s_cbranch_scc0 .LBB357_3
; %bb.19:                               ;   in Loop: Header=BB357_2 Depth=1
                                        ; implicit-def: $sgpr31
                                        ; implicit-def: $vgpr12_vgpr13
                                        ; implicit-def: $vgpr8_vgpr9
                                        ; implicit-def: $vgpr0_vgpr1
                                        ; implicit-def: $vgpr4_vgpr5
                                        ; implicit-def: $sgpr30
                                        ; implicit-def: $sgpr29
	s_branch .LBB357_1
.LBB357_20:
	s_waitcnt lgkmcnt(0)
	v_add_nc_u32_e32 v0, v1, v8
	v_add_nc_u32_e32 v1, v2, v9
	v_lshlrev_b32_e32 v9, 3, v22
	s_add_u32 s0, s22, s24
	s_addc_u32 s1, s23, s25
	v_add_nc_u32_e32 v5, v18, v14
	v_add_nc_u32_e32 v6, v19, v15
	v_add_co_u32 v7, s2, s0, v9
	s_delay_alu instid0(VALU_DEP_1) | instskip(SKIP_2) | instid1(VALU_DEP_4)
	v_add_co_ci_u32_e64 v8, null, s1, 0, s2
	v_add_nc_u32_e32 v12, v20, v16
	v_add_nc_u32_e32 v13, v21, v17
	v_add_co_u32 v7, vcc_lo, 0x1000, v7
	v_add_nc_u32_e32 v2, v3, v10
	v_add_nc_u32_e32 v3, v4, v11
	v_add_co_ci_u32_e32 v8, vcc_lo, 0, v8, vcc_lo
	s_clause 0x3
	global_store_b64 v9, v[5:6], s[0:1]
	global_store_b64 v9, v[12:13], s[0:1] offset:1536
	global_store_b64 v9, v[0:1], s[0:1] offset:3072
	global_store_b64 v[7:8], v[2:3], off offset:512
	s_nop 0
	s_sendmsg sendmsg(MSG_DEALLOC_VGPRS)
	s_endpgm
	.section	.rodata,"a",@progbits
	.p2align	6, 0x0
	.amdhsa_kernel _Z17sort_pairs_kernelI22helper_blocked_stripedN15benchmark_utils11custom_typeIiiEELj192ELj4ELj10EEvPKT0_PS4_
		.amdhsa_group_segment_fixed_size 6176
		.amdhsa_private_segment_fixed_size 0
		.amdhsa_kernarg_size 272
		.amdhsa_user_sgpr_count 15
		.amdhsa_user_sgpr_dispatch_ptr 0
		.amdhsa_user_sgpr_queue_ptr 0
		.amdhsa_user_sgpr_kernarg_segment_ptr 1
		.amdhsa_user_sgpr_dispatch_id 0
		.amdhsa_user_sgpr_private_segment_size 0
		.amdhsa_wavefront_size32 1
		.amdhsa_uses_dynamic_stack 0
		.amdhsa_enable_private_segment 0
		.amdhsa_system_sgpr_workgroup_id_x 1
		.amdhsa_system_sgpr_workgroup_id_y 0
		.amdhsa_system_sgpr_workgroup_id_z 0
		.amdhsa_system_sgpr_workgroup_info 0
		.amdhsa_system_vgpr_workitem_id 2
		.amdhsa_next_free_vgpr 52
		.amdhsa_next_free_sgpr 37
		.amdhsa_reserve_vcc 1
		.amdhsa_float_round_mode_32 0
		.amdhsa_float_round_mode_16_64 0
		.amdhsa_float_denorm_mode_32 3
		.amdhsa_float_denorm_mode_16_64 3
		.amdhsa_dx10_clamp 1
		.amdhsa_ieee_mode 1
		.amdhsa_fp16_overflow 0
		.amdhsa_workgroup_processor_mode 1
		.amdhsa_memory_ordered 1
		.amdhsa_forward_progress 0
		.amdhsa_shared_vgpr_count 0
		.amdhsa_exception_fp_ieee_invalid_op 0
		.amdhsa_exception_fp_denorm_src 0
		.amdhsa_exception_fp_ieee_div_zero 0
		.amdhsa_exception_fp_ieee_overflow 0
		.amdhsa_exception_fp_ieee_underflow 0
		.amdhsa_exception_fp_ieee_inexact 0
		.amdhsa_exception_int_div_zero 0
	.end_amdhsa_kernel
	.section	.text._Z17sort_pairs_kernelI22helper_blocked_stripedN15benchmark_utils11custom_typeIiiEELj192ELj4ELj10EEvPKT0_PS4_,"axG",@progbits,_Z17sort_pairs_kernelI22helper_blocked_stripedN15benchmark_utils11custom_typeIiiEELj192ELj4ELj10EEvPKT0_PS4_,comdat
.Lfunc_end357:
	.size	_Z17sort_pairs_kernelI22helper_blocked_stripedN15benchmark_utils11custom_typeIiiEELj192ELj4ELj10EEvPKT0_PS4_, .Lfunc_end357-_Z17sort_pairs_kernelI22helper_blocked_stripedN15benchmark_utils11custom_typeIiiEELj192ELj4ELj10EEvPKT0_PS4_
                                        ; -- End function
	.section	.AMDGPU.csdata,"",@progbits
; Kernel info:
; codeLenInByte = 4668
; NumSgprs: 39
; NumVgprs: 52
; ScratchSize: 0
; MemoryBound: 0
; FloatMode: 240
; IeeeMode: 1
; LDSByteSize: 6176 bytes/workgroup (compile time only)
; SGPRBlocks: 4
; VGPRBlocks: 6
; NumSGPRsForWavesPerEU: 39
; NumVGPRsForWavesPerEU: 52
; Occupancy: 15
; WaveLimiterHint : 1
; COMPUTE_PGM_RSRC2:SCRATCH_EN: 0
; COMPUTE_PGM_RSRC2:USER_SGPR: 15
; COMPUTE_PGM_RSRC2:TRAP_HANDLER: 0
; COMPUTE_PGM_RSRC2:TGID_X_EN: 1
; COMPUTE_PGM_RSRC2:TGID_Y_EN: 0
; COMPUTE_PGM_RSRC2:TGID_Z_EN: 0
; COMPUTE_PGM_RSRC2:TIDIG_COMP_CNT: 2
	.section	.text._Z16sort_keys_kernelI22helper_blocked_stripedN15benchmark_utils11custom_typeIiiEELj192ELj8ELj10EEvPKT0_PS4_,"axG",@progbits,_Z16sort_keys_kernelI22helper_blocked_stripedN15benchmark_utils11custom_typeIiiEELj192ELj8ELj10EEvPKT0_PS4_,comdat
	.protected	_Z16sort_keys_kernelI22helper_blocked_stripedN15benchmark_utils11custom_typeIiiEELj192ELj8ELj10EEvPKT0_PS4_ ; -- Begin function _Z16sort_keys_kernelI22helper_blocked_stripedN15benchmark_utils11custom_typeIiiEELj192ELj8ELj10EEvPKT0_PS4_
	.globl	_Z16sort_keys_kernelI22helper_blocked_stripedN15benchmark_utils11custom_typeIiiEELj192ELj8ELj10EEvPKT0_PS4_
	.p2align	8
	.type	_Z16sort_keys_kernelI22helper_blocked_stripedN15benchmark_utils11custom_typeIiiEELj192ELj8ELj10EEvPKT0_PS4_,@function
_Z16sort_keys_kernelI22helper_blocked_stripedN15benchmark_utils11custom_typeIiiEELj192ELj8ELj10EEvPKT0_PS4_: ; @_Z16sort_keys_kernelI22helper_blocked_stripedN15benchmark_utils11custom_typeIiiEELj192ELj8ELj10EEvPKT0_PS4_
; %bb.0:
	s_clause 0x1
	s_load_b128 s[16:19], s[0:1], 0x0
	s_load_b32 s2, s[0:1], 0x1c
	v_and_b32_e32 v19, 0x3ff, v0
	s_mov_b32 s21, 0
	s_mul_i32 s20, s15, 0x600
	v_mbcnt_lo_u32_b32 v20, -1, 0
	s_lshl_b64 s[22:23], s[20:21], 3
	v_lshlrev_b32_e32 v17, 6, v19
	v_and_b32_e32 v21, 0xe0, v19
	v_lshlrev_b32_e32 v34, 3, v19
	v_lshlrev_b32_e32 v41, 5, v19
	v_cmp_gt_u32_e64 s6, 6, v19
	v_cmp_lt_u32_e64 s7, 31, v19
	v_cmp_eq_u32_e64 s8, 0, v20
	v_and_b32_e32 v22, 0x700, v34
	v_mad_i32_i24 v48, 0xffffffe4, v19, v41
	v_or_b32_e32 v45, 24, v41
	v_cmp_eq_u32_e64 s9, 0, v19
	s_mov_b32 s20, s21
	v_or_b32_e32 v24, 0x60, v22
	s_waitcnt lgkmcnt(0)
	s_add_u32 s0, s16, s22
	s_addc_u32 s1, s17, s23
	v_or_b32_e32 v23, v20, v22
	s_clause 0x4
	global_load_b128 v[1:4], v17, s[0:1] offset:48
	global_load_b128 v[5:8], v17, s[0:1] offset:32
	;; [unrolled: 1-line block ×3, first 2 shown]
	global_load_b128 v[13:16], v17, s[0:1]
	global_load_b64 v[17:18], v17, s[0:1]
	s_waitcnt vmcnt(1)
	v_or_b32_e32 v13, v20, v21
	v_or_b32_e32 v26, 0x80, v22
	v_lshrrev_b32_e32 v24, 5, v24
	s_lshr_b32 s0, s2, 16
	v_lshrrev_b32_e32 v25, 5, v22
	v_lshlrev_b32_e32 v14, 1, v13
	s_mov_b32 s16, s21
	v_add_lshl_u32 v39, v24, v23, 3
	v_bfe_u32 v24, v0, 10, 10
	v_bfe_u32 v0, v0, 20, 10
	v_and_b32_e32 v14, 0x1f8, v14
	v_add_lshl_u32 v36, v25, v23, 3
	s_mov_b32 s17, s21
	s_mov_b32 s24, s21
	v_mad_u32_u24 v0, v0, s0, v24
	v_lshl_add_u32 v35, v13, 6, v14
	v_or_b32_e32 v13, 32, v22
	v_or_b32_e32 v14, 64, v22
	s_and_b32 s0, s2, 0xffff
	s_delay_alu instid0(VALU_DEP_2) | instskip(NEXT) | instid1(VALU_DEP_2)
	v_lshrrev_b32_e32 v13, 5, v13
	v_lshrrev_b32_e32 v14, 5, v14
	s_delay_alu instid0(VALU_DEP_2) | instskip(SKIP_1) | instid1(VALU_DEP_3)
	v_add_lshl_u32 v37, v13, v23, 3
	v_lshrrev_b32_e32 v13, 5, v26
	v_add_lshl_u32 v38, v14, v23, 3
	v_or_b32_e32 v14, 0xa0, v22
	s_delay_alu instid0(VALU_DEP_3) | instskip(SKIP_2) | instid1(VALU_DEP_4)
	v_add_lshl_u32 v40, v13, v23, 3
	v_or_b32_e32 v13, 0xc0, v22
	v_or_b32_e32 v22, 0xe0, v22
	v_lshrrev_b32_e32 v25, 5, v14
	s_delay_alu instid0(VALU_DEP_3) | instskip(SKIP_1) | instid1(VALU_DEP_4)
	v_lshrrev_b32_e32 v24, 5, v13
	v_mad_u64_u32 v[13:14], null, v0, s0, v[19:20]
	v_lshrrev_b32_e32 v0, 5, v22
	v_add_nc_u32_e32 v22, -1, v20
	v_and_b32_e32 v14, 15, v20
	v_add_lshl_u32 v42, v25, v23, 3
	v_add_lshl_u32 v43, v24, v23, 3
	;; [unrolled: 1-line block ×3, first 2 shown]
	v_min_u32_e32 v0, 0xa0, v21
	v_cmp_gt_i32_e32 vcc_lo, 0, v22
	v_cmp_eq_u32_e64 s0, 0, v14
	v_cmp_lt_u32_e64 s1, 1, v14
	v_cmp_lt_u32_e64 s2, 3, v14
	v_or_b32_e32 v0, 31, v0
	v_cmp_lt_u32_e64 s3, 7, v14
	v_cndmask_b32_e32 v14, v22, v20, vcc_lo
	v_and_b32_e32 v21, 16, v20
	v_lshrrev_b32_e32 v13, 5, v13
	v_cmp_eq_u32_e64 s5, v0, v19
	v_lshrrev_b32_e32 v0, 3, v19
	v_lshlrev_b32_e32 v46, 2, v14
	v_and_b32_e32 v14, 7, v20
	v_cmp_eq_u32_e64 s4, 0, v21
	s_delay_alu instid0(VALU_DEP_4) | instskip(SKIP_1) | instid1(VALU_DEP_4)
	v_and_b32_e32 v47, 28, v0
	v_lshlrev_b32_e32 v0, 2, v19
	v_cmp_eq_u32_e64 s10, 0, v14
	v_cmp_lt_u32_e64 s11, 1, v14
	v_cmp_lt_u32_e64 s12, 3, v14
	v_add_nc_u32_e32 v49, -4, v47
	v_add_nc_u32_e32 v50, v48, v0
	s_branch .LBB358_2
.LBB358_1:                              ;   in Loop: Header=BB358_2 Depth=1
	v_lshlrev_b32_e32 v0, 3, v63
	v_lshlrev_b32_e32 v1, 3, v61
	;; [unrolled: 1-line block ×3, first 2 shown]
	s_barrier
	buffer_gl0_inv
	ds_store_b64 v0, v[8:9]
	ds_store_b64 v1, v[24:25]
	;; [unrolled: 1-line block ×3, first 2 shown]
	v_lshlrev_b32_e32 v0, 3, v55
	v_lshlrev_b32_e32 v1, 3, v53
	;; [unrolled: 1-line block ×5, first 2 shown]
	ds_store_b64 v0, v[10:11]
	ds_store_b64 v1, v[20:21]
	;; [unrolled: 1-line block ×5, first 2 shown]
	s_waitcnt lgkmcnt(0)
	s_barrier
	buffer_gl0_inv
	ds_load_2addr_stride64_b64 v[0:3], v50 offset1:3
	ds_load_2addr_stride64_b64 v[4:7], v50 offset0:6 offset1:9
	ds_load_2addr_stride64_b64 v[19:22], v50 offset0:12 offset1:15
	;; [unrolled: 1-line block ×3, first 2 shown]
	s_add_i32 s24, s24, 1
	s_delay_alu instid0(SALU_CYCLE_1)
	s_cmp_eq_u32 s24, 10
	s_waitcnt lgkmcnt(3)
	v_xor_b32_e32 v17, 0x80000000, v0
	v_xor_b32_e32 v18, 0x80000000, v1
	v_xor_b32_e32 v15, 0x80000000, v2
	v_xor_b32_e32 v16, 0x80000000, v3
	s_waitcnt lgkmcnt(2)
	v_xor_b32_e32 v9, 0x80000000, v4
	v_xor_b32_e32 v10, 0x80000000, v5
	v_xor_b32_e32 v11, 0x80000000, v6
	v_xor_b32_e32 v12, 0x80000000, v7
	;; [unrolled: 5-line block ×4, first 2 shown]
	s_cbranch_scc1 .LBB358_28
.LBB358_2:                              ; =>This Loop Header: Depth=1
                                        ;     Child Loop BB358_4 Depth 2
	s_waitcnt vmcnt(0)
	v_xor_b32_e32 v18, 0x80000000, v18
	v_xor_b32_e32 v17, 0x80000000, v17
	;; [unrolled: 1-line block ×16, first 2 shown]
	ds_store_2addr_b64 v35, v[17:18], v[15:16] offset1:1
	ds_store_2addr_b64 v35, v[9:10], v[11:12] offset0:2 offset1:3
	ds_store_2addr_b64 v35, v[5:6], v[7:8] offset0:4 offset1:5
	;; [unrolled: 1-line block ×3, first 2 shown]
	; wave barrier
	ds_load_b64 v[32:33], v36
	ds_load_b64 v[0:1], v37 offset:256
	ds_load_b64 v[2:3], v38 offset:512
	;; [unrolled: 1-line block ×7, first 2 shown]
	s_mov_b32 s25, 8
	s_mov_b32 s26, 32
	;; [unrolled: 1-line block ×3, first 2 shown]
	s_waitcnt lgkmcnt(0)
	s_barrier
	buffer_gl0_inv
	; wave barrier
	s_barrier
	s_branch .LBB358_4
.LBB358_3:                              ;   in Loop: Header=BB358_4 Depth=2
	v_lshrrev_b32_e32 v0, 2, v63
	v_lshrrev_b32_e32 v1, 2, v61
	;; [unrolled: 1-line block ×5, first 2 shown]
	v_and_b32_e32 v0, 0x3ffffff8, v0
	v_and_b32_e32 v1, 0x3ffffff8, v1
	;; [unrolled: 1-line block ×3, first 2 shown]
	s_barrier
	buffer_gl0_inv
	v_lshl_add_u32 v0, v63, 3, v0
	v_lshl_add_u32 v1, v61, 3, v1
	;; [unrolled: 1-line block ×3, first 2 shown]
	v_and_b32_e32 v3, 0x3ffffff8, v3
	v_and_b32_e32 v4, 0x3ffffff8, v4
	ds_store_b64 v0, v[8:9]
	ds_store_b64 v1, v[24:25]
	;; [unrolled: 1-line block ×3, first 2 shown]
	v_lshrrev_b32_e32 v0, 2, v52
	v_lshrrev_b32_e32 v1, 2, v51
	;; [unrolled: 1-line block ×3, first 2 shown]
	v_lshl_add_u32 v3, v55, 3, v3
	v_lshl_add_u32 v4, v53, 3, v4
	v_and_b32_e32 v0, 0x3ffffff8, v0
	v_and_b32_e32 v1, 0x3ffffff8, v1
	;; [unrolled: 1-line block ×3, first 2 shown]
	s_add_i32 s26, s26, -8
	s_add_i32 s25, s25, 8
	v_lshl_add_u32 v0, v52, 3, v0
	v_lshl_add_u32 v1, v51, 3, v1
	;; [unrolled: 1-line block ×3, first 2 shown]
	ds_store_b64 v3, v[10:11]
	ds_store_b64 v4, v[20:21]
	;; [unrolled: 1-line block ×5, first 2 shown]
	s_waitcnt lgkmcnt(0)
	s_barrier
	buffer_gl0_inv
	ds_load_b64 v[32:33], v36
	ds_load_b64 v[0:1], v37 offset:256
	ds_load_b64 v[2:3], v38 offset:512
	;; [unrolled: 1-line block ×7, first 2 shown]
	s_add_i32 s27, s27, 8
	s_waitcnt lgkmcnt(0)
	s_barrier
	s_cbranch_execz .LBB358_1
.LBB358_4:                              ;   Parent Loop BB358_2 Depth=1
                                        ; =>  This Inner Loop Header: Depth=2
	s_min_i32 s14, s25, 32
	s_cmp_lt_u32 s27, 32
	v_dual_mov_b32 v8, v32 :: v_dual_mov_b32 v9, v33
	s_cselect_b32 vcc_lo, -1, 0
	s_cmp_gt_u32 s27, 24
	v_mov_b32_e32 v25, v1
	s_cselect_b32 s13, -1, 0
	s_sub_i32 s14, s14, 32
	v_lshrrev_b32_e32 v11, s27, v9
	s_add_i32 s15, s14, s26
	buffer_gl0_inv
	s_lshl_b32 s15, -1, s15
	v_mov_b32_e32 v24, v0
	s_not_b32 s15, s15
	s_cmp_lg_u32 s14, s27
	v_mov_b32_e32 v23, v3
	s_cselect_b32 s28, s15, -1
	s_max_i32 s29, s26, 0
	s_max_i32 s14, s27, 32
	v_and_b32_e32 v11, s28, v11
	s_sub_i32 s15, s14, s29
	s_sub_i32 s30, s14, 32
	;; [unrolled: 1-line block ×3, first 2 shown]
	v_lshrrev_b32_e32 v10, s30, v8
	s_min_i32 s14, s15, 32
	v_cndmask_b32_e32 v11, 0, v11, vcc_lo
	s_sub_i32 s14, s14, s30
	v_mov_b32_e32 v22, v2
	s_lshl_b32 s15, -1, s14
	s_delay_alu instid0(SALU_CYCLE_1) | instskip(SKIP_2) | instid1(SALU_CYCLE_1)
	s_not_b32 s15, s15
	s_cmp_lg_u32 s14, 32
	s_cselect_b32 s31, s15, -1
	v_and_b32_e32 v10, s31, v10
	s_delay_alu instid0(VALU_DEP_1) | instskip(NEXT) | instid1(VALU_DEP_1)
	v_lshlrev_b32_e32 v10, s29, v10
	v_cndmask_b32_e64 v10, 0, v10, s13
	s_delay_alu instid0(VALU_DEP_1) | instskip(NEXT) | instid1(VALU_DEP_1)
	v_or_b32_e32 v12, v11, v10
	v_and_b32_e32 v10, 1, v12
	v_lshlrev_b32_e32 v11, 30, v12
	v_lshlrev_b32_e32 v14, 29, v12
	;; [unrolled: 1-line block ×4, first 2 shown]
	v_add_co_u32 v10, s14, v10, -1
	s_delay_alu instid0(VALU_DEP_1)
	v_cndmask_b32_e64 v16, 0, 1, s14
	v_not_b32_e32 v20, v11
	v_cmp_gt_i32_e64 s15, 0, v11
	v_not_b32_e32 v11, v14
	v_lshlrev_b32_e32 v18, 26, v12
	v_cmp_ne_u32_e64 s14, 0, v16
	v_ashrrev_i32_e32 v20, 31, v20
	v_lshlrev_b32_e32 v19, 25, v12
	v_ashrrev_i32_e32 v11, 31, v11
	v_lshlrev_b32_e32 v16, 24, v12
	v_xor_b32_e32 v10, s14, v10
	v_xor_b32_e32 v20, s15, v20
	v_cmp_gt_i32_e64 s14, 0, v14
	v_not_b32_e32 v14, v15
	v_cmp_gt_i32_e64 s15, 0, v15
	v_and_b32_e32 v10, exec_lo, v10
	s_delay_alu instid0(VALU_DEP_4) | instskip(NEXT) | instid1(VALU_DEP_4)
	v_xor_b32_e32 v11, s14, v11
	v_ashrrev_i32_e32 v14, 31, v14
	s_delay_alu instid0(VALU_DEP_3)
	v_dual_mov_b32 v21, v5 :: v_dual_and_b32 v10, v10, v20
	v_mov_b32_e32 v20, v4
	v_not_b32_e32 v15, v17
	v_cmp_gt_i32_e64 s14, 0, v17
	v_not_b32_e32 v17, v18
	v_xor_b32_e32 v14, s15, v14
	v_dual_mov_b32 v3, s16 :: v_dual_and_b32 v10, v10, v11
	v_ashrrev_i32_e32 v15, 31, v15
	v_cmp_gt_i32_e64 s15, 0, v18
	v_not_b32_e32 v11, v19
	v_ashrrev_i32_e32 v17, 31, v17
	v_and_b32_e32 v10, v10, v14
	v_xor_b32_e32 v15, s14, v15
	v_cmp_gt_i32_e64 s14, 0, v19
	v_not_b32_e32 v14, v16
	v_ashrrev_i32_e32 v11, 31, v11
	v_xor_b32_e32 v17, s15, v17
	v_and_b32_e32 v10, v10, v15
	v_cmp_gt_i32_e64 s15, 0, v16
	v_ashrrev_i32_e32 v14, 31, v14
	v_xor_b32_e32 v15, s14, v11
	v_mov_b32_e32 v18, v26
	v_dual_mov_b32 v11, v7 :: v_dual_and_b32 v16, v10, v17
	s_delay_alu instid0(VALU_DEP_4) | instskip(SKIP_1) | instid1(VALU_DEP_3)
	v_xor_b32_e32 v0, s15, v14
	v_dual_mov_b32 v10, v6 :: v_dual_mov_b32 v19, v27
	v_dual_mov_b32 v14, v30 :: v_dual_and_b32 v1, v16, v15
	v_dual_mov_b32 v16, v28 :: v_dual_mov_b32 v17, v29
	s_delay_alu instid0(VALU_DEP_2) | instskip(NEXT) | instid1(VALU_DEP_3)
	v_dual_mov_b32 v15, v31 :: v_dual_and_b32 v0, v1, v0
	v_mad_u64_u32 v[5:6], null, v12, 6, v[13:14]
	v_dual_mov_b32 v1, s20 :: v_dual_mov_b32 v2, s21
	s_delay_alu instid0(VALU_DEP_3)
	v_mbcnt_lo_u32_b32 v12, v0, 0
	v_cmp_ne_u32_e64 s15, 0, v0
	v_mov_b32_e32 v4, s17
	ds_store_2addr_b64 v41, v[1:2], v[3:4] offset0:3 offset1:4
	ds_store_2addr_b64 v45, v[1:2], v[3:4] offset0:2 offset1:3
	v_cmp_eq_u32_e64 s14, 0, v12
	v_lshl_add_u32 v26, v5, 2, 24
	s_waitcnt lgkmcnt(0)
	s_barrier
	buffer_gl0_inv
	s_and_b32 s15, s14, s15
	; wave barrier
	s_delay_alu instid0(SALU_CYCLE_1)
	s_and_saveexec_b32 s14, s15
	s_cbranch_execz .LBB358_6
; %bb.5:                                ;   in Loop: Header=BB358_4 Depth=2
	v_bcnt_u32_b32 v0, v0, 0
	ds_store_b32 v26, v0
.LBB358_6:                              ;   in Loop: Header=BB358_4 Depth=2
	s_or_b32 exec_lo, exec_lo, s14
	v_lshrrev_b32_e32 v0, s30, v24
	v_lshrrev_b32_e32 v1, s27, v25
	; wave barrier
	s_delay_alu instid0(VALU_DEP_1) | instskip(NEXT) | instid1(VALU_DEP_1)
	v_and_b32_e32 v1, s28, v1
	v_dual_cndmask_b32 v1, 0, v1 :: v_dual_and_b32 v0, s31, v0
	s_delay_alu instid0(VALU_DEP_1) | instskip(NEXT) | instid1(VALU_DEP_1)
	v_lshlrev_b32_e32 v0, s29, v0
	v_cndmask_b32_e64 v0, 0, v0, s13
	s_delay_alu instid0(VALU_DEP_1) | instskip(NEXT) | instid1(VALU_DEP_1)
	v_or_b32_e32 v0, v1, v0
	v_and_b32_e32 v2, 1, v0
	v_lshlrev_b32_e32 v3, 30, v0
	v_lshlrev_b32_e32 v4, 29, v0
	;; [unrolled: 1-line block ×4, first 2 shown]
	v_add_co_u32 v2, s14, v2, -1
	s_delay_alu instid0(VALU_DEP_1)
	v_cndmask_b32_e64 v6, 0, 1, s14
	v_not_b32_e32 v29, v3
	v_cmp_gt_i32_e64 s15, 0, v3
	v_not_b32_e32 v3, v4
	v_lshlrev_b32_e32 v27, 26, v0
	v_cmp_ne_u32_e64 s14, 0, v6
	v_ashrrev_i32_e32 v6, 31, v29
	v_lshlrev_b32_e32 v28, 25, v0
	v_ashrrev_i32_e32 v3, 31, v3
	v_mul_lo_u32 v1, v0, 6
	v_xor_b32_e32 v2, s14, v2
	v_cmp_gt_i32_e64 s14, 0, v4
	v_not_b32_e32 v4, v5
	v_xor_b32_e32 v6, s15, v6
	v_cmp_gt_i32_e64 s15, 0, v5
	v_and_b32_e32 v2, exec_lo, v2
	v_not_b32_e32 v5, v7
	v_ashrrev_i32_e32 v4, 31, v4
	v_xor_b32_e32 v3, s14, v3
	v_cmp_gt_i32_e64 s14, 0, v7
	v_and_b32_e32 v2, v2, v6
	v_not_b32_e32 v6, v27
	v_ashrrev_i32_e32 v5, 31, v5
	v_xor_b32_e32 v4, s15, v4
	v_lshlrev_b32_e32 v0, 24, v0
	v_and_b32_e32 v2, v2, v3
	v_cmp_gt_i32_e64 s15, 0, v27
	v_not_b32_e32 v3, v28
	v_ashrrev_i32_e32 v6, 31, v6
	v_xor_b32_e32 v5, s14, v5
	v_and_b32_e32 v2, v2, v4
	v_cmp_gt_i32_e64 s14, 0, v28
	v_not_b32_e32 v4, v0
	v_ashrrev_i32_e32 v3, 31, v3
	v_xor_b32_e32 v6, s15, v6
	v_and_b32_e32 v2, v2, v5
	v_cmp_gt_i32_e64 s15, 0, v0
	v_ashrrev_i32_e32 v0, 31, v4
	v_xor_b32_e32 v3, s14, v3
	v_add_lshl_u32 v1, v1, v13, 2
	v_and_b32_e32 v2, v2, v6
	s_delay_alu instid0(VALU_DEP_4) | instskip(SKIP_3) | instid1(VALU_DEP_2)
	v_xor_b32_e32 v0, s15, v0
	ds_load_b32 v27, v1 offset:24
	v_and_b32_e32 v2, v2, v3
	v_add_nc_u32_e32 v29, 24, v1
	; wave barrier
	v_and_b32_e32 v0, v2, v0
	s_delay_alu instid0(VALU_DEP_1) | instskip(SKIP_1) | instid1(VALU_DEP_2)
	v_mbcnt_lo_u32_b32 v28, v0, 0
	v_cmp_ne_u32_e64 s15, 0, v0
	v_cmp_eq_u32_e64 s14, 0, v28
	s_delay_alu instid0(VALU_DEP_1) | instskip(NEXT) | instid1(SALU_CYCLE_1)
	s_and_b32 s15, s14, s15
	s_and_saveexec_b32 s14, s15
	s_cbranch_execz .LBB358_8
; %bb.7:                                ;   in Loop: Header=BB358_4 Depth=2
	s_waitcnt lgkmcnt(0)
	v_bcnt_u32_b32 v0, v0, v27
	ds_store_b32 v29, v0
.LBB358_8:                              ;   in Loop: Header=BB358_4 Depth=2
	s_or_b32 exec_lo, exec_lo, s14
	v_lshrrev_b32_e32 v0, s30, v22
	v_lshrrev_b32_e32 v1, s27, v23
	; wave barrier
	s_delay_alu instid0(VALU_DEP_1) | instskip(NEXT) | instid1(VALU_DEP_1)
	v_and_b32_e32 v1, s28, v1
	v_dual_cndmask_b32 v1, 0, v1 :: v_dual_and_b32 v0, s31, v0
	s_delay_alu instid0(VALU_DEP_1) | instskip(NEXT) | instid1(VALU_DEP_1)
	v_lshlrev_b32_e32 v0, s29, v0
	v_cndmask_b32_e64 v0, 0, v0, s13
	s_delay_alu instid0(VALU_DEP_1) | instskip(NEXT) | instid1(VALU_DEP_1)
	v_or_b32_e32 v0, v1, v0
	v_and_b32_e32 v2, 1, v0
	v_lshlrev_b32_e32 v3, 30, v0
	v_lshlrev_b32_e32 v4, 29, v0
	;; [unrolled: 1-line block ×4, first 2 shown]
	v_add_co_u32 v2, s14, v2, -1
	s_delay_alu instid0(VALU_DEP_1)
	v_cndmask_b32_e64 v6, 0, 1, s14
	v_not_b32_e32 v32, v3
	v_cmp_gt_i32_e64 s15, 0, v3
	v_not_b32_e32 v3, v4
	v_lshlrev_b32_e32 v30, 26, v0
	v_cmp_ne_u32_e64 s14, 0, v6
	v_ashrrev_i32_e32 v6, 31, v32
	v_lshlrev_b32_e32 v31, 25, v0
	v_ashrrev_i32_e32 v3, 31, v3
	v_mul_lo_u32 v1, v0, 6
	v_xor_b32_e32 v2, s14, v2
	v_cmp_gt_i32_e64 s14, 0, v4
	v_not_b32_e32 v4, v5
	v_xor_b32_e32 v6, s15, v6
	v_cmp_gt_i32_e64 s15, 0, v5
	v_and_b32_e32 v2, exec_lo, v2
	v_not_b32_e32 v5, v7
	v_ashrrev_i32_e32 v4, 31, v4
	v_xor_b32_e32 v3, s14, v3
	v_cmp_gt_i32_e64 s14, 0, v7
	v_and_b32_e32 v2, v2, v6
	v_not_b32_e32 v6, v30
	v_ashrrev_i32_e32 v5, 31, v5
	v_xor_b32_e32 v4, s15, v4
	v_lshlrev_b32_e32 v0, 24, v0
	v_and_b32_e32 v2, v2, v3
	v_cmp_gt_i32_e64 s15, 0, v30
	v_not_b32_e32 v3, v31
	v_ashrrev_i32_e32 v6, 31, v6
	v_xor_b32_e32 v5, s14, v5
	v_and_b32_e32 v2, v2, v4
	v_cmp_gt_i32_e64 s14, 0, v31
	v_not_b32_e32 v4, v0
	v_ashrrev_i32_e32 v3, 31, v3
	v_xor_b32_e32 v6, s15, v6
	v_and_b32_e32 v2, v2, v5
	v_cmp_gt_i32_e64 s15, 0, v0
	v_ashrrev_i32_e32 v0, 31, v4
	v_xor_b32_e32 v3, s14, v3
	v_add_lshl_u32 v1, v1, v13, 2
	v_and_b32_e32 v2, v2, v6
	s_delay_alu instid0(VALU_DEP_4) | instskip(SKIP_3) | instid1(VALU_DEP_2)
	v_xor_b32_e32 v0, s15, v0
	ds_load_b32 v30, v1 offset:24
	v_and_b32_e32 v2, v2, v3
	v_add_nc_u32_e32 v32, 24, v1
	; wave barrier
	v_and_b32_e32 v0, v2, v0
	s_delay_alu instid0(VALU_DEP_1) | instskip(SKIP_1) | instid1(VALU_DEP_2)
	v_mbcnt_lo_u32_b32 v31, v0, 0
	v_cmp_ne_u32_e64 s15, 0, v0
	v_cmp_eq_u32_e64 s14, 0, v31
	s_delay_alu instid0(VALU_DEP_1) | instskip(NEXT) | instid1(SALU_CYCLE_1)
	s_and_b32 s15, s14, s15
	s_and_saveexec_b32 s14, s15
	s_cbranch_execz .LBB358_10
; %bb.9:                                ;   in Loop: Header=BB358_4 Depth=2
	s_waitcnt lgkmcnt(0)
	v_bcnt_u32_b32 v0, v0, v30
	ds_store_b32 v32, v0
.LBB358_10:                             ;   in Loop: Header=BB358_4 Depth=2
	s_or_b32 exec_lo, exec_lo, s14
	v_lshrrev_b32_e32 v0, s30, v10
	v_lshrrev_b32_e32 v1, s27, v11
	; wave barrier
	s_delay_alu instid0(VALU_DEP_1) | instskip(NEXT) | instid1(VALU_DEP_1)
	v_and_b32_e32 v1, s28, v1
	v_dual_cndmask_b32 v1, 0, v1 :: v_dual_and_b32 v0, s31, v0
	s_delay_alu instid0(VALU_DEP_1) | instskip(NEXT) | instid1(VALU_DEP_1)
	v_lshlrev_b32_e32 v0, s29, v0
	v_cndmask_b32_e64 v0, 0, v0, s13
	s_delay_alu instid0(VALU_DEP_1) | instskip(NEXT) | instid1(VALU_DEP_1)
	v_or_b32_e32 v0, v1, v0
	v_and_b32_e32 v2, 1, v0
	v_lshlrev_b32_e32 v3, 30, v0
	v_lshlrev_b32_e32 v4, 29, v0
	;; [unrolled: 1-line block ×4, first 2 shown]
	v_add_co_u32 v2, s14, v2, -1
	s_delay_alu instid0(VALU_DEP_1)
	v_cndmask_b32_e64 v6, 0, 1, s14
	v_not_b32_e32 v52, v3
	v_cmp_gt_i32_e64 s15, 0, v3
	v_not_b32_e32 v3, v4
	v_lshlrev_b32_e32 v33, 26, v0
	v_cmp_ne_u32_e64 s14, 0, v6
	v_ashrrev_i32_e32 v6, 31, v52
	v_lshlrev_b32_e32 v51, 25, v0
	v_ashrrev_i32_e32 v3, 31, v3
	v_mul_lo_u32 v1, v0, 6
	v_xor_b32_e32 v2, s14, v2
	v_cmp_gt_i32_e64 s14, 0, v4
	v_not_b32_e32 v4, v5
	v_xor_b32_e32 v6, s15, v6
	v_cmp_gt_i32_e64 s15, 0, v5
	v_and_b32_e32 v2, exec_lo, v2
	v_not_b32_e32 v5, v7
	v_ashrrev_i32_e32 v4, 31, v4
	v_xor_b32_e32 v3, s14, v3
	v_cmp_gt_i32_e64 s14, 0, v7
	v_and_b32_e32 v2, v2, v6
	v_not_b32_e32 v6, v33
	v_ashrrev_i32_e32 v5, 31, v5
	v_xor_b32_e32 v4, s15, v4
	v_lshlrev_b32_e32 v0, 24, v0
	v_and_b32_e32 v2, v2, v3
	v_cmp_gt_i32_e64 s15, 0, v33
	v_not_b32_e32 v3, v51
	v_ashrrev_i32_e32 v6, 31, v6
	v_xor_b32_e32 v5, s14, v5
	v_and_b32_e32 v2, v2, v4
	v_cmp_gt_i32_e64 s14, 0, v51
	v_not_b32_e32 v4, v0
	v_ashrrev_i32_e32 v3, 31, v3
	v_xor_b32_e32 v6, s15, v6
	v_and_b32_e32 v2, v2, v5
	v_cmp_gt_i32_e64 s15, 0, v0
	v_ashrrev_i32_e32 v0, 31, v4
	v_xor_b32_e32 v3, s14, v3
	v_add_lshl_u32 v1, v1, v13, 2
	v_and_b32_e32 v2, v2, v6
	s_delay_alu instid0(VALU_DEP_4) | instskip(SKIP_3) | instid1(VALU_DEP_2)
	v_xor_b32_e32 v0, s15, v0
	ds_load_b32 v33, v1 offset:24
	v_and_b32_e32 v2, v2, v3
	v_add_nc_u32_e32 v52, 24, v1
	; wave barrier
	v_and_b32_e32 v0, v2, v0
	s_delay_alu instid0(VALU_DEP_1) | instskip(SKIP_1) | instid1(VALU_DEP_2)
	v_mbcnt_lo_u32_b32 v51, v0, 0
	v_cmp_ne_u32_e64 s15, 0, v0
	v_cmp_eq_u32_e64 s14, 0, v51
	s_delay_alu instid0(VALU_DEP_1) | instskip(NEXT) | instid1(SALU_CYCLE_1)
	s_and_b32 s15, s14, s15
	s_and_saveexec_b32 s14, s15
	s_cbranch_execz .LBB358_12
; %bb.11:                               ;   in Loop: Header=BB358_4 Depth=2
	s_waitcnt lgkmcnt(0)
	v_bcnt_u32_b32 v0, v0, v33
	ds_store_b32 v52, v0
.LBB358_12:                             ;   in Loop: Header=BB358_4 Depth=2
	s_or_b32 exec_lo, exec_lo, s14
	v_lshrrev_b32_e32 v0, s30, v20
	v_lshrrev_b32_e32 v1, s27, v21
	; wave barrier
	s_delay_alu instid0(VALU_DEP_1) | instskip(NEXT) | instid1(VALU_DEP_1)
	v_and_b32_e32 v1, s28, v1
	v_dual_cndmask_b32 v1, 0, v1 :: v_dual_and_b32 v0, s31, v0
	s_delay_alu instid0(VALU_DEP_1) | instskip(NEXT) | instid1(VALU_DEP_1)
	v_lshlrev_b32_e32 v0, s29, v0
	v_cndmask_b32_e64 v0, 0, v0, s13
	s_delay_alu instid0(VALU_DEP_1) | instskip(NEXT) | instid1(VALU_DEP_1)
	v_or_b32_e32 v0, v1, v0
	v_and_b32_e32 v2, 1, v0
	v_lshlrev_b32_e32 v3, 30, v0
	v_lshlrev_b32_e32 v4, 29, v0
	;; [unrolled: 1-line block ×4, first 2 shown]
	v_add_co_u32 v2, s14, v2, -1
	s_delay_alu instid0(VALU_DEP_1)
	v_cndmask_b32_e64 v6, 0, 1, s14
	v_not_b32_e32 v55, v3
	v_cmp_gt_i32_e64 s15, 0, v3
	v_not_b32_e32 v3, v4
	v_lshlrev_b32_e32 v53, 26, v0
	v_cmp_ne_u32_e64 s14, 0, v6
	v_ashrrev_i32_e32 v6, 31, v55
	v_lshlrev_b32_e32 v54, 25, v0
	v_ashrrev_i32_e32 v3, 31, v3
	v_mul_lo_u32 v1, v0, 6
	v_xor_b32_e32 v2, s14, v2
	v_cmp_gt_i32_e64 s14, 0, v4
	v_not_b32_e32 v4, v5
	v_xor_b32_e32 v6, s15, v6
	v_cmp_gt_i32_e64 s15, 0, v5
	v_and_b32_e32 v2, exec_lo, v2
	v_not_b32_e32 v5, v7
	v_ashrrev_i32_e32 v4, 31, v4
	v_xor_b32_e32 v3, s14, v3
	v_cmp_gt_i32_e64 s14, 0, v7
	v_and_b32_e32 v2, v2, v6
	v_not_b32_e32 v6, v53
	v_ashrrev_i32_e32 v5, 31, v5
	v_xor_b32_e32 v4, s15, v4
	v_lshlrev_b32_e32 v0, 24, v0
	v_and_b32_e32 v2, v2, v3
	v_cmp_gt_i32_e64 s15, 0, v53
	v_not_b32_e32 v3, v54
	v_ashrrev_i32_e32 v6, 31, v6
	v_xor_b32_e32 v5, s14, v5
	v_and_b32_e32 v2, v2, v4
	v_cmp_gt_i32_e64 s14, 0, v54
	v_not_b32_e32 v4, v0
	v_ashrrev_i32_e32 v3, 31, v3
	v_xor_b32_e32 v6, s15, v6
	v_and_b32_e32 v2, v2, v5
	v_cmp_gt_i32_e64 s15, 0, v0
	v_ashrrev_i32_e32 v0, 31, v4
	v_xor_b32_e32 v3, s14, v3
	v_add_lshl_u32 v1, v1, v13, 2
	v_and_b32_e32 v2, v2, v6
	s_delay_alu instid0(VALU_DEP_4) | instskip(SKIP_3) | instid1(VALU_DEP_2)
	v_xor_b32_e32 v0, s15, v0
	ds_load_b32 v53, v1 offset:24
	v_and_b32_e32 v2, v2, v3
	v_add_nc_u32_e32 v55, 24, v1
	; wave barrier
	v_and_b32_e32 v0, v2, v0
	s_delay_alu instid0(VALU_DEP_1) | instskip(SKIP_1) | instid1(VALU_DEP_2)
	v_mbcnt_lo_u32_b32 v54, v0, 0
	v_cmp_ne_u32_e64 s15, 0, v0
	v_cmp_eq_u32_e64 s14, 0, v54
	s_delay_alu instid0(VALU_DEP_1) | instskip(NEXT) | instid1(SALU_CYCLE_1)
	s_and_b32 s15, s14, s15
	s_and_saveexec_b32 s14, s15
	s_cbranch_execz .LBB358_14
; %bb.13:                               ;   in Loop: Header=BB358_4 Depth=2
	s_waitcnt lgkmcnt(0)
	v_bcnt_u32_b32 v0, v0, v53
	ds_store_b32 v55, v0
.LBB358_14:                             ;   in Loop: Header=BB358_4 Depth=2
	s_or_b32 exec_lo, exec_lo, s14
	v_lshrrev_b32_e32 v0, s30, v18
	v_lshrrev_b32_e32 v1, s27, v19
	; wave barrier
	s_delay_alu instid0(VALU_DEP_1) | instskip(NEXT) | instid1(VALU_DEP_1)
	v_and_b32_e32 v1, s28, v1
	v_dual_cndmask_b32 v1, 0, v1 :: v_dual_and_b32 v0, s31, v0
	s_delay_alu instid0(VALU_DEP_1) | instskip(NEXT) | instid1(VALU_DEP_1)
	v_lshlrev_b32_e32 v0, s29, v0
	v_cndmask_b32_e64 v0, 0, v0, s13
	s_delay_alu instid0(VALU_DEP_1) | instskip(NEXT) | instid1(VALU_DEP_1)
	v_or_b32_e32 v0, v1, v0
	v_and_b32_e32 v2, 1, v0
	v_lshlrev_b32_e32 v3, 30, v0
	v_lshlrev_b32_e32 v4, 29, v0
	;; [unrolled: 1-line block ×4, first 2 shown]
	v_add_co_u32 v2, s14, v2, -1
	s_delay_alu instid0(VALU_DEP_1)
	v_cndmask_b32_e64 v6, 0, 1, s14
	v_not_b32_e32 v58, v3
	v_cmp_gt_i32_e64 s15, 0, v3
	v_not_b32_e32 v3, v4
	v_lshlrev_b32_e32 v56, 26, v0
	v_cmp_ne_u32_e64 s14, 0, v6
	v_ashrrev_i32_e32 v6, 31, v58
	v_lshlrev_b32_e32 v57, 25, v0
	v_ashrrev_i32_e32 v3, 31, v3
	v_mul_lo_u32 v1, v0, 6
	v_xor_b32_e32 v2, s14, v2
	v_cmp_gt_i32_e64 s14, 0, v4
	v_not_b32_e32 v4, v5
	v_xor_b32_e32 v6, s15, v6
	v_cmp_gt_i32_e64 s15, 0, v5
	v_and_b32_e32 v2, exec_lo, v2
	v_not_b32_e32 v5, v7
	v_ashrrev_i32_e32 v4, 31, v4
	v_xor_b32_e32 v3, s14, v3
	v_cmp_gt_i32_e64 s14, 0, v7
	v_and_b32_e32 v2, v2, v6
	v_not_b32_e32 v6, v56
	v_ashrrev_i32_e32 v5, 31, v5
	v_xor_b32_e32 v4, s15, v4
	v_lshlrev_b32_e32 v0, 24, v0
	v_and_b32_e32 v2, v2, v3
	v_cmp_gt_i32_e64 s15, 0, v56
	v_not_b32_e32 v3, v57
	v_ashrrev_i32_e32 v6, 31, v6
	v_xor_b32_e32 v5, s14, v5
	v_and_b32_e32 v2, v2, v4
	v_cmp_gt_i32_e64 s14, 0, v57
	v_not_b32_e32 v4, v0
	v_ashrrev_i32_e32 v3, 31, v3
	v_xor_b32_e32 v6, s15, v6
	v_and_b32_e32 v2, v2, v5
	v_cmp_gt_i32_e64 s15, 0, v0
	v_ashrrev_i32_e32 v0, 31, v4
	v_xor_b32_e32 v3, s14, v3
	v_add_lshl_u32 v1, v1, v13, 2
	v_and_b32_e32 v2, v2, v6
	s_delay_alu instid0(VALU_DEP_4) | instskip(SKIP_3) | instid1(VALU_DEP_2)
	v_xor_b32_e32 v0, s15, v0
	ds_load_b32 v56, v1 offset:24
	v_and_b32_e32 v2, v2, v3
	v_add_nc_u32_e32 v58, 24, v1
	; wave barrier
	v_and_b32_e32 v0, v2, v0
	s_delay_alu instid0(VALU_DEP_1) | instskip(SKIP_1) | instid1(VALU_DEP_2)
	v_mbcnt_lo_u32_b32 v57, v0, 0
	v_cmp_ne_u32_e64 s15, 0, v0
	v_cmp_eq_u32_e64 s14, 0, v57
	s_delay_alu instid0(VALU_DEP_1) | instskip(NEXT) | instid1(SALU_CYCLE_1)
	s_and_b32 s15, s14, s15
	s_and_saveexec_b32 s14, s15
	s_cbranch_execz .LBB358_16
; %bb.15:                               ;   in Loop: Header=BB358_4 Depth=2
	s_waitcnt lgkmcnt(0)
	v_bcnt_u32_b32 v0, v0, v56
	ds_store_b32 v58, v0
.LBB358_16:                             ;   in Loop: Header=BB358_4 Depth=2
	s_or_b32 exec_lo, exec_lo, s14
	v_lshrrev_b32_e32 v0, s30, v16
	v_lshrrev_b32_e32 v1, s27, v17
	; wave barrier
	s_delay_alu instid0(VALU_DEP_1) | instskip(NEXT) | instid1(VALU_DEP_1)
	v_and_b32_e32 v1, s28, v1
	v_dual_cndmask_b32 v1, 0, v1 :: v_dual_and_b32 v0, s31, v0
	s_delay_alu instid0(VALU_DEP_1) | instskip(NEXT) | instid1(VALU_DEP_1)
	v_lshlrev_b32_e32 v0, s29, v0
	v_cndmask_b32_e64 v0, 0, v0, s13
	s_delay_alu instid0(VALU_DEP_1) | instskip(NEXT) | instid1(VALU_DEP_1)
	v_or_b32_e32 v0, v1, v0
	v_and_b32_e32 v2, 1, v0
	v_lshlrev_b32_e32 v3, 30, v0
	v_lshlrev_b32_e32 v4, 29, v0
	;; [unrolled: 1-line block ×4, first 2 shown]
	v_add_co_u32 v2, s14, v2, -1
	s_delay_alu instid0(VALU_DEP_1)
	v_cndmask_b32_e64 v6, 0, 1, s14
	v_not_b32_e32 v61, v3
	v_cmp_gt_i32_e64 s15, 0, v3
	v_not_b32_e32 v3, v4
	v_lshlrev_b32_e32 v59, 26, v0
	v_cmp_ne_u32_e64 s14, 0, v6
	v_ashrrev_i32_e32 v6, 31, v61
	v_lshlrev_b32_e32 v60, 25, v0
	v_ashrrev_i32_e32 v3, 31, v3
	v_mul_lo_u32 v1, v0, 6
	v_xor_b32_e32 v2, s14, v2
	v_cmp_gt_i32_e64 s14, 0, v4
	v_not_b32_e32 v4, v5
	v_xor_b32_e32 v6, s15, v6
	v_cmp_gt_i32_e64 s15, 0, v5
	v_and_b32_e32 v2, exec_lo, v2
	v_not_b32_e32 v5, v7
	v_ashrrev_i32_e32 v4, 31, v4
	v_xor_b32_e32 v3, s14, v3
	v_cmp_gt_i32_e64 s14, 0, v7
	v_and_b32_e32 v2, v2, v6
	v_not_b32_e32 v6, v59
	v_ashrrev_i32_e32 v5, 31, v5
	v_xor_b32_e32 v4, s15, v4
	v_lshlrev_b32_e32 v0, 24, v0
	v_and_b32_e32 v2, v2, v3
	v_cmp_gt_i32_e64 s15, 0, v59
	v_not_b32_e32 v3, v60
	v_ashrrev_i32_e32 v6, 31, v6
	v_xor_b32_e32 v5, s14, v5
	v_and_b32_e32 v2, v2, v4
	v_cmp_gt_i32_e64 s14, 0, v60
	v_not_b32_e32 v4, v0
	v_ashrrev_i32_e32 v3, 31, v3
	v_xor_b32_e32 v6, s15, v6
	v_and_b32_e32 v2, v2, v5
	v_cmp_gt_i32_e64 s15, 0, v0
	v_ashrrev_i32_e32 v0, 31, v4
	v_xor_b32_e32 v3, s14, v3
	v_add_lshl_u32 v1, v1, v13, 2
	v_and_b32_e32 v2, v2, v6
	s_delay_alu instid0(VALU_DEP_4) | instskip(SKIP_3) | instid1(VALU_DEP_2)
	v_xor_b32_e32 v0, s15, v0
	ds_load_b32 v59, v1 offset:24
	v_and_b32_e32 v2, v2, v3
	v_add_nc_u32_e32 v61, 24, v1
	; wave barrier
	v_and_b32_e32 v0, v2, v0
	s_delay_alu instid0(VALU_DEP_1) | instskip(SKIP_1) | instid1(VALU_DEP_2)
	v_mbcnt_lo_u32_b32 v60, v0, 0
	v_cmp_ne_u32_e64 s15, 0, v0
	v_cmp_eq_u32_e64 s14, 0, v60
	s_delay_alu instid0(VALU_DEP_1) | instskip(NEXT) | instid1(SALU_CYCLE_1)
	s_and_b32 s15, s14, s15
	s_and_saveexec_b32 s14, s15
	s_cbranch_execz .LBB358_18
; %bb.17:                               ;   in Loop: Header=BB358_4 Depth=2
	s_waitcnt lgkmcnt(0)
	v_bcnt_u32_b32 v0, v0, v59
	ds_store_b32 v61, v0
.LBB358_18:                             ;   in Loop: Header=BB358_4 Depth=2
	s_or_b32 exec_lo, exec_lo, s14
	v_lshrrev_b32_e32 v0, s30, v14
	v_lshrrev_b32_e32 v1, s27, v15
	; wave barrier
	s_delay_alu instid0(VALU_DEP_1) | instskip(NEXT) | instid1(VALU_DEP_1)
	v_and_b32_e32 v1, s28, v1
	v_dual_cndmask_b32 v1, 0, v1 :: v_dual_and_b32 v0, s31, v0
	s_delay_alu instid0(VALU_DEP_1) | instskip(NEXT) | instid1(VALU_DEP_1)
	v_lshlrev_b32_e32 v0, s29, v0
	v_cndmask_b32_e64 v0, 0, v0, s13
	s_delay_alu instid0(VALU_DEP_1) | instskip(NEXT) | instid1(VALU_DEP_1)
	v_or_b32_e32 v0, v1, v0
	v_and_b32_e32 v2, 1, v0
	v_lshlrev_b32_e32 v3, 30, v0
	v_lshlrev_b32_e32 v4, 29, v0
	v_lshlrev_b32_e32 v5, 28, v0
	v_lshlrev_b32_e32 v7, 27, v0
	v_add_co_u32 v2, s13, v2, -1
	s_delay_alu instid0(VALU_DEP_1)
	v_cndmask_b32_e64 v6, 0, 1, s13
	v_not_b32_e32 v64, v3
	v_cmp_gt_i32_e64 s13, 0, v3
	v_not_b32_e32 v3, v4
	v_lshlrev_b32_e32 v62, 26, v0
	v_cmp_ne_u32_e32 vcc_lo, 0, v6
	v_ashrrev_i32_e32 v6, 31, v64
	v_lshlrev_b32_e32 v63, 25, v0
	v_ashrrev_i32_e32 v3, 31, v3
	v_mul_lo_u32 v1, v0, 6
	v_xor_b32_e32 v2, vcc_lo, v2
	v_cmp_gt_i32_e32 vcc_lo, 0, v4
	v_not_b32_e32 v4, v5
	v_xor_b32_e32 v6, s13, v6
	v_cmp_gt_i32_e64 s13, 0, v5
	v_and_b32_e32 v2, exec_lo, v2
	v_not_b32_e32 v5, v7
	v_ashrrev_i32_e32 v4, 31, v4
	v_xor_b32_e32 v3, vcc_lo, v3
	v_cmp_gt_i32_e32 vcc_lo, 0, v7
	v_and_b32_e32 v2, v2, v6
	v_not_b32_e32 v6, v62
	v_ashrrev_i32_e32 v5, 31, v5
	v_xor_b32_e32 v4, s13, v4
	v_lshlrev_b32_e32 v0, 24, v0
	v_and_b32_e32 v2, v2, v3
	v_cmp_gt_i32_e64 s13, 0, v62
	v_not_b32_e32 v3, v63
	v_ashrrev_i32_e32 v6, 31, v6
	v_xor_b32_e32 v5, vcc_lo, v5
	v_and_b32_e32 v2, v2, v4
	v_cmp_gt_i32_e32 vcc_lo, 0, v63
	v_not_b32_e32 v4, v0
	v_ashrrev_i32_e32 v3, 31, v3
	v_xor_b32_e32 v6, s13, v6
	v_and_b32_e32 v2, v2, v5
	v_cmp_gt_i32_e64 s13, 0, v0
	v_ashrrev_i32_e32 v0, 31, v4
	v_xor_b32_e32 v3, vcc_lo, v3
	v_add_lshl_u32 v1, v1, v13, 2
	v_and_b32_e32 v2, v2, v6
	s_delay_alu instid0(VALU_DEP_4) | instskip(SKIP_3) | instid1(VALU_DEP_2)
	v_xor_b32_e32 v0, s13, v0
	ds_load_b32 v62, v1 offset:24
	v_and_b32_e32 v2, v2, v3
	v_add_nc_u32_e32 v63, 24, v1
	; wave barrier
	v_and_b32_e32 v0, v2, v0
	s_delay_alu instid0(VALU_DEP_1) | instskip(SKIP_1) | instid1(VALU_DEP_2)
	v_mbcnt_lo_u32_b32 v64, v0, 0
	v_cmp_ne_u32_e64 s13, 0, v0
	v_cmp_eq_u32_e32 vcc_lo, 0, v64
	s_delay_alu instid0(VALU_DEP_2) | instskip(NEXT) | instid1(SALU_CYCLE_1)
	s_and_b32 s14, vcc_lo, s13
	s_and_saveexec_b32 s13, s14
	s_cbranch_execz .LBB358_20
; %bb.19:                               ;   in Loop: Header=BB358_4 Depth=2
	s_waitcnt lgkmcnt(0)
	v_bcnt_u32_b32 v0, v0, v62
	ds_store_b32 v63, v0
.LBB358_20:                             ;   in Loop: Header=BB358_4 Depth=2
	s_or_b32 exec_lo, exec_lo, s13
	; wave barrier
	s_waitcnt lgkmcnt(0)
	s_barrier
	buffer_gl0_inv
	ds_load_2addr_b64 v[4:7], v41 offset0:3 offset1:4
	ds_load_2addr_b64 v[0:3], v45 offset0:2 offset1:3
	s_waitcnt lgkmcnt(1)
	v_add_nc_u32_e32 v65, v5, v4
	s_delay_alu instid0(VALU_DEP_1) | instskip(SKIP_1) | instid1(VALU_DEP_1)
	v_add3_u32 v65, v65, v6, v7
	s_waitcnt lgkmcnt(0)
	v_add3_u32 v65, v65, v0, v1
	s_delay_alu instid0(VALU_DEP_1) | instskip(NEXT) | instid1(VALU_DEP_1)
	v_add3_u32 v3, v65, v2, v3
	v_mov_b32_dpp v65, v3 row_shr:1 row_mask:0xf bank_mask:0xf
	s_delay_alu instid0(VALU_DEP_1) | instskip(NEXT) | instid1(VALU_DEP_1)
	v_cndmask_b32_e64 v65, v65, 0, s0
	v_add_nc_u32_e32 v3, v65, v3
	s_delay_alu instid0(VALU_DEP_1) | instskip(NEXT) | instid1(VALU_DEP_1)
	v_mov_b32_dpp v65, v3 row_shr:2 row_mask:0xf bank_mask:0xf
	v_cndmask_b32_e64 v65, 0, v65, s1
	s_delay_alu instid0(VALU_DEP_1) | instskip(NEXT) | instid1(VALU_DEP_1)
	v_add_nc_u32_e32 v3, v3, v65
	v_mov_b32_dpp v65, v3 row_shr:4 row_mask:0xf bank_mask:0xf
	s_delay_alu instid0(VALU_DEP_1) | instskip(NEXT) | instid1(VALU_DEP_1)
	v_cndmask_b32_e64 v65, 0, v65, s2
	v_add_nc_u32_e32 v3, v3, v65
	s_delay_alu instid0(VALU_DEP_1) | instskip(NEXT) | instid1(VALU_DEP_1)
	v_mov_b32_dpp v65, v3 row_shr:8 row_mask:0xf bank_mask:0xf
	v_cndmask_b32_e64 v65, 0, v65, s3
	s_delay_alu instid0(VALU_DEP_1) | instskip(SKIP_3) | instid1(VALU_DEP_1)
	v_add_nc_u32_e32 v3, v3, v65
	ds_swizzle_b32 v65, v3 offset:swizzle(BROADCAST,32,15)
	s_waitcnt lgkmcnt(0)
	v_cndmask_b32_e64 v65, v65, 0, s4
	v_add_nc_u32_e32 v3, v3, v65
	s_and_saveexec_b32 s13, s5
	s_cbranch_execz .LBB358_22
; %bb.21:                               ;   in Loop: Header=BB358_4 Depth=2
	ds_store_b32 v47, v3
.LBB358_22:                             ;   in Loop: Header=BB358_4 Depth=2
	s_or_b32 exec_lo, exec_lo, s13
	s_waitcnt lgkmcnt(0)
	s_barrier
	buffer_gl0_inv
	s_and_saveexec_b32 s13, s6
	s_cbranch_execz .LBB358_24
; %bb.23:                               ;   in Loop: Header=BB358_4 Depth=2
	ds_load_b32 v65, v48
	s_waitcnt lgkmcnt(0)
	v_mov_b32_dpp v66, v65 row_shr:1 row_mask:0xf bank_mask:0xf
	s_delay_alu instid0(VALU_DEP_1) | instskip(NEXT) | instid1(VALU_DEP_1)
	v_cndmask_b32_e64 v66, v66, 0, s10
	v_add_nc_u32_e32 v65, v66, v65
	s_delay_alu instid0(VALU_DEP_1) | instskip(NEXT) | instid1(VALU_DEP_1)
	v_mov_b32_dpp v66, v65 row_shr:2 row_mask:0xf bank_mask:0xf
	v_cndmask_b32_e64 v66, 0, v66, s11
	s_delay_alu instid0(VALU_DEP_1) | instskip(NEXT) | instid1(VALU_DEP_1)
	v_add_nc_u32_e32 v65, v65, v66
	v_mov_b32_dpp v66, v65 row_shr:4 row_mask:0xf bank_mask:0xf
	s_delay_alu instid0(VALU_DEP_1) | instskip(NEXT) | instid1(VALU_DEP_1)
	v_cndmask_b32_e64 v66, 0, v66, s12
	v_add_nc_u32_e32 v65, v65, v66
	ds_store_b32 v48, v65
.LBB358_24:                             ;   in Loop: Header=BB358_4 Depth=2
	s_or_b32 exec_lo, exec_lo, s13
	v_mov_b32_e32 v65, 0
	s_waitcnt lgkmcnt(0)
	s_barrier
	buffer_gl0_inv
	s_and_saveexec_b32 s13, s7
	s_cbranch_execz .LBB358_26
; %bb.25:                               ;   in Loop: Header=BB358_4 Depth=2
	ds_load_b32 v65, v49
.LBB358_26:                             ;   in Loop: Header=BB358_4 Depth=2
	s_or_b32 exec_lo, exec_lo, s13
	s_waitcnt lgkmcnt(0)
	v_add_nc_u32_e32 v3, v65, v3
	s_cmp_gt_u32 s27, 55
	ds_bpermute_b32 v3, v46, v3
	s_waitcnt lgkmcnt(0)
	v_cndmask_b32_e64 v3, v3, v65, s8
	s_delay_alu instid0(VALU_DEP_1) | instskip(NEXT) | instid1(VALU_DEP_1)
	v_cndmask_b32_e64 v3, v3, 0, s9
	v_add_nc_u32_e32 v4, v3, v4
	s_delay_alu instid0(VALU_DEP_1) | instskip(NEXT) | instid1(VALU_DEP_1)
	v_add_nc_u32_e32 v5, v4, v5
	v_add_nc_u32_e32 v6, v5, v6
	s_delay_alu instid0(VALU_DEP_1) | instskip(NEXT) | instid1(VALU_DEP_1)
	v_add_nc_u32_e32 v65, v6, v7
	;; [unrolled: 3-line block ×3, first 2 shown]
	v_add_nc_u32_e32 v1, v0, v2
	ds_store_2addr_b64 v41, v[3:4], v[5:6] offset0:3 offset1:4
	ds_store_2addr_b64 v45, v[65:66], v[0:1] offset0:2 offset1:3
	s_waitcnt lgkmcnt(0)
	s_barrier
	buffer_gl0_inv
	ds_load_b32 v0, v26
	ds_load_b32 v1, v29
	;; [unrolled: 1-line block ×8, first 2 shown]
	s_waitcnt lgkmcnt(0)
	v_add_nc_u32_e32 v63, v0, v12
	v_add3_u32 v61, v28, v27, v1
	v_add3_u32 v58, v31, v30, v2
	;; [unrolled: 1-line block ×7, first 2 shown]
	s_cbranch_scc0 .LBB358_3
; %bb.27:                               ;   in Loop: Header=BB358_2 Depth=1
                                        ; implicit-def: $sgpr27
                                        ; implicit-def: $vgpr32_vgpr33
                                        ; implicit-def: $vgpr0_vgpr1
                                        ; implicit-def: $vgpr2_vgpr3
                                        ; implicit-def: $vgpr6_vgpr7
                                        ; implicit-def: $vgpr4_vgpr5
                                        ; implicit-def: $vgpr26_vgpr27
                                        ; implicit-def: $vgpr28_vgpr29
                                        ; implicit-def: $vgpr30_vgpr31
                                        ; implicit-def: $sgpr26
                                        ; implicit-def: $sgpr25
	s_branch .LBB358_1
.LBB358_28:
	s_add_u32 s0, s18, s22
	s_addc_u32 s1, s19, s23
	v_add_co_u32 v0, s2, s0, v34
	s_delay_alu instid0(VALU_DEP_1) | instskip(NEXT) | instid1(VALU_DEP_2)
	v_add_co_ci_u32_e64 v20, null, s1, 0, s2
	v_add_co_u32 v13, vcc_lo, 0x1000, v0
	s_delay_alu instid0(VALU_DEP_2)
	v_add_co_ci_u32_e32 v14, vcc_lo, 0, v20, vcc_lo
	v_add_co_u32 v19, vcc_lo, 0x2000, v0
	v_add_co_ci_u32_e32 v20, vcc_lo, 0, v20, vcc_lo
	s_clause 0x7
	global_store_b64 v34, v[17:18], s[0:1]
	global_store_b64 v34, v[15:16], s[0:1] offset:1536
	global_store_b64 v34, v[9:10], s[0:1] offset:3072
	global_store_b64 v[13:14], v[11:12], off offset:512
	global_store_b64 v[13:14], v[5:6], off offset:2048
	;; [unrolled: 1-line block ×5, first 2 shown]
	s_nop 0
	s_sendmsg sendmsg(MSG_DEALLOC_VGPRS)
	s_endpgm
	.section	.rodata,"a",@progbits
	.p2align	6, 0x0
	.amdhsa_kernel _Z16sort_keys_kernelI22helper_blocked_stripedN15benchmark_utils11custom_typeIiiEELj192ELj8ELj10EEvPKT0_PS4_
		.amdhsa_group_segment_fixed_size 12672
		.amdhsa_private_segment_fixed_size 0
		.amdhsa_kernarg_size 272
		.amdhsa_user_sgpr_count 15
		.amdhsa_user_sgpr_dispatch_ptr 0
		.amdhsa_user_sgpr_queue_ptr 0
		.amdhsa_user_sgpr_kernarg_segment_ptr 1
		.amdhsa_user_sgpr_dispatch_id 0
		.amdhsa_user_sgpr_private_segment_size 0
		.amdhsa_wavefront_size32 1
		.amdhsa_uses_dynamic_stack 0
		.amdhsa_enable_private_segment 0
		.amdhsa_system_sgpr_workgroup_id_x 1
		.amdhsa_system_sgpr_workgroup_id_y 0
		.amdhsa_system_sgpr_workgroup_id_z 0
		.amdhsa_system_sgpr_workgroup_info 0
		.amdhsa_system_vgpr_workitem_id 2
		.amdhsa_next_free_vgpr 67
		.amdhsa_next_free_sgpr 32
		.amdhsa_reserve_vcc 1
		.amdhsa_float_round_mode_32 0
		.amdhsa_float_round_mode_16_64 0
		.amdhsa_float_denorm_mode_32 3
		.amdhsa_float_denorm_mode_16_64 3
		.amdhsa_dx10_clamp 1
		.amdhsa_ieee_mode 1
		.amdhsa_fp16_overflow 0
		.amdhsa_workgroup_processor_mode 1
		.amdhsa_memory_ordered 1
		.amdhsa_forward_progress 0
		.amdhsa_shared_vgpr_count 0
		.amdhsa_exception_fp_ieee_invalid_op 0
		.amdhsa_exception_fp_denorm_src 0
		.amdhsa_exception_fp_ieee_div_zero 0
		.amdhsa_exception_fp_ieee_overflow 0
		.amdhsa_exception_fp_ieee_underflow 0
		.amdhsa_exception_fp_ieee_inexact 0
		.amdhsa_exception_int_div_zero 0
	.end_amdhsa_kernel
	.section	.text._Z16sort_keys_kernelI22helper_blocked_stripedN15benchmark_utils11custom_typeIiiEELj192ELj8ELj10EEvPKT0_PS4_,"axG",@progbits,_Z16sort_keys_kernelI22helper_blocked_stripedN15benchmark_utils11custom_typeIiiEELj192ELj8ELj10EEvPKT0_PS4_,comdat
.Lfunc_end358:
	.size	_Z16sort_keys_kernelI22helper_blocked_stripedN15benchmark_utils11custom_typeIiiEELj192ELj8ELj10EEvPKT0_PS4_, .Lfunc_end358-_Z16sort_keys_kernelI22helper_blocked_stripedN15benchmark_utils11custom_typeIiiEELj192ELj8ELj10EEvPKT0_PS4_
                                        ; -- End function
	.section	.AMDGPU.csdata,"",@progbits
; Kernel info:
; codeLenInByte = 5540
; NumSgprs: 34
; NumVgprs: 67
; ScratchSize: 0
; MemoryBound: 0
; FloatMode: 240
; IeeeMode: 1
; LDSByteSize: 12672 bytes/workgroup (compile time only)
; SGPRBlocks: 4
; VGPRBlocks: 8
; NumSGPRsForWavesPerEU: 34
; NumVGPRsForWavesPerEU: 67
; Occupancy: 15
; WaveLimiterHint : 1
; COMPUTE_PGM_RSRC2:SCRATCH_EN: 0
; COMPUTE_PGM_RSRC2:USER_SGPR: 15
; COMPUTE_PGM_RSRC2:TRAP_HANDLER: 0
; COMPUTE_PGM_RSRC2:TGID_X_EN: 1
; COMPUTE_PGM_RSRC2:TGID_Y_EN: 0
; COMPUTE_PGM_RSRC2:TGID_Z_EN: 0
; COMPUTE_PGM_RSRC2:TIDIG_COMP_CNT: 2
	.section	.text._Z17sort_pairs_kernelI22helper_blocked_stripedN15benchmark_utils11custom_typeIiiEELj192ELj8ELj10EEvPKT0_PS4_,"axG",@progbits,_Z17sort_pairs_kernelI22helper_blocked_stripedN15benchmark_utils11custom_typeIiiEELj192ELj8ELj10EEvPKT0_PS4_,comdat
	.protected	_Z17sort_pairs_kernelI22helper_blocked_stripedN15benchmark_utils11custom_typeIiiEELj192ELj8ELj10EEvPKT0_PS4_ ; -- Begin function _Z17sort_pairs_kernelI22helper_blocked_stripedN15benchmark_utils11custom_typeIiiEELj192ELj8ELj10EEvPKT0_PS4_
	.globl	_Z17sort_pairs_kernelI22helper_blocked_stripedN15benchmark_utils11custom_typeIiiEELj192ELj8ELj10EEvPKT0_PS4_
	.p2align	8
	.type	_Z17sort_pairs_kernelI22helper_blocked_stripedN15benchmark_utils11custom_typeIiiEELj192ELj8ELj10EEvPKT0_PS4_,@function
_Z17sort_pairs_kernelI22helper_blocked_stripedN15benchmark_utils11custom_typeIiiEELj192ELj8ELj10EEvPKT0_PS4_: ; @_Z17sort_pairs_kernelI22helper_blocked_stripedN15benchmark_utils11custom_typeIiiEELj192ELj8ELj10EEvPKT0_PS4_
; %bb.0:
	s_clause 0x1
	s_load_b128 s[16:19], s[0:1], 0x0
	s_load_b32 s12, s[0:1], 0x1c
	v_mbcnt_lo_u32_b32 v18, -1, 0
	s_mov_b32 s23, 0
	s_mul_i32 s22, s15, 0x600
	v_bfe_u32 v19, v0, 10, 10
	s_lshl_b64 s[20:21], s[22:23], 3
	v_add_nc_u32_e32 v22, -1, v18
	v_and_b32_e32 v20, 15, v18
	v_and_b32_e32 v21, 16, v18
	v_and_b32_e32 v23, 7, v18
	s_mov_b32 s22, s23
	v_cmp_gt_i32_e32 vcc_lo, 0, v22
	v_and_b32_e32 v17, 0x3ff, v0
	v_cmp_lt_u32_e64 s2, 1, v20
	v_cmp_lt_u32_e64 s3, 3, v20
	;; [unrolled: 1-line block ×3, first 2 shown]
	v_bfe_u32 v0, v0, 20, 10
	v_lshlrev_b32_e32 v1, 6, v17
	v_cmp_eq_u32_e64 s5, 0, v21
	s_waitcnt lgkmcnt(0)
	s_add_u32 s0, s16, s20
	s_addc_u32 s1, s17, s21
	v_cmp_eq_u32_e64 s9, 0, v23
	s_clause 0x3
	global_load_b128 v[5:8], v1, s[0:1]
	global_load_b128 v[9:12], v1, s[0:1] offset:16
	global_load_b128 v[13:16], v1, s[0:1] offset:32
	;; [unrolled: 1-line block ×3, first 2 shown]
	v_cmp_eq_u32_e64 s1, 0, v20
	v_cndmask_b32_e32 v20, v22, v18, vcc_lo
	v_lshlrev_b32_e32 v66, 3, v17
	v_and_b32_e32 v24, 0xe0, v17
	v_lshrrev_b32_e32 v21, 3, v17
	v_cmp_lt_u32_e64 s10, 1, v23
	v_cmp_lt_u32_e64 s11, 3, v23
	v_and_b32_e32 v23, 0x700, v66
	v_or_b32_e32 v22, v18, v24
	s_lshr_b32 s13, s12, 16
	v_cmp_eq_u32_e64 s0, 0, v18
	v_and_b32_e32 v70, 28, v21
	v_or_b32_e32 v21, v18, v23
	v_lshrrev_b32_e32 v18, 5, v23
	v_mad_u32_u24 v0, v0, s13, v19
	v_lshlrev_b32_e32 v67, 5, v17
	v_min_u32_e32 v24, 0xa0, v24
	v_lshlrev_b32_e32 v69, 2, v20
	v_lshlrev_b32_e32 v20, 1, v22
	v_or_b32_e32 v25, 32, v23
	v_or_b32_e32 v26, 64, v23
	;; [unrolled: 1-line block ×7, first 2 shown]
	s_and_b32 s14, s12, 0xffff
	v_add_lshl_u32 v73, v18, v21, 3
	v_mad_u64_u32 v[18:19], null, v0, s14, v[17:18]
	v_lshlrev_b32_e32 v34, 2, v17
	v_mad_i32_i24 v71, 0xffffffe4, v17, v67
	v_or_b32_e32 v24, 31, v24
	v_and_b32_e32 v20, 0x1f8, v20
	v_lshrrev_b32_e32 v25, 5, v25
	v_lshrrev_b32_e32 v26, 5, v26
	;; [unrolled: 1-line block ×7, first 2 shown]
	v_cmp_gt_u32_e64 s6, 6, v17
	v_cmp_lt_u32_e64 s7, 31, v17
	v_cmp_eq_u32_e64 s8, 0, v17
	v_or_b32_e32 v68, 24, v67
	v_add_nc_u32_e32 v72, -4, v70
	v_cmp_eq_u32_e64 s12, v24, v17
	v_lshl_add_u32 v74, v22, 6, v20
	v_add_lshl_u32 v75, v25, v21, 3
	v_add_lshl_u32 v76, v26, v21, 3
	;; [unrolled: 1-line block ×7, first 2 shown]
	v_lshrrev_b32_e32 v33, 5, v18
	v_add_nc_u32_e32 v82, v71, v34
	s_mov_b32 s16, s23
	s_mov_b32 s17, s23
	;; [unrolled: 1-line block ×3, first 2 shown]
	s_waitcnt vmcnt(3)
	v_add_nc_u32_e32 v30, 1, v6
	v_add_nc_u32_e32 v29, 1, v5
	v_add_nc_u32_e32 v32, 1, v8
	v_add_nc_u32_e32 v31, 1, v7
	s_waitcnt vmcnt(2)
	v_add_nc_u32_e32 v26, 1, v10
	v_add_nc_u32_e32 v25, 1, v9
	v_add_nc_u32_e32 v28, 1, v12
	v_add_nc_u32_e32 v27, 1, v11
	;; [unrolled: 5-line block ×4, first 2 shown]
	s_branch .LBB359_2
.LBB359_1:                              ;   in Loop: Header=BB359_2 Depth=1
	v_lshlrev_b32_e32 v4, 3, v89
	v_lshlrev_b32_e32 v5, 3, v88
	;; [unrolled: 1-line block ×4, first 2 shown]
	s_barrier
	buffer_gl0_inv
	ds_store_b64 v4, v[22:23]
	ds_store_b64 v5, v[40:41]
	;; [unrolled: 1-line block ×3, first 2 shown]
	v_lshlrev_b32_e32 v22, 3, v85
	v_lshlrev_b32_e32 v23, 3, v84
	v_lshlrev_b32_e32 v46, 3, v83
	v_lshlrev_b32_e32 v32, 3, v32
	ds_store_b64 v7, v[26:27]
	ds_store_b64 v22, v[36:37]
	;; [unrolled: 1-line block ×5, first 2 shown]
	s_waitcnt lgkmcnt(0)
	s_barrier
	buffer_gl0_inv
	ds_load_2addr_stride64_b64 v[0:3], v82 offset1:3
	ds_load_2addr_stride64_b64 v[34:37], v82 offset0:6 offset1:9
	ds_load_2addr_stride64_b64 v[38:41], v82 offset0:12 offset1:15
	;; [unrolled: 1-line block ×3, first 2 shown]
	s_waitcnt lgkmcnt(0)
	s_barrier
	buffer_gl0_inv
	ds_store_b64 v4, v[12:13]
	ds_store_b64 v5, v[10:11]
	;; [unrolled: 1-line block ×8, first 2 shown]
	s_waitcnt lgkmcnt(0)
	s_barrier
	buffer_gl0_inv
	ds_load_2addr_stride64_b64 v[29:32], v82 offset1:3
	ds_load_2addr_stride64_b64 v[25:28], v82 offset0:6 offset1:9
	ds_load_2addr_stride64_b64 v[21:24], v82 offset0:12 offset1:15
	;; [unrolled: 1-line block ×3, first 2 shown]
	s_add_i32 s24, s24, 1
	s_delay_alu instid0(SALU_CYCLE_1)
	s_cmp_lg_u32 s24, 10
	v_xor_b32_e32 v5, 0x80000000, v0
	v_xor_b32_e32 v6, 0x80000000, v1
	;; [unrolled: 1-line block ×16, first 2 shown]
	s_cbranch_scc0 .LBB359_28
.LBB359_2:                              ; =>This Loop Header: Depth=1
                                        ;     Child Loop BB359_4 Depth 2
	v_xor_b32_e32 v6, 0x80000000, v6
	v_xor_b32_e32 v5, 0x80000000, v5
	;; [unrolled: 1-line block ×16, first 2 shown]
	ds_store_2addr_b64 v74, v[5:6], v[7:8] offset1:1
	ds_store_2addr_b64 v74, v[9:10], v[11:12] offset0:2 offset1:3
	ds_store_2addr_b64 v74, v[13:14], v[15:16] offset0:4 offset1:5
	;; [unrolled: 1-line block ×3, first 2 shown]
	; wave barrier
	ds_load_b64 v[50:51], v73
	ds_load_b64 v[0:1], v75 offset:256
	ds_load_b64 v[2:3], v76 offset:512
	ds_load_b64 v[6:7], v77 offset:768
	ds_load_b64 v[4:5], v78 offset:1024
	ds_load_b64 v[42:43], v79 offset:1280
	ds_load_b64 v[44:45], v80 offset:1536
	ds_load_b64 v[46:47], v81 offset:1792
	; wave barrier
	s_waitcnt lgkmcnt(15)
	ds_store_2addr_b64 v74, v[29:30], v[31:32] offset1:1
	s_waitcnt lgkmcnt(15)
	ds_store_2addr_b64 v74, v[25:26], v[27:28] offset0:2 offset1:3
	s_waitcnt lgkmcnt(15)
	ds_store_2addr_b64 v74, v[21:22], v[23:24] offset0:4 offset1:5
	;; [unrolled: 2-line block ×3, first 2 shown]
	; wave barrier
	ds_load_b64 v[52:53], v73
	ds_load_b64 v[54:55], v75 offset:256
	ds_load_b64 v[56:57], v76 offset:512
	;; [unrolled: 1-line block ×7, first 2 shown]
	s_mov_b32 s25, 8
	s_mov_b32 s26, 32
	;; [unrolled: 1-line block ×3, first 2 shown]
	s_waitcnt lgkmcnt(0)
	s_barrier
	s_branch .LBB359_4
.LBB359_3:                              ;   in Loop: Header=BB359_4 Depth=2
	v_lshrrev_b32_e32 v0, 2, v89
	v_lshrrev_b32_e32 v1, 2, v88
	;; [unrolled: 1-line block ×5, first 2 shown]
	v_and_b32_e32 v0, 0x3ffffff8, v0
	v_and_b32_e32 v1, 0x3ffffff8, v1
	;; [unrolled: 1-line block ×5, first 2 shown]
	v_lshl_add_u32 v48, v89, 3, v0
	v_lshrrev_b32_e32 v0, 2, v86
	v_lshl_add_u32 v49, v88, 3, v1
	v_lshrrev_b32_e32 v1, 2, v85
	;; [unrolled: 2-line block ×3, first 2 shown]
	v_and_b32_e32 v0, 0x3ffffff8, v0
	v_lshl_add_u32 v56, v83, 3, v3
	v_and_b32_e32 v1, 0x3ffffff8, v1
	v_lshl_add_u32 v57, v32, 3, v4
	;; [unrolled: 2-line block ×3, first 2 shown]
	s_barrier
	v_lshl_add_u32 v54, v85, 3, v1
	buffer_gl0_inv
	v_lshl_add_u32 v55, v84, 3, v2
	ds_store_b64 v48, v[22:23]
	ds_store_b64 v49, v[40:41]
	;; [unrolled: 1-line block ×8, first 2 shown]
	s_waitcnt lgkmcnt(0)
	s_barrier
	buffer_gl0_inv
	ds_load_b64 v[50:51], v73
	ds_load_b64 v[0:1], v75 offset:256
	ds_load_b64 v[2:3], v76 offset:512
	;; [unrolled: 1-line block ×7, first 2 shown]
	s_waitcnt lgkmcnt(0)
	s_barrier
	buffer_gl0_inv
	ds_store_b64 v48, v[12:13]
	ds_store_b64 v49, v[10:11]
	ds_store_b64 v52, v[8:9]
	ds_store_b64 v53, v[20:21]
	ds_store_b64 v54, v[18:19]
	ds_store_b64 v55, v[16:17]
	ds_store_b64 v56, v[14:15]
	ds_store_b64 v57, v[24:25]
	s_waitcnt lgkmcnt(0)
	s_barrier
	buffer_gl0_inv
	ds_load_b64 v[52:53], v73
	ds_load_b64 v[54:55], v75 offset:256
	ds_load_b64 v[56:57], v76 offset:512
	;; [unrolled: 1-line block ×7, first 2 shown]
	s_add_i32 s26, s26, -8
	s_add_i32 s25, s25, 8
	s_add_i32 s27, s27, 8
	s_waitcnt lgkmcnt(0)
	s_barrier
	s_cbranch_execz .LBB359_1
.LBB359_4:                              ;   Parent Loop BB359_2 Depth=1
                                        ; =>  This Inner Loop Header: Depth=2
	s_min_i32 s14, s25, 32
	s_cmp_lt_u32 s27, 32
	v_dual_mov_b32 v22, v50 :: v_dual_mov_b32 v23, v51
	s_cselect_b32 vcc_lo, -1, 0
	s_cmp_gt_u32 s27, 24
	v_mov_b32_e32 v10, v54
	s_cselect_b32 s13, -1, 0
	s_sub_i32 s14, s14, 32
	v_lshrrev_b32_e32 v9, s27, v23
	s_add_i32 s15, s14, s26
	v_mov_b32_e32 v20, v58
	s_lshl_b32 s15, -1, s15
	v_mov_b32_e32 v18, v60
	s_not_b32 s15, s15
	s_cmp_lg_u32 s14, s27
	v_mov_b32_e32 v12, v52
	s_cselect_b32 s28, s15, -1
	s_max_i32 s29, s26, 0
	s_max_i32 s14, s27, 32
	v_and_b32_e32 v9, s28, v9
	s_sub_i32 s15, s14, s29
	s_sub_i32 s30, s14, 32
	;; [unrolled: 1-line block ×3, first 2 shown]
	v_lshrrev_b32_e32 v8, s30, v22
	s_min_i32 s14, s15, 32
	v_cndmask_b32_e32 v14, 0, v9, vcc_lo
	s_sub_i32 s14, s14, s30
	v_mov_b32_e32 v21, v59
	s_lshl_b32 s15, -1, s14
	buffer_gl0_inv
	s_not_b32 s15, s15
	s_cmp_lg_u32 s14, 32
	v_mov_b32_e32 v13, v53
	s_cselect_b32 s31, s15, -1
	s_delay_alu instid0(SALU_CYCLE_1) | instskip(SKIP_3) | instid1(VALU_DEP_4)
	v_dual_mov_b32 v11, v55 :: v_dual_and_b32 v8, s31, v8
	v_mov_b32_e32 v19, v61
	v_mov_b32_e32 v41, v1
	v_dual_mov_b32 v39, v3 :: v_dual_mov_b32 v40, v0
	v_dual_mov_b32 v37, v5 :: v_dual_lshlrev_b32 v8, s29, v8
	v_mov_b32_e32 v38, v2
	v_dual_mov_b32 v36, v4 :: v_dual_mov_b32 v3, s16
	s_delay_alu instid0(VALU_DEP_3) | instskip(SKIP_2) | instid1(VALU_DEP_3)
	v_cndmask_b32_e64 v15, 0, v8, s13
	v_dual_mov_b32 v8, v56 :: v_dual_mov_b32 v9, v57
	v_mov_b32_e32 v4, s17
	v_or_b32_e32 v32, v14, v15
	v_mov_b32_e32 v16, v62
	v_dual_mov_b32 v14, v64 :: v_dual_mov_b32 v17, v63
	v_mov_b32_e32 v15, v65
	s_delay_alu instid0(VALU_DEP_4)
	v_lshlrev_b32_e32 v27, 28, v32
	v_and_b32_e32 v24, 1, v32
	v_lshlrev_b32_e32 v25, 30, v32
	v_lshlrev_b32_e32 v26, 29, v32
	;; [unrolled: 1-line block ×4, first 2 shown]
	v_add_co_u32 v24, s14, v24, -1
	s_delay_alu instid0(VALU_DEP_1)
	v_cndmask_b32_e64 v28, 0, 1, s14
	v_not_b32_e32 v34, v25
	v_cmp_gt_i32_e64 s15, 0, v25
	v_not_b32_e32 v25, v26
	v_lshlrev_b32_e32 v31, 25, v32
	v_cmp_ne_u32_e64 s14, 0, v28
	v_ashrrev_i32_e32 v34, 31, v34
	v_lshlrev_b32_e32 v28, 24, v32
	v_ashrrev_i32_e32 v25, 31, v25
	s_delay_alu instid0(VALU_DEP_4)
	v_xor_b32_e32 v24, s14, v24
	v_cmp_gt_i32_e64 s14, 0, v26
	v_not_b32_e32 v26, v27
	v_xor_b32_e32 v34, s15, v34
	v_cmp_gt_i32_e64 s15, 0, v27
	v_and_b32_e32 v24, exec_lo, v24
	v_not_b32_e32 v27, v29
	v_ashrrev_i32_e32 v26, 31, v26
	v_xor_b32_e32 v25, s14, v25
	v_cmp_gt_i32_e64 s14, 0, v29
	v_and_b32_e32 v24, v24, v34
	v_mov_b32_e32 v34, v42
	v_not_b32_e32 v29, v30
	v_ashrrev_i32_e32 v27, 31, v27
	v_xor_b32_e32 v26, s15, v26
	v_dual_mov_b32 v35, v43 :: v_dual_and_b32 v24, v24, v25
	v_cmp_gt_i32_e64 s15, 0, v30
	v_not_b32_e32 v25, v31
	v_ashrrev_i32_e32 v29, 31, v29
	v_xor_b32_e32 v27, s14, v27
	v_and_b32_e32 v24, v24, v26
	v_cmp_gt_i32_e64 s14, 0, v31
	v_not_b32_e32 v26, v28
	v_ashrrev_i32_e32 v30, 31, v25
	v_xor_b32_e32 v29, s15, v29
	v_and_b32_e32 v27, v24, v27
	v_cmp_gt_i32_e64 s15, 0, v28
	v_ashrrev_i32_e32 v28, 31, v26
	v_xor_b32_e32 v30, s14, v30
	s_delay_alu instid0(VALU_DEP_4) | instskip(SKIP_1) | instid1(VALU_DEP_4)
	v_dual_mov_b32 v24, v48 :: v_dual_and_b32 v29, v27, v29
	v_dual_mov_b32 v27, v7 :: v_dual_mov_b32 v26, v6
	v_xor_b32_e32 v0, s15, v28
	v_mov_b32_e32 v25, v49
	s_delay_alu instid0(VALU_DEP_4) | instskip(SKIP_1) | instid1(VALU_DEP_2)
	v_dual_mov_b32 v30, v44 :: v_dual_and_b32 v1, v29, v30
	v_dual_mov_b32 v28, v46 :: v_dual_mov_b32 v31, v45
	v_dual_mov_b32 v29, v47 :: v_dual_and_b32 v0, v1, v0
	v_mov_b32_e32 v1, s22
	v_mad_u64_u32 v[5:6], null, v32, 6, v[33:34]
	v_mov_b32_e32 v2, s23
	s_delay_alu instid0(VALU_DEP_4)
	v_mbcnt_lo_u32_b32 v32, v0, 0
	v_cmp_ne_u32_e64 s15, 0, v0
	ds_store_2addr_b64 v67, v[1:2], v[3:4] offset0:3 offset1:4
	ds_store_2addr_b64 v68, v[1:2], v[3:4] offset0:2 offset1:3
	v_cmp_eq_u32_e64 s14, 0, v32
	v_lshl_add_u32 v42, v5, 2, 24
	s_waitcnt lgkmcnt(0)
	s_barrier
	buffer_gl0_inv
	s_and_b32 s15, s14, s15
	; wave barrier
	s_delay_alu instid0(SALU_CYCLE_1)
	s_and_saveexec_b32 s14, s15
	s_cbranch_execz .LBB359_6
; %bb.5:                                ;   in Loop: Header=BB359_4 Depth=2
	v_bcnt_u32_b32 v0, v0, 0
	ds_store_b32 v42, v0
.LBB359_6:                              ;   in Loop: Header=BB359_4 Depth=2
	s_or_b32 exec_lo, exec_lo, s14
	v_lshrrev_b32_e32 v0, s30, v40
	v_lshrrev_b32_e32 v1, s27, v41
	; wave barrier
	s_delay_alu instid0(VALU_DEP_1) | instskip(NEXT) | instid1(VALU_DEP_1)
	v_and_b32_e32 v1, s28, v1
	v_dual_cndmask_b32 v1, 0, v1 :: v_dual_and_b32 v0, s31, v0
	s_delay_alu instid0(VALU_DEP_1) | instskip(NEXT) | instid1(VALU_DEP_1)
	v_lshlrev_b32_e32 v0, s29, v0
	v_cndmask_b32_e64 v0, 0, v0, s13
	s_delay_alu instid0(VALU_DEP_1) | instskip(NEXT) | instid1(VALU_DEP_1)
	v_or_b32_e32 v0, v1, v0
	v_and_b32_e32 v2, 1, v0
	v_lshlrev_b32_e32 v3, 30, v0
	v_lshlrev_b32_e32 v4, 29, v0
	;; [unrolled: 1-line block ×4, first 2 shown]
	v_add_co_u32 v2, s14, v2, -1
	s_delay_alu instid0(VALU_DEP_1)
	v_cndmask_b32_e64 v6, 0, 1, s14
	v_not_b32_e32 v45, v3
	v_cmp_gt_i32_e64 s15, 0, v3
	v_not_b32_e32 v3, v4
	v_lshlrev_b32_e32 v43, 26, v0
	v_cmp_ne_u32_e64 s14, 0, v6
	v_ashrrev_i32_e32 v6, 31, v45
	v_lshlrev_b32_e32 v44, 25, v0
	v_ashrrev_i32_e32 v3, 31, v3
	v_mul_lo_u32 v1, v0, 6
	v_xor_b32_e32 v2, s14, v2
	v_cmp_gt_i32_e64 s14, 0, v4
	v_not_b32_e32 v4, v5
	v_xor_b32_e32 v6, s15, v6
	v_cmp_gt_i32_e64 s15, 0, v5
	v_and_b32_e32 v2, exec_lo, v2
	v_not_b32_e32 v5, v7
	v_ashrrev_i32_e32 v4, 31, v4
	v_xor_b32_e32 v3, s14, v3
	v_cmp_gt_i32_e64 s14, 0, v7
	v_and_b32_e32 v2, v2, v6
	v_not_b32_e32 v6, v43
	v_ashrrev_i32_e32 v5, 31, v5
	v_xor_b32_e32 v4, s15, v4
	v_lshlrev_b32_e32 v0, 24, v0
	v_and_b32_e32 v2, v2, v3
	v_cmp_gt_i32_e64 s15, 0, v43
	v_not_b32_e32 v3, v44
	v_ashrrev_i32_e32 v6, 31, v6
	v_xor_b32_e32 v5, s14, v5
	v_and_b32_e32 v2, v2, v4
	v_cmp_gt_i32_e64 s14, 0, v44
	v_not_b32_e32 v4, v0
	v_ashrrev_i32_e32 v3, 31, v3
	v_xor_b32_e32 v6, s15, v6
	v_and_b32_e32 v2, v2, v5
	v_cmp_gt_i32_e64 s15, 0, v0
	v_ashrrev_i32_e32 v0, 31, v4
	v_xor_b32_e32 v3, s14, v3
	v_add_lshl_u32 v1, v1, v33, 2
	v_and_b32_e32 v2, v2, v6
	s_delay_alu instid0(VALU_DEP_4) | instskip(SKIP_3) | instid1(VALU_DEP_2)
	v_xor_b32_e32 v0, s15, v0
	ds_load_b32 v43, v1 offset:24
	v_and_b32_e32 v2, v2, v3
	v_add_nc_u32_e32 v45, 24, v1
	; wave barrier
	v_and_b32_e32 v0, v2, v0
	s_delay_alu instid0(VALU_DEP_1) | instskip(SKIP_1) | instid1(VALU_DEP_2)
	v_mbcnt_lo_u32_b32 v44, v0, 0
	v_cmp_ne_u32_e64 s15, 0, v0
	v_cmp_eq_u32_e64 s14, 0, v44
	s_delay_alu instid0(VALU_DEP_1) | instskip(NEXT) | instid1(SALU_CYCLE_1)
	s_and_b32 s15, s14, s15
	s_and_saveexec_b32 s14, s15
	s_cbranch_execz .LBB359_8
; %bb.7:                                ;   in Loop: Header=BB359_4 Depth=2
	s_waitcnt lgkmcnt(0)
	v_bcnt_u32_b32 v0, v0, v43
	ds_store_b32 v45, v0
.LBB359_8:                              ;   in Loop: Header=BB359_4 Depth=2
	s_or_b32 exec_lo, exec_lo, s14
	v_lshrrev_b32_e32 v0, s30, v38
	v_lshrrev_b32_e32 v1, s27, v39
	; wave barrier
	s_delay_alu instid0(VALU_DEP_1) | instskip(NEXT) | instid1(VALU_DEP_1)
	v_and_b32_e32 v1, s28, v1
	v_dual_cndmask_b32 v1, 0, v1 :: v_dual_and_b32 v0, s31, v0
	s_delay_alu instid0(VALU_DEP_1) | instskip(NEXT) | instid1(VALU_DEP_1)
	v_lshlrev_b32_e32 v0, s29, v0
	v_cndmask_b32_e64 v0, 0, v0, s13
	s_delay_alu instid0(VALU_DEP_1) | instskip(NEXT) | instid1(VALU_DEP_1)
	v_or_b32_e32 v0, v1, v0
	v_and_b32_e32 v2, 1, v0
	v_lshlrev_b32_e32 v3, 30, v0
	v_lshlrev_b32_e32 v4, 29, v0
	;; [unrolled: 1-line block ×4, first 2 shown]
	v_add_co_u32 v2, s14, v2, -1
	s_delay_alu instid0(VALU_DEP_1)
	v_cndmask_b32_e64 v6, 0, 1, s14
	v_not_b32_e32 v48, v3
	v_cmp_gt_i32_e64 s15, 0, v3
	v_not_b32_e32 v3, v4
	v_lshlrev_b32_e32 v46, 26, v0
	v_cmp_ne_u32_e64 s14, 0, v6
	v_ashrrev_i32_e32 v6, 31, v48
	v_lshlrev_b32_e32 v47, 25, v0
	v_ashrrev_i32_e32 v3, 31, v3
	v_mul_lo_u32 v1, v0, 6
	v_xor_b32_e32 v2, s14, v2
	v_cmp_gt_i32_e64 s14, 0, v4
	v_not_b32_e32 v4, v5
	v_xor_b32_e32 v6, s15, v6
	v_cmp_gt_i32_e64 s15, 0, v5
	v_and_b32_e32 v2, exec_lo, v2
	v_not_b32_e32 v5, v7
	v_ashrrev_i32_e32 v4, 31, v4
	v_xor_b32_e32 v3, s14, v3
	v_cmp_gt_i32_e64 s14, 0, v7
	v_and_b32_e32 v2, v2, v6
	v_not_b32_e32 v6, v46
	v_ashrrev_i32_e32 v5, 31, v5
	v_xor_b32_e32 v4, s15, v4
	v_lshlrev_b32_e32 v0, 24, v0
	v_and_b32_e32 v2, v2, v3
	v_cmp_gt_i32_e64 s15, 0, v46
	v_not_b32_e32 v3, v47
	v_ashrrev_i32_e32 v6, 31, v6
	v_xor_b32_e32 v5, s14, v5
	v_and_b32_e32 v2, v2, v4
	v_cmp_gt_i32_e64 s14, 0, v47
	v_not_b32_e32 v4, v0
	v_ashrrev_i32_e32 v3, 31, v3
	v_xor_b32_e32 v6, s15, v6
	v_and_b32_e32 v2, v2, v5
	v_cmp_gt_i32_e64 s15, 0, v0
	v_ashrrev_i32_e32 v0, 31, v4
	v_xor_b32_e32 v3, s14, v3
	v_add_lshl_u32 v1, v1, v33, 2
	v_and_b32_e32 v2, v2, v6
	s_delay_alu instid0(VALU_DEP_4) | instskip(SKIP_3) | instid1(VALU_DEP_2)
	v_xor_b32_e32 v0, s15, v0
	ds_load_b32 v46, v1 offset:24
	v_and_b32_e32 v2, v2, v3
	v_add_nc_u32_e32 v48, 24, v1
	; wave barrier
	v_and_b32_e32 v0, v2, v0
	s_delay_alu instid0(VALU_DEP_1) | instskip(SKIP_1) | instid1(VALU_DEP_2)
	v_mbcnt_lo_u32_b32 v47, v0, 0
	v_cmp_ne_u32_e64 s15, 0, v0
	v_cmp_eq_u32_e64 s14, 0, v47
	s_delay_alu instid0(VALU_DEP_1) | instskip(NEXT) | instid1(SALU_CYCLE_1)
	s_and_b32 s15, s14, s15
	s_and_saveexec_b32 s14, s15
	s_cbranch_execz .LBB359_10
; %bb.9:                                ;   in Loop: Header=BB359_4 Depth=2
	s_waitcnt lgkmcnt(0)
	v_bcnt_u32_b32 v0, v0, v46
	ds_store_b32 v48, v0
.LBB359_10:                             ;   in Loop: Header=BB359_4 Depth=2
	s_or_b32 exec_lo, exec_lo, s14
	v_lshrrev_b32_e32 v0, s30, v26
	v_lshrrev_b32_e32 v1, s27, v27
	; wave barrier
	s_delay_alu instid0(VALU_DEP_1) | instskip(NEXT) | instid1(VALU_DEP_1)
	v_and_b32_e32 v1, s28, v1
	v_dual_cndmask_b32 v1, 0, v1 :: v_dual_and_b32 v0, s31, v0
	s_delay_alu instid0(VALU_DEP_1) | instskip(NEXT) | instid1(VALU_DEP_1)
	v_lshlrev_b32_e32 v0, s29, v0
	v_cndmask_b32_e64 v0, 0, v0, s13
	s_delay_alu instid0(VALU_DEP_1) | instskip(NEXT) | instid1(VALU_DEP_1)
	v_or_b32_e32 v0, v1, v0
	v_and_b32_e32 v2, 1, v0
	v_lshlrev_b32_e32 v3, 30, v0
	v_lshlrev_b32_e32 v4, 29, v0
	;; [unrolled: 1-line block ×4, first 2 shown]
	v_add_co_u32 v2, s14, v2, -1
	s_delay_alu instid0(VALU_DEP_1)
	v_cndmask_b32_e64 v6, 0, 1, s14
	v_not_b32_e32 v51, v3
	v_cmp_gt_i32_e64 s15, 0, v3
	v_not_b32_e32 v3, v4
	v_lshlrev_b32_e32 v49, 26, v0
	v_cmp_ne_u32_e64 s14, 0, v6
	v_ashrrev_i32_e32 v6, 31, v51
	v_lshlrev_b32_e32 v50, 25, v0
	v_ashrrev_i32_e32 v3, 31, v3
	v_mul_lo_u32 v1, v0, 6
	v_xor_b32_e32 v2, s14, v2
	v_cmp_gt_i32_e64 s14, 0, v4
	v_not_b32_e32 v4, v5
	v_xor_b32_e32 v6, s15, v6
	v_cmp_gt_i32_e64 s15, 0, v5
	v_and_b32_e32 v2, exec_lo, v2
	v_not_b32_e32 v5, v7
	v_ashrrev_i32_e32 v4, 31, v4
	v_xor_b32_e32 v3, s14, v3
	v_cmp_gt_i32_e64 s14, 0, v7
	v_and_b32_e32 v2, v2, v6
	v_not_b32_e32 v6, v49
	v_ashrrev_i32_e32 v5, 31, v5
	v_xor_b32_e32 v4, s15, v4
	v_lshlrev_b32_e32 v0, 24, v0
	v_and_b32_e32 v2, v2, v3
	v_cmp_gt_i32_e64 s15, 0, v49
	v_not_b32_e32 v3, v50
	v_ashrrev_i32_e32 v6, 31, v6
	v_xor_b32_e32 v5, s14, v5
	v_and_b32_e32 v2, v2, v4
	v_cmp_gt_i32_e64 s14, 0, v50
	v_not_b32_e32 v4, v0
	v_ashrrev_i32_e32 v3, 31, v3
	v_xor_b32_e32 v6, s15, v6
	v_and_b32_e32 v2, v2, v5
	v_cmp_gt_i32_e64 s15, 0, v0
	v_ashrrev_i32_e32 v0, 31, v4
	v_xor_b32_e32 v3, s14, v3
	v_add_lshl_u32 v1, v1, v33, 2
	v_and_b32_e32 v2, v2, v6
	s_delay_alu instid0(VALU_DEP_4) | instskip(SKIP_3) | instid1(VALU_DEP_2)
	v_xor_b32_e32 v0, s15, v0
	ds_load_b32 v49, v1 offset:24
	v_and_b32_e32 v2, v2, v3
	v_add_nc_u32_e32 v51, 24, v1
	; wave barrier
	v_and_b32_e32 v0, v2, v0
	s_delay_alu instid0(VALU_DEP_1) | instskip(SKIP_1) | instid1(VALU_DEP_2)
	v_mbcnt_lo_u32_b32 v50, v0, 0
	v_cmp_ne_u32_e64 s15, 0, v0
	v_cmp_eq_u32_e64 s14, 0, v50
	s_delay_alu instid0(VALU_DEP_1) | instskip(NEXT) | instid1(SALU_CYCLE_1)
	s_and_b32 s15, s14, s15
	s_and_saveexec_b32 s14, s15
	s_cbranch_execz .LBB359_12
; %bb.11:                               ;   in Loop: Header=BB359_4 Depth=2
	s_waitcnt lgkmcnt(0)
	v_bcnt_u32_b32 v0, v0, v49
	ds_store_b32 v51, v0
.LBB359_12:                             ;   in Loop: Header=BB359_4 Depth=2
	s_or_b32 exec_lo, exec_lo, s14
	v_lshrrev_b32_e32 v0, s30, v36
	v_lshrrev_b32_e32 v1, s27, v37
	; wave barrier
	s_delay_alu instid0(VALU_DEP_1) | instskip(NEXT) | instid1(VALU_DEP_1)
	v_and_b32_e32 v1, s28, v1
	v_dual_cndmask_b32 v1, 0, v1 :: v_dual_and_b32 v0, s31, v0
	s_delay_alu instid0(VALU_DEP_1) | instskip(NEXT) | instid1(VALU_DEP_1)
	v_lshlrev_b32_e32 v0, s29, v0
	v_cndmask_b32_e64 v0, 0, v0, s13
	s_delay_alu instid0(VALU_DEP_1) | instskip(NEXT) | instid1(VALU_DEP_1)
	v_or_b32_e32 v0, v1, v0
	v_and_b32_e32 v2, 1, v0
	v_lshlrev_b32_e32 v3, 30, v0
	v_lshlrev_b32_e32 v4, 29, v0
	;; [unrolled: 1-line block ×4, first 2 shown]
	v_add_co_u32 v2, s14, v2, -1
	s_delay_alu instid0(VALU_DEP_1)
	v_cndmask_b32_e64 v6, 0, 1, s14
	v_not_b32_e32 v54, v3
	v_cmp_gt_i32_e64 s15, 0, v3
	v_not_b32_e32 v3, v4
	v_lshlrev_b32_e32 v52, 26, v0
	v_cmp_ne_u32_e64 s14, 0, v6
	v_ashrrev_i32_e32 v6, 31, v54
	v_lshlrev_b32_e32 v53, 25, v0
	v_ashrrev_i32_e32 v3, 31, v3
	v_mul_lo_u32 v1, v0, 6
	v_xor_b32_e32 v2, s14, v2
	v_cmp_gt_i32_e64 s14, 0, v4
	v_not_b32_e32 v4, v5
	v_xor_b32_e32 v6, s15, v6
	v_cmp_gt_i32_e64 s15, 0, v5
	v_and_b32_e32 v2, exec_lo, v2
	v_not_b32_e32 v5, v7
	v_ashrrev_i32_e32 v4, 31, v4
	v_xor_b32_e32 v3, s14, v3
	v_cmp_gt_i32_e64 s14, 0, v7
	v_and_b32_e32 v2, v2, v6
	v_not_b32_e32 v6, v52
	v_ashrrev_i32_e32 v5, 31, v5
	v_xor_b32_e32 v4, s15, v4
	v_lshlrev_b32_e32 v0, 24, v0
	v_and_b32_e32 v2, v2, v3
	v_cmp_gt_i32_e64 s15, 0, v52
	v_not_b32_e32 v3, v53
	v_ashrrev_i32_e32 v6, 31, v6
	v_xor_b32_e32 v5, s14, v5
	v_and_b32_e32 v2, v2, v4
	v_cmp_gt_i32_e64 s14, 0, v53
	v_not_b32_e32 v4, v0
	v_ashrrev_i32_e32 v3, 31, v3
	v_xor_b32_e32 v6, s15, v6
	v_and_b32_e32 v2, v2, v5
	v_cmp_gt_i32_e64 s15, 0, v0
	v_ashrrev_i32_e32 v0, 31, v4
	v_xor_b32_e32 v3, s14, v3
	v_add_lshl_u32 v1, v1, v33, 2
	v_and_b32_e32 v2, v2, v6
	s_delay_alu instid0(VALU_DEP_4) | instskip(SKIP_3) | instid1(VALU_DEP_2)
	v_xor_b32_e32 v0, s15, v0
	ds_load_b32 v52, v1 offset:24
	v_and_b32_e32 v2, v2, v3
	v_add_nc_u32_e32 v54, 24, v1
	; wave barrier
	v_and_b32_e32 v0, v2, v0
	s_delay_alu instid0(VALU_DEP_1) | instskip(SKIP_1) | instid1(VALU_DEP_2)
	v_mbcnt_lo_u32_b32 v53, v0, 0
	v_cmp_ne_u32_e64 s15, 0, v0
	v_cmp_eq_u32_e64 s14, 0, v53
	s_delay_alu instid0(VALU_DEP_1) | instskip(NEXT) | instid1(SALU_CYCLE_1)
	s_and_b32 s15, s14, s15
	s_and_saveexec_b32 s14, s15
	s_cbranch_execz .LBB359_14
; %bb.13:                               ;   in Loop: Header=BB359_4 Depth=2
	s_waitcnt lgkmcnt(0)
	v_bcnt_u32_b32 v0, v0, v52
	ds_store_b32 v54, v0
.LBB359_14:                             ;   in Loop: Header=BB359_4 Depth=2
	s_or_b32 exec_lo, exec_lo, s14
	v_lshrrev_b32_e32 v0, s30, v34
	v_lshrrev_b32_e32 v1, s27, v35
	; wave barrier
	s_delay_alu instid0(VALU_DEP_1) | instskip(NEXT) | instid1(VALU_DEP_1)
	v_and_b32_e32 v1, s28, v1
	v_dual_cndmask_b32 v1, 0, v1 :: v_dual_and_b32 v0, s31, v0
	s_delay_alu instid0(VALU_DEP_1) | instskip(NEXT) | instid1(VALU_DEP_1)
	v_lshlrev_b32_e32 v0, s29, v0
	v_cndmask_b32_e64 v0, 0, v0, s13
	s_delay_alu instid0(VALU_DEP_1) | instskip(NEXT) | instid1(VALU_DEP_1)
	v_or_b32_e32 v0, v1, v0
	v_and_b32_e32 v2, 1, v0
	v_lshlrev_b32_e32 v3, 30, v0
	v_lshlrev_b32_e32 v4, 29, v0
	;; [unrolled: 1-line block ×4, first 2 shown]
	v_add_co_u32 v2, s14, v2, -1
	s_delay_alu instid0(VALU_DEP_1)
	v_cndmask_b32_e64 v6, 0, 1, s14
	v_not_b32_e32 v57, v3
	v_cmp_gt_i32_e64 s15, 0, v3
	v_not_b32_e32 v3, v4
	v_lshlrev_b32_e32 v55, 26, v0
	v_cmp_ne_u32_e64 s14, 0, v6
	v_ashrrev_i32_e32 v6, 31, v57
	v_lshlrev_b32_e32 v56, 25, v0
	v_ashrrev_i32_e32 v3, 31, v3
	v_mul_lo_u32 v1, v0, 6
	v_xor_b32_e32 v2, s14, v2
	v_cmp_gt_i32_e64 s14, 0, v4
	v_not_b32_e32 v4, v5
	v_xor_b32_e32 v6, s15, v6
	v_cmp_gt_i32_e64 s15, 0, v5
	v_and_b32_e32 v2, exec_lo, v2
	v_not_b32_e32 v5, v7
	v_ashrrev_i32_e32 v4, 31, v4
	v_xor_b32_e32 v3, s14, v3
	v_cmp_gt_i32_e64 s14, 0, v7
	v_and_b32_e32 v2, v2, v6
	v_not_b32_e32 v6, v55
	v_ashrrev_i32_e32 v5, 31, v5
	v_xor_b32_e32 v4, s15, v4
	v_lshlrev_b32_e32 v0, 24, v0
	v_and_b32_e32 v2, v2, v3
	v_cmp_gt_i32_e64 s15, 0, v55
	v_not_b32_e32 v3, v56
	v_ashrrev_i32_e32 v6, 31, v6
	v_xor_b32_e32 v5, s14, v5
	v_and_b32_e32 v2, v2, v4
	v_cmp_gt_i32_e64 s14, 0, v56
	v_not_b32_e32 v4, v0
	v_ashrrev_i32_e32 v3, 31, v3
	v_xor_b32_e32 v6, s15, v6
	v_and_b32_e32 v2, v2, v5
	v_cmp_gt_i32_e64 s15, 0, v0
	v_ashrrev_i32_e32 v0, 31, v4
	v_xor_b32_e32 v3, s14, v3
	v_add_lshl_u32 v1, v1, v33, 2
	v_and_b32_e32 v2, v2, v6
	s_delay_alu instid0(VALU_DEP_4) | instskip(SKIP_3) | instid1(VALU_DEP_2)
	v_xor_b32_e32 v0, s15, v0
	ds_load_b32 v55, v1 offset:24
	v_and_b32_e32 v2, v2, v3
	v_add_nc_u32_e32 v57, 24, v1
	; wave barrier
	v_and_b32_e32 v0, v2, v0
	s_delay_alu instid0(VALU_DEP_1) | instskip(SKIP_1) | instid1(VALU_DEP_2)
	v_mbcnt_lo_u32_b32 v56, v0, 0
	v_cmp_ne_u32_e64 s15, 0, v0
	v_cmp_eq_u32_e64 s14, 0, v56
	s_delay_alu instid0(VALU_DEP_1) | instskip(NEXT) | instid1(SALU_CYCLE_1)
	s_and_b32 s15, s14, s15
	s_and_saveexec_b32 s14, s15
	s_cbranch_execz .LBB359_16
; %bb.15:                               ;   in Loop: Header=BB359_4 Depth=2
	s_waitcnt lgkmcnt(0)
	v_bcnt_u32_b32 v0, v0, v55
	ds_store_b32 v57, v0
.LBB359_16:                             ;   in Loop: Header=BB359_4 Depth=2
	s_or_b32 exec_lo, exec_lo, s14
	v_lshrrev_b32_e32 v0, s30, v30
	v_lshrrev_b32_e32 v1, s27, v31
	; wave barrier
	s_delay_alu instid0(VALU_DEP_1) | instskip(NEXT) | instid1(VALU_DEP_1)
	v_and_b32_e32 v1, s28, v1
	v_dual_cndmask_b32 v1, 0, v1 :: v_dual_and_b32 v0, s31, v0
	s_delay_alu instid0(VALU_DEP_1) | instskip(NEXT) | instid1(VALU_DEP_1)
	v_lshlrev_b32_e32 v0, s29, v0
	v_cndmask_b32_e64 v0, 0, v0, s13
	s_delay_alu instid0(VALU_DEP_1) | instskip(NEXT) | instid1(VALU_DEP_1)
	v_or_b32_e32 v0, v1, v0
	v_and_b32_e32 v2, 1, v0
	v_lshlrev_b32_e32 v3, 30, v0
	v_lshlrev_b32_e32 v4, 29, v0
	;; [unrolled: 1-line block ×4, first 2 shown]
	v_add_co_u32 v2, s14, v2, -1
	s_delay_alu instid0(VALU_DEP_1)
	v_cndmask_b32_e64 v6, 0, 1, s14
	v_not_b32_e32 v60, v3
	v_cmp_gt_i32_e64 s15, 0, v3
	v_not_b32_e32 v3, v4
	v_lshlrev_b32_e32 v58, 26, v0
	v_cmp_ne_u32_e64 s14, 0, v6
	v_ashrrev_i32_e32 v6, 31, v60
	v_lshlrev_b32_e32 v59, 25, v0
	v_ashrrev_i32_e32 v3, 31, v3
	v_mul_lo_u32 v1, v0, 6
	v_xor_b32_e32 v2, s14, v2
	v_cmp_gt_i32_e64 s14, 0, v4
	v_not_b32_e32 v4, v5
	v_xor_b32_e32 v6, s15, v6
	v_cmp_gt_i32_e64 s15, 0, v5
	v_and_b32_e32 v2, exec_lo, v2
	v_not_b32_e32 v5, v7
	v_ashrrev_i32_e32 v4, 31, v4
	v_xor_b32_e32 v3, s14, v3
	v_cmp_gt_i32_e64 s14, 0, v7
	v_and_b32_e32 v2, v2, v6
	v_not_b32_e32 v6, v58
	v_ashrrev_i32_e32 v5, 31, v5
	v_xor_b32_e32 v4, s15, v4
	v_lshlrev_b32_e32 v0, 24, v0
	v_and_b32_e32 v2, v2, v3
	v_cmp_gt_i32_e64 s15, 0, v58
	v_not_b32_e32 v3, v59
	v_ashrrev_i32_e32 v6, 31, v6
	v_xor_b32_e32 v5, s14, v5
	v_and_b32_e32 v2, v2, v4
	v_cmp_gt_i32_e64 s14, 0, v59
	v_not_b32_e32 v4, v0
	v_ashrrev_i32_e32 v3, 31, v3
	v_xor_b32_e32 v6, s15, v6
	v_and_b32_e32 v2, v2, v5
	v_cmp_gt_i32_e64 s15, 0, v0
	v_ashrrev_i32_e32 v0, 31, v4
	v_xor_b32_e32 v3, s14, v3
	v_add_lshl_u32 v1, v1, v33, 2
	v_and_b32_e32 v2, v2, v6
	s_delay_alu instid0(VALU_DEP_4) | instskip(SKIP_3) | instid1(VALU_DEP_2)
	v_xor_b32_e32 v0, s15, v0
	ds_load_b32 v58, v1 offset:24
	v_and_b32_e32 v2, v2, v3
	v_add_nc_u32_e32 v60, 24, v1
	; wave barrier
	v_and_b32_e32 v0, v2, v0
	s_delay_alu instid0(VALU_DEP_1) | instskip(SKIP_1) | instid1(VALU_DEP_2)
	v_mbcnt_lo_u32_b32 v59, v0, 0
	v_cmp_ne_u32_e64 s15, 0, v0
	v_cmp_eq_u32_e64 s14, 0, v59
	s_delay_alu instid0(VALU_DEP_1) | instskip(NEXT) | instid1(SALU_CYCLE_1)
	s_and_b32 s15, s14, s15
	s_and_saveexec_b32 s14, s15
	s_cbranch_execz .LBB359_18
; %bb.17:                               ;   in Loop: Header=BB359_4 Depth=2
	s_waitcnt lgkmcnt(0)
	v_bcnt_u32_b32 v0, v0, v58
	ds_store_b32 v60, v0
.LBB359_18:                             ;   in Loop: Header=BB359_4 Depth=2
	s_or_b32 exec_lo, exec_lo, s14
	v_lshrrev_b32_e32 v0, s30, v28
	v_lshrrev_b32_e32 v1, s27, v29
	; wave barrier
	s_delay_alu instid0(VALU_DEP_1) | instskip(NEXT) | instid1(VALU_DEP_1)
	v_and_b32_e32 v1, s28, v1
	v_dual_cndmask_b32 v1, 0, v1 :: v_dual_and_b32 v0, s31, v0
	s_delay_alu instid0(VALU_DEP_1) | instskip(NEXT) | instid1(VALU_DEP_1)
	v_lshlrev_b32_e32 v0, s29, v0
	v_cndmask_b32_e64 v0, 0, v0, s13
	s_delay_alu instid0(VALU_DEP_1) | instskip(NEXT) | instid1(VALU_DEP_1)
	v_or_b32_e32 v0, v1, v0
	v_and_b32_e32 v2, 1, v0
	v_lshlrev_b32_e32 v3, 30, v0
	v_lshlrev_b32_e32 v4, 29, v0
	;; [unrolled: 1-line block ×4, first 2 shown]
	v_add_co_u32 v2, s13, v2, -1
	s_delay_alu instid0(VALU_DEP_1)
	v_cndmask_b32_e64 v6, 0, 1, s13
	v_not_b32_e32 v63, v3
	v_cmp_gt_i32_e64 s13, 0, v3
	v_not_b32_e32 v3, v4
	v_lshlrev_b32_e32 v61, 26, v0
	v_cmp_ne_u32_e32 vcc_lo, 0, v6
	v_ashrrev_i32_e32 v6, 31, v63
	v_lshlrev_b32_e32 v62, 25, v0
	v_ashrrev_i32_e32 v3, 31, v3
	v_mul_lo_u32 v1, v0, 6
	v_xor_b32_e32 v2, vcc_lo, v2
	v_cmp_gt_i32_e32 vcc_lo, 0, v4
	v_not_b32_e32 v4, v5
	v_xor_b32_e32 v6, s13, v6
	v_cmp_gt_i32_e64 s13, 0, v5
	v_and_b32_e32 v2, exec_lo, v2
	v_not_b32_e32 v5, v7
	v_ashrrev_i32_e32 v4, 31, v4
	v_xor_b32_e32 v3, vcc_lo, v3
	v_cmp_gt_i32_e32 vcc_lo, 0, v7
	v_and_b32_e32 v2, v2, v6
	v_not_b32_e32 v6, v61
	v_ashrrev_i32_e32 v5, 31, v5
	v_xor_b32_e32 v4, s13, v4
	v_lshlrev_b32_e32 v0, 24, v0
	v_and_b32_e32 v2, v2, v3
	v_cmp_gt_i32_e64 s13, 0, v61
	v_not_b32_e32 v3, v62
	v_ashrrev_i32_e32 v6, 31, v6
	v_xor_b32_e32 v5, vcc_lo, v5
	v_and_b32_e32 v2, v2, v4
	v_cmp_gt_i32_e32 vcc_lo, 0, v62
	v_not_b32_e32 v4, v0
	v_ashrrev_i32_e32 v3, 31, v3
	v_xor_b32_e32 v6, s13, v6
	v_and_b32_e32 v2, v2, v5
	v_cmp_gt_i32_e64 s13, 0, v0
	v_ashrrev_i32_e32 v0, 31, v4
	v_xor_b32_e32 v3, vcc_lo, v3
	v_add_lshl_u32 v1, v1, v33, 2
	v_and_b32_e32 v2, v2, v6
	s_delay_alu instid0(VALU_DEP_4) | instskip(SKIP_3) | instid1(VALU_DEP_2)
	v_xor_b32_e32 v0, s13, v0
	ds_load_b32 v61, v1 offset:24
	v_and_b32_e32 v2, v2, v3
	v_add_nc_u32_e32 v63, 24, v1
	; wave barrier
	v_and_b32_e32 v0, v2, v0
	s_delay_alu instid0(VALU_DEP_1) | instskip(SKIP_1) | instid1(VALU_DEP_2)
	v_mbcnt_lo_u32_b32 v62, v0, 0
	v_cmp_ne_u32_e64 s13, 0, v0
	v_cmp_eq_u32_e32 vcc_lo, 0, v62
	s_delay_alu instid0(VALU_DEP_2) | instskip(NEXT) | instid1(SALU_CYCLE_1)
	s_and_b32 s14, vcc_lo, s13
	s_and_saveexec_b32 s13, s14
	s_cbranch_execz .LBB359_20
; %bb.19:                               ;   in Loop: Header=BB359_4 Depth=2
	s_waitcnt lgkmcnt(0)
	v_bcnt_u32_b32 v0, v0, v61
	ds_store_b32 v63, v0
.LBB359_20:                             ;   in Loop: Header=BB359_4 Depth=2
	s_or_b32 exec_lo, exec_lo, s13
	; wave barrier
	s_waitcnt lgkmcnt(0)
	s_barrier
	buffer_gl0_inv
	ds_load_2addr_b64 v[4:7], v67 offset0:3 offset1:4
	ds_load_2addr_b64 v[0:3], v68 offset0:2 offset1:3
	s_waitcnt lgkmcnt(1)
	v_add_nc_u32_e32 v64, v5, v4
	s_delay_alu instid0(VALU_DEP_1) | instskip(SKIP_1) | instid1(VALU_DEP_1)
	v_add3_u32 v64, v64, v6, v7
	s_waitcnt lgkmcnt(0)
	v_add3_u32 v64, v64, v0, v1
	s_delay_alu instid0(VALU_DEP_1) | instskip(NEXT) | instid1(VALU_DEP_1)
	v_add3_u32 v3, v64, v2, v3
	v_mov_b32_dpp v64, v3 row_shr:1 row_mask:0xf bank_mask:0xf
	s_delay_alu instid0(VALU_DEP_1) | instskip(NEXT) | instid1(VALU_DEP_1)
	v_cndmask_b32_e64 v64, v64, 0, s1
	v_add_nc_u32_e32 v3, v64, v3
	s_delay_alu instid0(VALU_DEP_1) | instskip(NEXT) | instid1(VALU_DEP_1)
	v_mov_b32_dpp v64, v3 row_shr:2 row_mask:0xf bank_mask:0xf
	v_cndmask_b32_e64 v64, 0, v64, s2
	s_delay_alu instid0(VALU_DEP_1) | instskip(NEXT) | instid1(VALU_DEP_1)
	v_add_nc_u32_e32 v3, v3, v64
	v_mov_b32_dpp v64, v3 row_shr:4 row_mask:0xf bank_mask:0xf
	s_delay_alu instid0(VALU_DEP_1) | instskip(NEXT) | instid1(VALU_DEP_1)
	v_cndmask_b32_e64 v64, 0, v64, s3
	v_add_nc_u32_e32 v3, v3, v64
	s_delay_alu instid0(VALU_DEP_1) | instskip(NEXT) | instid1(VALU_DEP_1)
	v_mov_b32_dpp v64, v3 row_shr:8 row_mask:0xf bank_mask:0xf
	v_cndmask_b32_e64 v64, 0, v64, s4
	s_delay_alu instid0(VALU_DEP_1) | instskip(SKIP_3) | instid1(VALU_DEP_1)
	v_add_nc_u32_e32 v3, v3, v64
	ds_swizzle_b32 v64, v3 offset:swizzle(BROADCAST,32,15)
	s_waitcnt lgkmcnt(0)
	v_cndmask_b32_e64 v64, v64, 0, s5
	v_add_nc_u32_e32 v3, v3, v64
	s_and_saveexec_b32 s13, s12
	s_cbranch_execz .LBB359_22
; %bb.21:                               ;   in Loop: Header=BB359_4 Depth=2
	ds_store_b32 v70, v3
.LBB359_22:                             ;   in Loop: Header=BB359_4 Depth=2
	s_or_b32 exec_lo, exec_lo, s13
	s_waitcnt lgkmcnt(0)
	s_barrier
	buffer_gl0_inv
	s_and_saveexec_b32 s13, s6
	s_cbranch_execz .LBB359_24
; %bb.23:                               ;   in Loop: Header=BB359_4 Depth=2
	ds_load_b32 v64, v71
	s_waitcnt lgkmcnt(0)
	v_mov_b32_dpp v65, v64 row_shr:1 row_mask:0xf bank_mask:0xf
	s_delay_alu instid0(VALU_DEP_1) | instskip(NEXT) | instid1(VALU_DEP_1)
	v_cndmask_b32_e64 v65, v65, 0, s9
	v_add_nc_u32_e32 v64, v65, v64
	s_delay_alu instid0(VALU_DEP_1) | instskip(NEXT) | instid1(VALU_DEP_1)
	v_mov_b32_dpp v65, v64 row_shr:2 row_mask:0xf bank_mask:0xf
	v_cndmask_b32_e64 v65, 0, v65, s10
	s_delay_alu instid0(VALU_DEP_1) | instskip(NEXT) | instid1(VALU_DEP_1)
	v_add_nc_u32_e32 v64, v64, v65
	v_mov_b32_dpp v65, v64 row_shr:4 row_mask:0xf bank_mask:0xf
	s_delay_alu instid0(VALU_DEP_1) | instskip(NEXT) | instid1(VALU_DEP_1)
	v_cndmask_b32_e64 v65, 0, v65, s11
	v_add_nc_u32_e32 v64, v64, v65
	ds_store_b32 v71, v64
.LBB359_24:                             ;   in Loop: Header=BB359_4 Depth=2
	s_or_b32 exec_lo, exec_lo, s13
	v_mov_b32_e32 v64, 0
	s_waitcnt lgkmcnt(0)
	s_barrier
	buffer_gl0_inv
	s_and_saveexec_b32 s13, s7
	s_cbranch_execz .LBB359_26
; %bb.25:                               ;   in Loop: Header=BB359_4 Depth=2
	ds_load_b32 v64, v72
.LBB359_26:                             ;   in Loop: Header=BB359_4 Depth=2
	s_or_b32 exec_lo, exec_lo, s13
	s_waitcnt lgkmcnt(0)
	v_add_nc_u32_e32 v3, v64, v3
	s_cmp_gt_u32 s27, 55
	ds_bpermute_b32 v3, v69, v3
	s_waitcnt lgkmcnt(0)
	v_cndmask_b32_e64 v3, v3, v64, s0
	s_delay_alu instid0(VALU_DEP_1) | instskip(NEXT) | instid1(VALU_DEP_1)
	v_cndmask_b32_e64 v3, v3, 0, s8
	v_add_nc_u32_e32 v4, v3, v4
	s_delay_alu instid0(VALU_DEP_1) | instskip(NEXT) | instid1(VALU_DEP_1)
	v_add_nc_u32_e32 v5, v4, v5
	v_add_nc_u32_e32 v6, v5, v6
	s_delay_alu instid0(VALU_DEP_1) | instskip(NEXT) | instid1(VALU_DEP_1)
	v_add_nc_u32_e32 v64, v6, v7
	;; [unrolled: 3-line block ×3, first 2 shown]
	v_add_nc_u32_e32 v1, v0, v2
	ds_store_2addr_b64 v67, v[3:4], v[5:6] offset0:3 offset1:4
	ds_store_2addr_b64 v68, v[64:65], v[0:1] offset0:2 offset1:3
	s_waitcnt lgkmcnt(0)
	s_barrier
	buffer_gl0_inv
	ds_load_b32 v0, v42
	ds_load_b32 v1, v45
	;; [unrolled: 1-line block ×8, first 2 shown]
	s_waitcnt lgkmcnt(0)
	v_add_nc_u32_e32 v89, v0, v32
	v_add3_u32 v88, v44, v43, v1
	v_add3_u32 v87, v47, v46, v2
	;; [unrolled: 1-line block ×7, first 2 shown]
	s_cbranch_scc0 .LBB359_3
; %bb.27:                               ;   in Loop: Header=BB359_2 Depth=1
                                        ; implicit-def: $sgpr27
                                        ; implicit-def: $vgpr52_vgpr53
                                        ; implicit-def: $vgpr54_vgpr55
                                        ; implicit-def: $vgpr56_vgpr57
                                        ; implicit-def: $vgpr58_vgpr59
                                        ; implicit-def: $vgpr60_vgpr61
                                        ; implicit-def: $vgpr62_vgpr63
                                        ; implicit-def: $vgpr64_vgpr65
                                        ; implicit-def: $vgpr48_vgpr49
                                        ; implicit-def: $vgpr50_vgpr51
                                        ; implicit-def: $vgpr0_vgpr1
                                        ; implicit-def: $vgpr2_vgpr3
                                        ; implicit-def: $vgpr6_vgpr7
                                        ; implicit-def: $vgpr4_vgpr5
                                        ; implicit-def: $vgpr42_vgpr43
                                        ; implicit-def: $vgpr44_vgpr45
                                        ; implicit-def: $vgpr46_vgpr47
                                        ; implicit-def: $sgpr26
                                        ; implicit-def: $sgpr25
	s_branch .LBB359_1
.LBB359_28:
	s_add_u32 s0, s18, s20
	s_waitcnt lgkmcnt(0)
	v_add_nc_u32_e32 v0, v1, v17
	v_add_nc_u32_e32 v1, v2, v18
	;; [unrolled: 1-line block ×3, first 2 shown]
	s_addc_u32 s1, s19, s21
	v_add_co_u32 v19, s2, s0, v66
	v_add_nc_u32_e32 v13, v13, v21
	v_add_co_ci_u32_e64 v21, null, s1, 0, s2
	v_add_nc_u32_e32 v5, v5, v29
	v_add_nc_u32_e32 v6, v6, v30
	v_add_co_u32 v17, vcc_lo, 0x1000, v19
	v_add_nc_u32_e32 v7, v7, v31
	v_add_nc_u32_e32 v8, v8, v32
	;; [unrolled: 1-line block ×4, first 2 shown]
	v_add_co_ci_u32_e32 v18, vcc_lo, 0, v21, vcc_lo
	v_add_nc_u32_e32 v11, v11, v27
	v_add_nc_u32_e32 v12, v12, v28
	v_add_co_u32 v19, vcc_lo, 0x2000, v19
	v_add_nc_u32_e32 v14, v14, v22
	v_add_nc_u32_e32 v15, v15, v23
	;; [unrolled: 1-line block ×4, first 2 shown]
	v_add_co_ci_u32_e32 v20, vcc_lo, 0, v21, vcc_lo
	s_clause 0x7
	global_store_b64 v66, v[5:6], s[0:1]
	global_store_b64 v66, v[7:8], s[0:1] offset:1536
	global_store_b64 v66, v[9:10], s[0:1] offset:3072
	global_store_b64 v[17:18], v[11:12], off offset:512
	global_store_b64 v[17:18], v[13:14], off offset:2048
	;; [unrolled: 1-line block ×5, first 2 shown]
	s_nop 0
	s_sendmsg sendmsg(MSG_DEALLOC_VGPRS)
	s_endpgm
	.section	.rodata,"a",@progbits
	.p2align	6, 0x0
	.amdhsa_kernel _Z17sort_pairs_kernelI22helper_blocked_stripedN15benchmark_utils11custom_typeIiiEELj192ELj8ELj10EEvPKT0_PS4_
		.amdhsa_group_segment_fixed_size 12672
		.amdhsa_private_segment_fixed_size 0
		.amdhsa_kernarg_size 272
		.amdhsa_user_sgpr_count 15
		.amdhsa_user_sgpr_dispatch_ptr 0
		.amdhsa_user_sgpr_queue_ptr 0
		.amdhsa_user_sgpr_kernarg_segment_ptr 1
		.amdhsa_user_sgpr_dispatch_id 0
		.amdhsa_user_sgpr_private_segment_size 0
		.amdhsa_wavefront_size32 1
		.amdhsa_uses_dynamic_stack 0
		.amdhsa_enable_private_segment 0
		.amdhsa_system_sgpr_workgroup_id_x 1
		.amdhsa_system_sgpr_workgroup_id_y 0
		.amdhsa_system_sgpr_workgroup_id_z 0
		.amdhsa_system_sgpr_workgroup_info 0
		.amdhsa_system_vgpr_workitem_id 2
		.amdhsa_next_free_vgpr 90
		.amdhsa_next_free_sgpr 32
		.amdhsa_reserve_vcc 1
		.amdhsa_float_round_mode_32 0
		.amdhsa_float_round_mode_16_64 0
		.amdhsa_float_denorm_mode_32 3
		.amdhsa_float_denorm_mode_16_64 3
		.amdhsa_dx10_clamp 1
		.amdhsa_ieee_mode 1
		.amdhsa_fp16_overflow 0
		.amdhsa_workgroup_processor_mode 1
		.amdhsa_memory_ordered 1
		.amdhsa_forward_progress 0
		.amdhsa_shared_vgpr_count 0
		.amdhsa_exception_fp_ieee_invalid_op 0
		.amdhsa_exception_fp_denorm_src 0
		.amdhsa_exception_fp_ieee_div_zero 0
		.amdhsa_exception_fp_ieee_overflow 0
		.amdhsa_exception_fp_ieee_underflow 0
		.amdhsa_exception_fp_ieee_inexact 0
		.amdhsa_exception_int_div_zero 0
	.end_amdhsa_kernel
	.section	.text._Z17sort_pairs_kernelI22helper_blocked_stripedN15benchmark_utils11custom_typeIiiEELj192ELj8ELj10EEvPKT0_PS4_,"axG",@progbits,_Z17sort_pairs_kernelI22helper_blocked_stripedN15benchmark_utils11custom_typeIiiEELj192ELj8ELj10EEvPKT0_PS4_,comdat
.Lfunc_end359:
	.size	_Z17sort_pairs_kernelI22helper_blocked_stripedN15benchmark_utils11custom_typeIiiEELj192ELj8ELj10EEvPKT0_PS4_, .Lfunc_end359-_Z17sort_pairs_kernelI22helper_blocked_stripedN15benchmark_utils11custom_typeIiiEELj192ELj8ELj10EEvPKT0_PS4_
                                        ; -- End function
	.section	.AMDGPU.csdata,"",@progbits
; Kernel info:
; codeLenInByte = 6076
; NumSgprs: 34
; NumVgprs: 90
; ScratchSize: 0
; MemoryBound: 0
; FloatMode: 240
; IeeeMode: 1
; LDSByteSize: 12672 bytes/workgroup (compile time only)
; SGPRBlocks: 4
; VGPRBlocks: 11
; NumSGPRsForWavesPerEU: 34
; NumVGPRsForWavesPerEU: 90
; Occupancy: 15
; WaveLimiterHint : 1
; COMPUTE_PGM_RSRC2:SCRATCH_EN: 0
; COMPUTE_PGM_RSRC2:USER_SGPR: 15
; COMPUTE_PGM_RSRC2:TRAP_HANDLER: 0
; COMPUTE_PGM_RSRC2:TGID_X_EN: 1
; COMPUTE_PGM_RSRC2:TGID_Y_EN: 0
; COMPUTE_PGM_RSRC2:TGID_Z_EN: 0
; COMPUTE_PGM_RSRC2:TIDIG_COMP_CNT: 2
	.section	.text._Z16sort_keys_kernelI22helper_blocked_stripedN15benchmark_utils11custom_typeIiiEELj256ELj1ELj10EEvPKT0_PS4_,"axG",@progbits,_Z16sort_keys_kernelI22helper_blocked_stripedN15benchmark_utils11custom_typeIiiEELj256ELj1ELj10EEvPKT0_PS4_,comdat
	.protected	_Z16sort_keys_kernelI22helper_blocked_stripedN15benchmark_utils11custom_typeIiiEELj256ELj1ELj10EEvPKT0_PS4_ ; -- Begin function _Z16sort_keys_kernelI22helper_blocked_stripedN15benchmark_utils11custom_typeIiiEELj256ELj1ELj10EEvPKT0_PS4_
	.globl	_Z16sort_keys_kernelI22helper_blocked_stripedN15benchmark_utils11custom_typeIiiEELj256ELj1ELj10EEvPKT0_PS4_
	.p2align	8
	.type	_Z16sort_keys_kernelI22helper_blocked_stripedN15benchmark_utils11custom_typeIiiEELj256ELj1ELj10EEvPKT0_PS4_,@function
_Z16sort_keys_kernelI22helper_blocked_stripedN15benchmark_utils11custom_typeIiiEELj256ELj1ELj10EEvPKT0_PS4_: ; @_Z16sort_keys_kernelI22helper_blocked_stripedN15benchmark_utils11custom_typeIiiEELj256ELj1ELj10EEvPKT0_PS4_
; %bb.0:
	s_clause 0x1
	s_load_b128 s[16:19], s[0:1], 0x0
	s_load_b32 s11, s[0:1], 0x1c
	s_mov_b32 s23, 0
	s_lshl_b32 s22, s15, 8
	v_mbcnt_lo_u32_b32 v5, -1, 0
	s_lshl_b64 s[20:21], s[22:23], 3
	v_bfe_u32 v3, v0, 10, 10
	s_mov_b32 s22, s23
	s_mov_b32 s15, 10
	v_and_b32_e32 v6, 16, v5
	v_add_nc_u32_e32 v7, -1, v5
	v_dual_mov_b32 v11, s22 :: v_dual_and_b32 v4, 15, v5
	v_dual_mov_b32 v12, s23 :: v_dual_and_b32 v13, 7, v5
	s_delay_alu instid0(VALU_DEP_4) | instskip(NEXT) | instid1(VALU_DEP_4)
	v_cmp_eq_u32_e64 s4, 0, v6
	v_cmp_gt_i32_e64 s7, 0, v7
	s_delay_alu instid0(VALU_DEP_4)
	v_cmp_lt_u32_e64 s2, 3, v4
	v_cmp_lt_u32_e64 s3, 7, v4
	v_cmp_eq_u32_e64 s8, 0, v13
	s_waitcnt lgkmcnt(0)
	s_add_u32 s0, s16, s20
	s_addc_u32 s1, s17, s21
	s_mov_b32 s16, s23
	s_mov_b32 s17, s23
	v_dual_mov_b32 v9, s16 :: v_dual_and_b32 v8, 0x3ff, v0
	v_mov_b32_e32 v10, s17
	v_bfe_u32 v0, v0, 20, 10
	s_lshr_b32 s12, s11, 16
	s_delay_alu instid0(VALU_DEP_3)
	v_lshlrev_b32_e32 v1, 3, v8
	v_lshlrev_b32_e32 v15, 5, v8
	v_and_b32_e32 v6, 0xe0, v8
	v_mad_u32_u24 v0, v0, s12, v3
	v_lshrrev_b32_e32 v14, 3, v8
	global_load_b64 v[1:2], v1, s[0:1]
	s_and_b32 s11, s11, 0xffff
	v_cmp_eq_u32_e64 s0, 0, v4
	v_cmp_lt_u32_e64 s1, 1, v4
	v_mad_u64_u32 v[3:4], null, v0, s11, v[8:9]
	v_cndmask_b32_e64 v7, v7, v5, s7
	v_cmp_lt_u32_e64 s9, 1, v13
	v_cmp_lt_u32_e64 s10, 3, v13
	v_lshlrev_b32_e32 v23, 2, v8
	v_or_b32_e32 v13, 31, v6
	v_and_b32_e32 v17, 28, v14
	v_or_b32_e32 v0, v5, v6
	v_mad_i32_i24 v19, 0xffffffe4, v8, v15
	v_cmp_eq_u32_e32 vcc_lo, 0, v5
	v_cmp_gt_u32_e64 s5, 8, v8
	v_cmp_lt_u32_e64 s6, 31, v8
	v_cmp_eq_u32_e64 s7, 0, v8
	v_add_nc_u32_e32 v16, 32, v15
	v_lshlrev_b32_e32 v18, 2, v7
	v_cmp_eq_u32_e64 s11, v13, v8
	v_add_nc_u32_e32 v20, -4, v17
	v_lshlrev_b32_e32 v21, 3, v0
	v_lshrrev_b32_e32 v22, 5, v3
	v_add_nc_u32_e32 v23, v19, v23
	s_waitcnt vmcnt(0)
	v_xor_b32_e32 v13, 0x80000000, v1
	v_xor_b32_e32 v14, 0x80000000, v2
	s_branch .LBB360_2
.LBB360_1:                              ;   in Loop: Header=BB360_2 Depth=1
	s_or_b32 exec_lo, exec_lo, s12
	s_waitcnt lgkmcnt(0)
	v_add_nc_u32_e32 v3, v26, v3
	s_add_i32 s15, s15, -1
	s_delay_alu instid0(SALU_CYCLE_1) | instskip(SKIP_3) | instid1(VALU_DEP_1)
	s_cmp_eq_u32 s15, 0
	ds_bpermute_b32 v3, v18, v3
	s_waitcnt lgkmcnt(0)
	v_cndmask_b32_e32 v3, v3, v26, vcc_lo
	v_cndmask_b32_e64 v3, v3, 0, s7
	s_delay_alu instid0(VALU_DEP_1) | instskip(NEXT) | instid1(VALU_DEP_1)
	v_add_nc_u32_e32 v4, v3, v4
	v_add_nc_u32_e32 v5, v4, v5
	s_delay_alu instid0(VALU_DEP_1) | instskip(NEXT) | instid1(VALU_DEP_1)
	v_add_nc_u32_e32 v6, v5, v6
	v_add_nc_u32_e32 v26, v6, v7
	;; [unrolled: 3-line block ×3, first 2 shown]
	s_delay_alu instid0(VALU_DEP_1)
	v_add_nc_u32_e32 v1, v0, v2
	ds_store_2addr_b64 v15, v[3:4], v[5:6] offset0:4 offset1:5
	ds_store_2addr_b64 v16, v[26:27], v[0:1] offset0:2 offset1:3
	s_waitcnt lgkmcnt(0)
	s_barrier
	buffer_gl0_inv
	ds_load_b32 v0, v25
	v_lshlrev_b32_e32 v1, 3, v24
	s_waitcnt lgkmcnt(0)
	s_barrier
	buffer_gl0_inv
	v_lshl_add_u32 v0, v0, 3, v1
	ds_store_b64 v0, v[13:14]
	s_waitcnt lgkmcnt(0)
	s_barrier
	buffer_gl0_inv
	ds_load_b64 v[13:14], v23
	s_cbranch_scc1 .LBB360_66
.LBB360_2:                              ; =>This Inner Loop Header: Depth=1
	s_waitcnt lgkmcnt(0)
	s_delay_alu instid0(VALU_DEP_1)
	v_and_b32_e32 v0, 1, v14
	v_lshlrev_b32_e32 v1, 30, v14
	v_lshlrev_b32_e32 v2, 29, v14
	;; [unrolled: 1-line block ×4, first 2 shown]
	v_add_co_u32 v0, s12, v0, -1
	s_delay_alu instid0(VALU_DEP_1)
	v_cndmask_b32_e64 v3, 0, 1, s12
	v_not_b32_e32 v7, v1
	v_cmp_gt_i32_e64 s13, 0, v1
	v_not_b32_e32 v1, v2
	v_lshlrev_b32_e32 v6, 26, v14
	v_cmp_ne_u32_e64 s12, 0, v3
	v_ashrrev_i32_e32 v7, 31, v7
	v_lshlrev_b32_e32 v3, 25, v14
	v_ashrrev_i32_e32 v1, 31, v1
	v_cmp_gt_i32_e64 s14, 0, v5
	v_xor_b32_e32 v0, s12, v0
	v_cmp_gt_i32_e64 s12, 0, v2
	v_not_b32_e32 v2, v4
	v_xor_b32_e32 v7, s13, v7
	v_cmp_gt_i32_e64 s13, 0, v4
	v_and_b32_e32 v0, exec_lo, v0
	v_xor_b32_e32 v1, s12, v1
	v_ashrrev_i32_e32 v2, 31, v2
	v_not_b32_e32 v4, v5
	v_not_b32_e32 v5, v6
	v_and_b32_e32 v0, v0, v7
	v_cmp_gt_i32_e64 s12, 0, v6
	v_xor_b32_e32 v2, s13, v2
	v_not_b32_e32 v6, v3
	ds_store_2addr_b64 v15, v[11:12], v[9:10] offset0:4 offset1:5
	ds_store_2addr_b64 v16, v[11:12], v[9:10] offset0:2 offset1:3
	v_and_b32_e32 v0, v0, v1
	v_ashrrev_i32_e32 v1, 31, v4
	v_ashrrev_i32_e32 v4, 31, v5
	v_lshlrev_b32_e32 v5, 24, v14
	s_waitcnt lgkmcnt(0)
	v_and_b32_e32 v0, v0, v2
	v_xor_b32_e32 v1, s14, v1
	v_xor_b32_e32 v2, s12, v4
	v_cmp_gt_i32_e64 s12, 0, v3
	v_not_b32_e32 v3, v5
	v_ashrrev_i32_e32 v4, 31, v6
	v_and_b32_e32 v0, v0, v1
	v_cmp_gt_i32_e64 s13, 0, v5
	s_barrier
	v_ashrrev_i32_e32 v1, 31, v3
	v_xor_b32_e32 v3, s12, v4
	v_and_b32_e32 v0, v0, v2
	buffer_gl0_inv
	v_xor_b32_e32 v1, s13, v1
	; wave barrier
	v_and_b32_e32 v0, v0, v3
	s_delay_alu instid0(VALU_DEP_1) | instskip(SKIP_1) | instid1(VALU_DEP_2)
	v_and_b32_e32 v0, v0, v1
	v_and_b32_e32 v1, 0xff, v14
	v_mbcnt_lo_u32_b32 v24, v0, 0
	s_delay_alu instid0(VALU_DEP_2) | instskip(SKIP_1) | instid1(VALU_DEP_3)
	v_lshl_add_u32 v1, v1, 3, v22
	v_cmp_ne_u32_e64 s13, 0, v0
	v_cmp_eq_u32_e64 s12, 0, v24
	s_delay_alu instid0(VALU_DEP_3) | instskip(NEXT) | instid1(VALU_DEP_2)
	v_lshl_add_u32 v25, v1, 2, 32
	s_and_b32 s13, s13, s12
	s_delay_alu instid0(SALU_CYCLE_1)
	s_and_saveexec_b32 s12, s13
	s_cbranch_execz .LBB360_4
; %bb.3:                                ;   in Loop: Header=BB360_2 Depth=1
	v_bcnt_u32_b32 v0, v0, 0
	ds_store_b32 v25, v0
.LBB360_4:                              ;   in Loop: Header=BB360_2 Depth=1
	s_or_b32 exec_lo, exec_lo, s12
	; wave barrier
	s_waitcnt lgkmcnt(0)
	s_barrier
	buffer_gl0_inv
	ds_load_2addr_b64 v[4:7], v15 offset0:4 offset1:5
	ds_load_2addr_b64 v[0:3], v16 offset0:2 offset1:3
	s_waitcnt lgkmcnt(1)
	v_add_nc_u32_e32 v26, v5, v4
	s_delay_alu instid0(VALU_DEP_1) | instskip(SKIP_1) | instid1(VALU_DEP_1)
	v_add3_u32 v26, v26, v6, v7
	s_waitcnt lgkmcnt(0)
	v_add3_u32 v26, v26, v0, v1
	s_delay_alu instid0(VALU_DEP_1) | instskip(NEXT) | instid1(VALU_DEP_1)
	v_add3_u32 v3, v26, v2, v3
	v_mov_b32_dpp v26, v3 row_shr:1 row_mask:0xf bank_mask:0xf
	s_delay_alu instid0(VALU_DEP_1) | instskip(NEXT) | instid1(VALU_DEP_1)
	v_cndmask_b32_e64 v26, v26, 0, s0
	v_add_nc_u32_e32 v3, v26, v3
	s_delay_alu instid0(VALU_DEP_1) | instskip(NEXT) | instid1(VALU_DEP_1)
	v_mov_b32_dpp v26, v3 row_shr:2 row_mask:0xf bank_mask:0xf
	v_cndmask_b32_e64 v26, 0, v26, s1
	s_delay_alu instid0(VALU_DEP_1) | instskip(NEXT) | instid1(VALU_DEP_1)
	v_add_nc_u32_e32 v3, v3, v26
	v_mov_b32_dpp v26, v3 row_shr:4 row_mask:0xf bank_mask:0xf
	s_delay_alu instid0(VALU_DEP_1) | instskip(NEXT) | instid1(VALU_DEP_1)
	v_cndmask_b32_e64 v26, 0, v26, s2
	v_add_nc_u32_e32 v3, v3, v26
	s_delay_alu instid0(VALU_DEP_1) | instskip(NEXT) | instid1(VALU_DEP_1)
	v_mov_b32_dpp v26, v3 row_shr:8 row_mask:0xf bank_mask:0xf
	v_cndmask_b32_e64 v26, 0, v26, s3
	s_delay_alu instid0(VALU_DEP_1) | instskip(SKIP_3) | instid1(VALU_DEP_1)
	v_add_nc_u32_e32 v3, v3, v26
	ds_swizzle_b32 v26, v3 offset:swizzle(BROADCAST,32,15)
	s_waitcnt lgkmcnt(0)
	v_cndmask_b32_e64 v26, v26, 0, s4
	v_add_nc_u32_e32 v3, v3, v26
	s_and_saveexec_b32 s12, s11
	s_cbranch_execz .LBB360_6
; %bb.5:                                ;   in Loop: Header=BB360_2 Depth=1
	ds_store_b32 v17, v3
.LBB360_6:                              ;   in Loop: Header=BB360_2 Depth=1
	s_or_b32 exec_lo, exec_lo, s12
	s_waitcnt lgkmcnt(0)
	s_barrier
	buffer_gl0_inv
	s_and_saveexec_b32 s12, s5
	s_cbranch_execz .LBB360_8
; %bb.7:                                ;   in Loop: Header=BB360_2 Depth=1
	ds_load_b32 v26, v19
	s_waitcnt lgkmcnt(0)
	v_mov_b32_dpp v27, v26 row_shr:1 row_mask:0xf bank_mask:0xf
	s_delay_alu instid0(VALU_DEP_1) | instskip(NEXT) | instid1(VALU_DEP_1)
	v_cndmask_b32_e64 v27, v27, 0, s8
	v_add_nc_u32_e32 v26, v27, v26
	s_delay_alu instid0(VALU_DEP_1) | instskip(NEXT) | instid1(VALU_DEP_1)
	v_mov_b32_dpp v27, v26 row_shr:2 row_mask:0xf bank_mask:0xf
	v_cndmask_b32_e64 v27, 0, v27, s9
	s_delay_alu instid0(VALU_DEP_1) | instskip(NEXT) | instid1(VALU_DEP_1)
	v_add_nc_u32_e32 v26, v26, v27
	v_mov_b32_dpp v27, v26 row_shr:4 row_mask:0xf bank_mask:0xf
	s_delay_alu instid0(VALU_DEP_1) | instskip(NEXT) | instid1(VALU_DEP_1)
	v_cndmask_b32_e64 v27, 0, v27, s10
	v_add_nc_u32_e32 v26, v26, v27
	ds_store_b32 v19, v26
.LBB360_8:                              ;   in Loop: Header=BB360_2 Depth=1
	s_or_b32 exec_lo, exec_lo, s12
	v_mov_b32_e32 v26, 0
	s_waitcnt lgkmcnt(0)
	s_barrier
	buffer_gl0_inv
	s_and_saveexec_b32 s12, s6
	s_cbranch_execz .LBB360_10
; %bb.9:                                ;   in Loop: Header=BB360_2 Depth=1
	ds_load_b32 v26, v20
.LBB360_10:                             ;   in Loop: Header=BB360_2 Depth=1
	s_or_b32 exec_lo, exec_lo, s12
	s_waitcnt lgkmcnt(0)
	v_add_nc_u32_e32 v3, v26, v3
	ds_bpermute_b32 v3, v18, v3
	s_waitcnt lgkmcnt(0)
	v_cndmask_b32_e32 v3, v3, v26, vcc_lo
	s_delay_alu instid0(VALU_DEP_1) | instskip(NEXT) | instid1(VALU_DEP_1)
	v_cndmask_b32_e64 v3, v3, 0, s7
	v_add_nc_u32_e32 v4, v3, v4
	s_delay_alu instid0(VALU_DEP_1) | instskip(NEXT) | instid1(VALU_DEP_1)
	v_add_nc_u32_e32 v5, v4, v5
	v_add_nc_u32_e32 v6, v5, v6
	s_delay_alu instid0(VALU_DEP_1) | instskip(NEXT) | instid1(VALU_DEP_1)
	v_add_nc_u32_e32 v26, v6, v7
	;; [unrolled: 3-line block ×3, first 2 shown]
	v_add_nc_u32_e32 v1, v0, v2
	ds_store_2addr_b64 v15, v[3:4], v[5:6] offset0:4 offset1:5
	ds_store_2addr_b64 v16, v[26:27], v[0:1] offset0:2 offset1:3
	s_waitcnt lgkmcnt(0)
	s_barrier
	buffer_gl0_inv
	ds_load_b32 v0, v25
	v_lshlrev_b32_e32 v1, 3, v24
	s_waitcnt lgkmcnt(0)
	s_barrier
	buffer_gl0_inv
	v_lshl_add_u32 v0, v0, 3, v1
	ds_store_b64 v0, v[13:14]
	s_waitcnt lgkmcnt(0)
	s_barrier
	buffer_gl0_inv
	ds_load_b64 v[13:14], v21
	s_waitcnt lgkmcnt(0)
	s_barrier
	buffer_gl0_inv
	ds_store_2addr_b64 v15, v[11:12], v[9:10] offset0:4 offset1:5
	ds_store_2addr_b64 v16, v[11:12], v[9:10] offset0:2 offset1:3
	s_waitcnt lgkmcnt(0)
	s_barrier
	buffer_gl0_inv
	; wave barrier
	v_bfe_u32 v0, v14, 8, 1
	v_lshrrev_b32_e32 v1, 8, v14
	s_delay_alu instid0(VALU_DEP_2) | instskip(NEXT) | instid1(VALU_DEP_1)
	v_add_co_u32 v0, s12, v0, -1
	v_cndmask_b32_e64 v2, 0, 1, s12
	s_delay_alu instid0(VALU_DEP_3)
	v_lshlrev_b32_e32 v3, 30, v1
	v_lshlrev_b32_e32 v4, 29, v1
	v_lshlrev_b32_e32 v5, 28, v1
	v_lshlrev_b32_e32 v6, 27, v1
	v_cmp_ne_u32_e64 s12, 0, v2
	v_not_b32_e32 v2, v3
	v_cmp_gt_i32_e64 s13, 0, v3
	v_not_b32_e32 v3, v4
	v_lshlrev_b32_e32 v7, 26, v1
	v_xor_b32_e32 v0, s12, v0
	v_ashrrev_i32_e32 v2, 31, v2
	v_cmp_gt_i32_e64 s12, 0, v4
	v_not_b32_e32 v4, v5
	v_ashrrev_i32_e32 v3, 31, v3
	v_and_b32_e32 v0, exec_lo, v0
	v_xor_b32_e32 v2, s13, v2
	v_cmp_gt_i32_e64 s13, 0, v5
	v_not_b32_e32 v5, v6
	v_ashrrev_i32_e32 v4, 31, v4
	v_xor_b32_e32 v3, s12, v3
	v_and_b32_e32 v0, v0, v2
	v_lshlrev_b32_e32 v24, 25, v1
	v_cmp_gt_i32_e64 s12, 0, v6
	v_not_b32_e32 v2, v7
	v_ashrrev_i32_e32 v5, 31, v5
	v_xor_b32_e32 v4, s13, v4
	v_and_b32_e32 v0, v0, v3
	v_lshlrev_b32_e32 v1, 24, v1
	v_cmp_gt_i32_e64 s13, 0, v7
	v_not_b32_e32 v3, v24
	v_ashrrev_i32_e32 v2, 31, v2
	v_xor_b32_e32 v5, s12, v5
	v_and_b32_e32 v0, v0, v4
	v_cmp_gt_i32_e64 s12, 0, v24
	v_not_b32_e32 v4, v1
	v_ashrrev_i32_e32 v3, 31, v3
	v_xor_b32_e32 v2, s13, v2
	v_and_b32_e32 v0, v0, v5
	v_cmp_gt_i32_e64 s13, 0, v1
	v_ashrrev_i32_e32 v1, 31, v4
	v_xor_b32_e32 v3, s12, v3
	s_delay_alu instid0(VALU_DEP_4) | instskip(SKIP_1) | instid1(VALU_DEP_4)
	v_and_b32_e32 v0, v0, v2
	v_lshrrev_b32_e32 v2, 5, v14
	v_xor_b32_e32 v1, s13, v1
	s_delay_alu instid0(VALU_DEP_3) | instskip(NEXT) | instid1(VALU_DEP_1)
	v_and_b32_e32 v0, v0, v3
	v_and_b32_e32 v0, v0, v1
	s_delay_alu instid0(VALU_DEP_4) | instskip(NEXT) | instid1(VALU_DEP_2)
	v_and_b32_e32 v1, 0x7f8, v2
	v_mbcnt_lo_u32_b32 v24, v0, 0
	s_delay_alu instid0(VALU_DEP_2) | instskip(SKIP_1) | instid1(VALU_DEP_3)
	v_add_nc_u32_e32 v1, v1, v22
	v_cmp_ne_u32_e64 s13, 0, v0
	v_cmp_eq_u32_e64 s12, 0, v24
	s_delay_alu instid0(VALU_DEP_3) | instskip(NEXT) | instid1(VALU_DEP_2)
	v_lshl_add_u32 v25, v1, 2, 32
	s_and_b32 s13, s13, s12
	s_delay_alu instid0(SALU_CYCLE_1)
	s_and_saveexec_b32 s12, s13
	s_cbranch_execz .LBB360_12
; %bb.11:                               ;   in Loop: Header=BB360_2 Depth=1
	v_bcnt_u32_b32 v0, v0, 0
	ds_store_b32 v25, v0
.LBB360_12:                             ;   in Loop: Header=BB360_2 Depth=1
	s_or_b32 exec_lo, exec_lo, s12
	; wave barrier
	s_waitcnt lgkmcnt(0)
	s_barrier
	buffer_gl0_inv
	ds_load_2addr_b64 v[4:7], v15 offset0:4 offset1:5
	ds_load_2addr_b64 v[0:3], v16 offset0:2 offset1:3
	s_waitcnt lgkmcnt(1)
	v_add_nc_u32_e32 v26, v5, v4
	s_delay_alu instid0(VALU_DEP_1) | instskip(SKIP_1) | instid1(VALU_DEP_1)
	v_add3_u32 v26, v26, v6, v7
	s_waitcnt lgkmcnt(0)
	v_add3_u32 v26, v26, v0, v1
	s_delay_alu instid0(VALU_DEP_1) | instskip(NEXT) | instid1(VALU_DEP_1)
	v_add3_u32 v3, v26, v2, v3
	v_mov_b32_dpp v26, v3 row_shr:1 row_mask:0xf bank_mask:0xf
	s_delay_alu instid0(VALU_DEP_1) | instskip(NEXT) | instid1(VALU_DEP_1)
	v_cndmask_b32_e64 v26, v26, 0, s0
	v_add_nc_u32_e32 v3, v26, v3
	s_delay_alu instid0(VALU_DEP_1) | instskip(NEXT) | instid1(VALU_DEP_1)
	v_mov_b32_dpp v26, v3 row_shr:2 row_mask:0xf bank_mask:0xf
	v_cndmask_b32_e64 v26, 0, v26, s1
	s_delay_alu instid0(VALU_DEP_1) | instskip(NEXT) | instid1(VALU_DEP_1)
	v_add_nc_u32_e32 v3, v3, v26
	v_mov_b32_dpp v26, v3 row_shr:4 row_mask:0xf bank_mask:0xf
	s_delay_alu instid0(VALU_DEP_1) | instskip(NEXT) | instid1(VALU_DEP_1)
	v_cndmask_b32_e64 v26, 0, v26, s2
	v_add_nc_u32_e32 v3, v3, v26
	s_delay_alu instid0(VALU_DEP_1) | instskip(NEXT) | instid1(VALU_DEP_1)
	v_mov_b32_dpp v26, v3 row_shr:8 row_mask:0xf bank_mask:0xf
	v_cndmask_b32_e64 v26, 0, v26, s3
	s_delay_alu instid0(VALU_DEP_1) | instskip(SKIP_3) | instid1(VALU_DEP_1)
	v_add_nc_u32_e32 v3, v3, v26
	ds_swizzle_b32 v26, v3 offset:swizzle(BROADCAST,32,15)
	s_waitcnt lgkmcnt(0)
	v_cndmask_b32_e64 v26, v26, 0, s4
	v_add_nc_u32_e32 v3, v3, v26
	s_and_saveexec_b32 s12, s11
	s_cbranch_execz .LBB360_14
; %bb.13:                               ;   in Loop: Header=BB360_2 Depth=1
	ds_store_b32 v17, v3
.LBB360_14:                             ;   in Loop: Header=BB360_2 Depth=1
	s_or_b32 exec_lo, exec_lo, s12
	s_waitcnt lgkmcnt(0)
	s_barrier
	buffer_gl0_inv
	s_and_saveexec_b32 s12, s5
	s_cbranch_execz .LBB360_16
; %bb.15:                               ;   in Loop: Header=BB360_2 Depth=1
	ds_load_b32 v26, v19
	s_waitcnt lgkmcnt(0)
	v_mov_b32_dpp v27, v26 row_shr:1 row_mask:0xf bank_mask:0xf
	s_delay_alu instid0(VALU_DEP_1) | instskip(NEXT) | instid1(VALU_DEP_1)
	v_cndmask_b32_e64 v27, v27, 0, s8
	v_add_nc_u32_e32 v26, v27, v26
	s_delay_alu instid0(VALU_DEP_1) | instskip(NEXT) | instid1(VALU_DEP_1)
	v_mov_b32_dpp v27, v26 row_shr:2 row_mask:0xf bank_mask:0xf
	v_cndmask_b32_e64 v27, 0, v27, s9
	s_delay_alu instid0(VALU_DEP_1) | instskip(NEXT) | instid1(VALU_DEP_1)
	v_add_nc_u32_e32 v26, v26, v27
	v_mov_b32_dpp v27, v26 row_shr:4 row_mask:0xf bank_mask:0xf
	s_delay_alu instid0(VALU_DEP_1) | instskip(NEXT) | instid1(VALU_DEP_1)
	v_cndmask_b32_e64 v27, 0, v27, s10
	v_add_nc_u32_e32 v26, v26, v27
	ds_store_b32 v19, v26
.LBB360_16:                             ;   in Loop: Header=BB360_2 Depth=1
	s_or_b32 exec_lo, exec_lo, s12
	v_mov_b32_e32 v26, 0
	s_waitcnt lgkmcnt(0)
	s_barrier
	buffer_gl0_inv
	s_and_saveexec_b32 s12, s6
	s_cbranch_execz .LBB360_18
; %bb.17:                               ;   in Loop: Header=BB360_2 Depth=1
	ds_load_b32 v26, v20
.LBB360_18:                             ;   in Loop: Header=BB360_2 Depth=1
	s_or_b32 exec_lo, exec_lo, s12
	s_waitcnt lgkmcnt(0)
	v_add_nc_u32_e32 v3, v26, v3
	ds_bpermute_b32 v3, v18, v3
	s_waitcnt lgkmcnt(0)
	v_cndmask_b32_e32 v3, v3, v26, vcc_lo
	s_delay_alu instid0(VALU_DEP_1) | instskip(NEXT) | instid1(VALU_DEP_1)
	v_cndmask_b32_e64 v3, v3, 0, s7
	v_add_nc_u32_e32 v4, v3, v4
	s_delay_alu instid0(VALU_DEP_1) | instskip(NEXT) | instid1(VALU_DEP_1)
	v_add_nc_u32_e32 v5, v4, v5
	v_add_nc_u32_e32 v6, v5, v6
	s_delay_alu instid0(VALU_DEP_1) | instskip(NEXT) | instid1(VALU_DEP_1)
	v_add_nc_u32_e32 v26, v6, v7
	;; [unrolled: 3-line block ×3, first 2 shown]
	v_add_nc_u32_e32 v1, v0, v2
	ds_store_2addr_b64 v15, v[3:4], v[5:6] offset0:4 offset1:5
	ds_store_2addr_b64 v16, v[26:27], v[0:1] offset0:2 offset1:3
	s_waitcnt lgkmcnt(0)
	s_barrier
	buffer_gl0_inv
	ds_load_b32 v0, v25
	v_lshlrev_b32_e32 v1, 3, v24
	s_waitcnt lgkmcnt(0)
	s_barrier
	buffer_gl0_inv
	v_lshl_add_u32 v0, v0, 3, v1
	ds_store_b64 v0, v[13:14]
	s_waitcnt lgkmcnt(0)
	s_barrier
	buffer_gl0_inv
	ds_load_b64 v[13:14], v21
	s_waitcnt lgkmcnt(0)
	s_barrier
	buffer_gl0_inv
	v_bfe_u32 v0, v14, 16, 1
	v_lshrrev_b32_e32 v1, 16, v14
	s_delay_alu instid0(VALU_DEP_2) | instskip(NEXT) | instid1(VALU_DEP_1)
	v_add_co_u32 v0, s12, v0, -1
	v_cndmask_b32_e64 v2, 0, 1, s12
	s_delay_alu instid0(VALU_DEP_3)
	v_lshlrev_b32_e32 v3, 30, v1
	v_lshlrev_b32_e32 v4, 29, v1
	;; [unrolled: 1-line block ×4, first 2 shown]
	v_cmp_ne_u32_e64 s12, 0, v2
	v_not_b32_e32 v2, v3
	v_cmp_gt_i32_e64 s13, 0, v3
	v_not_b32_e32 v3, v4
	v_lshlrev_b32_e32 v7, 26, v1
	v_xor_b32_e32 v0, s12, v0
	v_ashrrev_i32_e32 v2, 31, v2
	v_cmp_gt_i32_e64 s12, 0, v4
	v_not_b32_e32 v4, v5
	v_ashrrev_i32_e32 v3, 31, v3
	v_and_b32_e32 v0, exec_lo, v0
	v_xor_b32_e32 v2, s13, v2
	v_cmp_gt_i32_e64 s13, 0, v5
	v_not_b32_e32 v5, v6
	v_ashrrev_i32_e32 v4, 31, v4
	v_xor_b32_e32 v3, s12, v3
	v_and_b32_e32 v0, v0, v2
	v_lshlrev_b32_e32 v24, 25, v1
	v_cmp_gt_i32_e64 s12, 0, v6
	v_not_b32_e32 v2, v7
	v_ashrrev_i32_e32 v5, 31, v5
	v_xor_b32_e32 v4, s13, v4
	v_and_b32_e32 v0, v0, v3
	v_lshlrev_b32_e32 v1, 24, v1
	v_cmp_gt_i32_e64 s13, 0, v7
	v_not_b32_e32 v3, v24
	v_ashrrev_i32_e32 v2, 31, v2
	v_xor_b32_e32 v5, s12, v5
	v_and_b32_e32 v0, v0, v4
	v_cmp_gt_i32_e64 s12, 0, v24
	v_not_b32_e32 v4, v1
	v_ashrrev_i32_e32 v3, 31, v3
	v_xor_b32_e32 v2, s13, v2
	v_and_b32_e32 v0, v0, v5
	v_cmp_gt_i32_e64 s13, 0, v1
	v_ashrrev_i32_e32 v1, 31, v4
	v_xor_b32_e32 v3, s12, v3
	v_lshrrev_b32_e32 v6, 13, v14
	v_and_b32_e32 v0, v0, v2
	s_delay_alu instid0(VALU_DEP_4) | instskip(SKIP_1) | instid1(VALU_DEP_3)
	v_xor_b32_e32 v5, s13, v1
	v_dual_mov_b32 v1, s22 :: v_dual_mov_b32 v2, s23
	v_dual_mov_b32 v3, s16 :: v_dual_and_b32 v0, v0, v3
	v_mov_b32_e32 v4, s17
	ds_store_2addr_b64 v15, v[1:2], v[3:4] offset0:4 offset1:5
	ds_store_2addr_b64 v16, v[1:2], v[3:4] offset0:2 offset1:3
	v_and_b32_e32 v0, v0, v5
	v_and_b32_e32 v5, 0x7f8, v6
	s_waitcnt lgkmcnt(0)
	s_barrier
	buffer_gl0_inv
	v_mbcnt_lo_u32_b32 v24, v0, 0
	v_add_nc_u32_e32 v1, v5, v22
	v_cmp_ne_u32_e64 s13, 0, v0
	; wave barrier
	s_delay_alu instid0(VALU_DEP_3) | instskip(NEXT) | instid1(VALU_DEP_3)
	v_cmp_eq_u32_e64 s12, 0, v24
	v_lshl_add_u32 v25, v1, 2, 32
	s_delay_alu instid0(VALU_DEP_2) | instskip(NEXT) | instid1(SALU_CYCLE_1)
	s_and_b32 s13, s13, s12
	s_and_saveexec_b32 s12, s13
	s_cbranch_execz .LBB360_20
; %bb.19:                               ;   in Loop: Header=BB360_2 Depth=1
	v_bcnt_u32_b32 v0, v0, 0
	ds_store_b32 v25, v0
.LBB360_20:                             ;   in Loop: Header=BB360_2 Depth=1
	s_or_b32 exec_lo, exec_lo, s12
	; wave barrier
	s_waitcnt lgkmcnt(0)
	s_barrier
	buffer_gl0_inv
	ds_load_2addr_b64 v[4:7], v15 offset0:4 offset1:5
	ds_load_2addr_b64 v[0:3], v16 offset0:2 offset1:3
	s_waitcnt lgkmcnt(1)
	v_add_nc_u32_e32 v26, v5, v4
	s_delay_alu instid0(VALU_DEP_1) | instskip(SKIP_1) | instid1(VALU_DEP_1)
	v_add3_u32 v26, v26, v6, v7
	s_waitcnt lgkmcnt(0)
	v_add3_u32 v26, v26, v0, v1
	s_delay_alu instid0(VALU_DEP_1) | instskip(NEXT) | instid1(VALU_DEP_1)
	v_add3_u32 v3, v26, v2, v3
	v_mov_b32_dpp v26, v3 row_shr:1 row_mask:0xf bank_mask:0xf
	s_delay_alu instid0(VALU_DEP_1) | instskip(NEXT) | instid1(VALU_DEP_1)
	v_cndmask_b32_e64 v26, v26, 0, s0
	v_add_nc_u32_e32 v3, v26, v3
	s_delay_alu instid0(VALU_DEP_1) | instskip(NEXT) | instid1(VALU_DEP_1)
	v_mov_b32_dpp v26, v3 row_shr:2 row_mask:0xf bank_mask:0xf
	v_cndmask_b32_e64 v26, 0, v26, s1
	s_delay_alu instid0(VALU_DEP_1) | instskip(NEXT) | instid1(VALU_DEP_1)
	v_add_nc_u32_e32 v3, v3, v26
	v_mov_b32_dpp v26, v3 row_shr:4 row_mask:0xf bank_mask:0xf
	s_delay_alu instid0(VALU_DEP_1) | instskip(NEXT) | instid1(VALU_DEP_1)
	v_cndmask_b32_e64 v26, 0, v26, s2
	v_add_nc_u32_e32 v3, v3, v26
	s_delay_alu instid0(VALU_DEP_1) | instskip(NEXT) | instid1(VALU_DEP_1)
	v_mov_b32_dpp v26, v3 row_shr:8 row_mask:0xf bank_mask:0xf
	v_cndmask_b32_e64 v26, 0, v26, s3
	s_delay_alu instid0(VALU_DEP_1) | instskip(SKIP_3) | instid1(VALU_DEP_1)
	v_add_nc_u32_e32 v3, v3, v26
	ds_swizzle_b32 v26, v3 offset:swizzle(BROADCAST,32,15)
	s_waitcnt lgkmcnt(0)
	v_cndmask_b32_e64 v26, v26, 0, s4
	v_add_nc_u32_e32 v3, v3, v26
	s_and_saveexec_b32 s12, s11
	s_cbranch_execz .LBB360_22
; %bb.21:                               ;   in Loop: Header=BB360_2 Depth=1
	ds_store_b32 v17, v3
.LBB360_22:                             ;   in Loop: Header=BB360_2 Depth=1
	s_or_b32 exec_lo, exec_lo, s12
	s_waitcnt lgkmcnt(0)
	s_barrier
	buffer_gl0_inv
	s_and_saveexec_b32 s12, s5
	s_cbranch_execz .LBB360_24
; %bb.23:                               ;   in Loop: Header=BB360_2 Depth=1
	ds_load_b32 v26, v19
	s_waitcnt lgkmcnt(0)
	v_mov_b32_dpp v27, v26 row_shr:1 row_mask:0xf bank_mask:0xf
	s_delay_alu instid0(VALU_DEP_1) | instskip(NEXT) | instid1(VALU_DEP_1)
	v_cndmask_b32_e64 v27, v27, 0, s8
	v_add_nc_u32_e32 v26, v27, v26
	s_delay_alu instid0(VALU_DEP_1) | instskip(NEXT) | instid1(VALU_DEP_1)
	v_mov_b32_dpp v27, v26 row_shr:2 row_mask:0xf bank_mask:0xf
	v_cndmask_b32_e64 v27, 0, v27, s9
	s_delay_alu instid0(VALU_DEP_1) | instskip(NEXT) | instid1(VALU_DEP_1)
	v_add_nc_u32_e32 v26, v26, v27
	v_mov_b32_dpp v27, v26 row_shr:4 row_mask:0xf bank_mask:0xf
	s_delay_alu instid0(VALU_DEP_1) | instskip(NEXT) | instid1(VALU_DEP_1)
	v_cndmask_b32_e64 v27, 0, v27, s10
	v_add_nc_u32_e32 v26, v26, v27
	ds_store_b32 v19, v26
.LBB360_24:                             ;   in Loop: Header=BB360_2 Depth=1
	s_or_b32 exec_lo, exec_lo, s12
	v_mov_b32_e32 v26, 0
	s_waitcnt lgkmcnt(0)
	s_barrier
	buffer_gl0_inv
	s_and_saveexec_b32 s12, s6
	s_cbranch_execz .LBB360_26
; %bb.25:                               ;   in Loop: Header=BB360_2 Depth=1
	ds_load_b32 v26, v20
.LBB360_26:                             ;   in Loop: Header=BB360_2 Depth=1
	s_or_b32 exec_lo, exec_lo, s12
	s_waitcnt lgkmcnt(0)
	v_add_nc_u32_e32 v3, v26, v3
	ds_bpermute_b32 v3, v18, v3
	s_waitcnt lgkmcnt(0)
	v_cndmask_b32_e32 v3, v3, v26, vcc_lo
	s_delay_alu instid0(VALU_DEP_1) | instskip(NEXT) | instid1(VALU_DEP_1)
	v_cndmask_b32_e64 v3, v3, 0, s7
	v_add_nc_u32_e32 v4, v3, v4
	s_delay_alu instid0(VALU_DEP_1) | instskip(NEXT) | instid1(VALU_DEP_1)
	v_add_nc_u32_e32 v5, v4, v5
	v_add_nc_u32_e32 v6, v5, v6
	s_delay_alu instid0(VALU_DEP_1) | instskip(NEXT) | instid1(VALU_DEP_1)
	v_add_nc_u32_e32 v26, v6, v7
	;; [unrolled: 3-line block ×3, first 2 shown]
	v_add_nc_u32_e32 v1, v0, v2
	ds_store_2addr_b64 v15, v[3:4], v[5:6] offset0:4 offset1:5
	ds_store_2addr_b64 v16, v[26:27], v[0:1] offset0:2 offset1:3
	s_waitcnt lgkmcnt(0)
	s_barrier
	buffer_gl0_inv
	ds_load_b32 v0, v25
	v_lshlrev_b32_e32 v1, 3, v24
	s_waitcnt lgkmcnt(0)
	s_barrier
	buffer_gl0_inv
	v_lshl_add_u32 v0, v0, 3, v1
	ds_store_b64 v0, v[13:14]
	s_waitcnt lgkmcnt(0)
	s_barrier
	buffer_gl0_inv
	ds_load_b64 v[13:14], v21
	s_waitcnt lgkmcnt(0)
	s_barrier
	buffer_gl0_inv
	v_bfe_u32 v0, v14, 24, 1
	v_lshrrev_b32_e32 v5, 24, v14
	s_delay_alu instid0(VALU_DEP_2) | instskip(NEXT) | instid1(VALU_DEP_1)
	v_add_co_u32 v0, s12, v0, -1
	v_cndmask_b32_e64 v1, 0, 1, s12
	s_delay_alu instid0(VALU_DEP_3)
	v_lshlrev_b32_e32 v2, 30, v5
	v_lshlrev_b32_e32 v3, 29, v5
	;; [unrolled: 1-line block ×4, first 2 shown]
	v_cmp_ne_u32_e64 s12, 0, v1
	v_not_b32_e32 v1, v2
	v_cmp_gt_i32_e64 s13, 0, v2
	v_not_b32_e32 v2, v3
	v_lshlrev_b32_e32 v7, 26, v5
	v_xor_b32_e32 v0, s12, v0
	v_ashrrev_i32_e32 v1, 31, v1
	v_cmp_gt_i32_e64 s12, 0, v3
	v_not_b32_e32 v3, v4
	v_ashrrev_i32_e32 v2, 31, v2
	v_and_b32_e32 v0, exec_lo, v0
	v_xor_b32_e32 v1, s13, v1
	v_cmp_gt_i32_e64 s13, 0, v4
	v_not_b32_e32 v4, v6
	v_ashrrev_i32_e32 v3, 31, v3
	v_xor_b32_e32 v2, s12, v2
	v_and_b32_e32 v0, v0, v1
	v_lshlrev_b32_e32 v24, 25, v5
	v_cmp_gt_i32_e64 s12, 0, v6
	v_not_b32_e32 v1, v7
	v_ashrrev_i32_e32 v4, 31, v4
	v_xor_b32_e32 v3, s13, v3
	v_and_b32_e32 v0, v0, v2
	v_cmp_gt_i32_e64 s13, 0, v7
	v_not_b32_e32 v2, v24
	v_ashrrev_i32_e32 v1, 31, v1
	v_xor_b32_e32 v4, s12, v4
	v_and_b32_e32 v0, v0, v3
	v_not_b32_e32 v3, v14
	v_cmp_gt_i32_e64 s12, 0, v24
	v_ashrrev_i32_e32 v2, 31, v2
	v_xor_b32_e32 v1, s13, v1
	v_and_b32_e32 v0, v0, v4
	v_cmp_gt_i32_e64 s13, 0, v14
	v_ashrrev_i32_e32 v3, 31, v3
	v_xor_b32_e32 v2, s12, v2
	s_delay_alu instid0(VALU_DEP_4) | instskip(NEXT) | instid1(VALU_DEP_3)
	v_and_b32_e32 v0, v0, v1
	v_xor_b32_e32 v3, s13, v3
	s_delay_alu instid0(VALU_DEP_2) | instskip(SKIP_1) | instid1(VALU_DEP_2)
	v_dual_mov_b32 v1, s22 :: v_dual_and_b32 v0, v0, v2
	v_mov_b32_e32 v2, s23
	v_dual_mov_b32 v3, s16 :: v_dual_and_b32 v0, v0, v3
	v_mov_b32_e32 v4, s17
	ds_store_2addr_b64 v15, v[1:2], v[3:4] offset0:4 offset1:5
	ds_store_2addr_b64 v16, v[1:2], v[3:4] offset0:2 offset1:3
	v_mbcnt_lo_u32_b32 v24, v0, 0
	v_lshl_add_u32 v1, v5, 3, v22
	v_cmp_ne_u32_e64 s13, 0, v0
	s_waitcnt lgkmcnt(0)
	s_barrier
	v_cmp_eq_u32_e64 s12, 0, v24
	v_lshl_add_u32 v25, v1, 2, 32
	buffer_gl0_inv
	; wave barrier
	s_and_b32 s13, s13, s12
	s_delay_alu instid0(SALU_CYCLE_1)
	s_and_saveexec_b32 s12, s13
	s_cbranch_execz .LBB360_28
; %bb.27:                               ;   in Loop: Header=BB360_2 Depth=1
	v_bcnt_u32_b32 v0, v0, 0
	ds_store_b32 v25, v0
.LBB360_28:                             ;   in Loop: Header=BB360_2 Depth=1
	s_or_b32 exec_lo, exec_lo, s12
	; wave barrier
	s_waitcnt lgkmcnt(0)
	s_barrier
	buffer_gl0_inv
	ds_load_2addr_b64 v[4:7], v15 offset0:4 offset1:5
	ds_load_2addr_b64 v[0:3], v16 offset0:2 offset1:3
	s_waitcnt lgkmcnt(1)
	v_add_nc_u32_e32 v26, v5, v4
	s_delay_alu instid0(VALU_DEP_1) | instskip(SKIP_1) | instid1(VALU_DEP_1)
	v_add3_u32 v26, v26, v6, v7
	s_waitcnt lgkmcnt(0)
	v_add3_u32 v26, v26, v0, v1
	s_delay_alu instid0(VALU_DEP_1) | instskip(NEXT) | instid1(VALU_DEP_1)
	v_add3_u32 v3, v26, v2, v3
	v_mov_b32_dpp v26, v3 row_shr:1 row_mask:0xf bank_mask:0xf
	s_delay_alu instid0(VALU_DEP_1) | instskip(NEXT) | instid1(VALU_DEP_1)
	v_cndmask_b32_e64 v26, v26, 0, s0
	v_add_nc_u32_e32 v3, v26, v3
	s_delay_alu instid0(VALU_DEP_1) | instskip(NEXT) | instid1(VALU_DEP_1)
	v_mov_b32_dpp v26, v3 row_shr:2 row_mask:0xf bank_mask:0xf
	v_cndmask_b32_e64 v26, 0, v26, s1
	s_delay_alu instid0(VALU_DEP_1) | instskip(NEXT) | instid1(VALU_DEP_1)
	v_add_nc_u32_e32 v3, v3, v26
	v_mov_b32_dpp v26, v3 row_shr:4 row_mask:0xf bank_mask:0xf
	s_delay_alu instid0(VALU_DEP_1) | instskip(NEXT) | instid1(VALU_DEP_1)
	v_cndmask_b32_e64 v26, 0, v26, s2
	v_add_nc_u32_e32 v3, v3, v26
	s_delay_alu instid0(VALU_DEP_1) | instskip(NEXT) | instid1(VALU_DEP_1)
	v_mov_b32_dpp v26, v3 row_shr:8 row_mask:0xf bank_mask:0xf
	v_cndmask_b32_e64 v26, 0, v26, s3
	s_delay_alu instid0(VALU_DEP_1) | instskip(SKIP_3) | instid1(VALU_DEP_1)
	v_add_nc_u32_e32 v3, v3, v26
	ds_swizzle_b32 v26, v3 offset:swizzle(BROADCAST,32,15)
	s_waitcnt lgkmcnt(0)
	v_cndmask_b32_e64 v26, v26, 0, s4
	v_add_nc_u32_e32 v3, v3, v26
	s_and_saveexec_b32 s12, s11
	s_cbranch_execz .LBB360_30
; %bb.29:                               ;   in Loop: Header=BB360_2 Depth=1
	ds_store_b32 v17, v3
.LBB360_30:                             ;   in Loop: Header=BB360_2 Depth=1
	s_or_b32 exec_lo, exec_lo, s12
	s_waitcnt lgkmcnt(0)
	s_barrier
	buffer_gl0_inv
	s_and_saveexec_b32 s12, s5
	s_cbranch_execz .LBB360_32
; %bb.31:                               ;   in Loop: Header=BB360_2 Depth=1
	ds_load_b32 v26, v19
	s_waitcnt lgkmcnt(0)
	v_mov_b32_dpp v27, v26 row_shr:1 row_mask:0xf bank_mask:0xf
	s_delay_alu instid0(VALU_DEP_1) | instskip(NEXT) | instid1(VALU_DEP_1)
	v_cndmask_b32_e64 v27, v27, 0, s8
	v_add_nc_u32_e32 v26, v27, v26
	s_delay_alu instid0(VALU_DEP_1) | instskip(NEXT) | instid1(VALU_DEP_1)
	v_mov_b32_dpp v27, v26 row_shr:2 row_mask:0xf bank_mask:0xf
	v_cndmask_b32_e64 v27, 0, v27, s9
	s_delay_alu instid0(VALU_DEP_1) | instskip(NEXT) | instid1(VALU_DEP_1)
	v_add_nc_u32_e32 v26, v26, v27
	v_mov_b32_dpp v27, v26 row_shr:4 row_mask:0xf bank_mask:0xf
	s_delay_alu instid0(VALU_DEP_1) | instskip(NEXT) | instid1(VALU_DEP_1)
	v_cndmask_b32_e64 v27, 0, v27, s10
	v_add_nc_u32_e32 v26, v26, v27
	ds_store_b32 v19, v26
.LBB360_32:                             ;   in Loop: Header=BB360_2 Depth=1
	s_or_b32 exec_lo, exec_lo, s12
	v_mov_b32_e32 v26, 0
	s_waitcnt lgkmcnt(0)
	s_barrier
	buffer_gl0_inv
	s_and_saveexec_b32 s12, s6
	s_cbranch_execz .LBB360_34
; %bb.33:                               ;   in Loop: Header=BB360_2 Depth=1
	ds_load_b32 v26, v20
.LBB360_34:                             ;   in Loop: Header=BB360_2 Depth=1
	s_or_b32 exec_lo, exec_lo, s12
	s_waitcnt lgkmcnt(0)
	v_add_nc_u32_e32 v3, v26, v3
	ds_bpermute_b32 v3, v18, v3
	s_waitcnt lgkmcnt(0)
	v_cndmask_b32_e32 v3, v3, v26, vcc_lo
	s_delay_alu instid0(VALU_DEP_1) | instskip(NEXT) | instid1(VALU_DEP_1)
	v_cndmask_b32_e64 v3, v3, 0, s7
	v_add_nc_u32_e32 v4, v3, v4
	s_delay_alu instid0(VALU_DEP_1) | instskip(NEXT) | instid1(VALU_DEP_1)
	v_add_nc_u32_e32 v5, v4, v5
	v_add_nc_u32_e32 v6, v5, v6
	s_delay_alu instid0(VALU_DEP_1) | instskip(NEXT) | instid1(VALU_DEP_1)
	v_add_nc_u32_e32 v26, v6, v7
	;; [unrolled: 3-line block ×3, first 2 shown]
	v_add_nc_u32_e32 v1, v0, v2
	ds_store_2addr_b64 v15, v[3:4], v[5:6] offset0:4 offset1:5
	ds_store_2addr_b64 v16, v[26:27], v[0:1] offset0:2 offset1:3
	s_waitcnt lgkmcnt(0)
	s_barrier
	buffer_gl0_inv
	ds_load_b32 v0, v25
	v_lshlrev_b32_e32 v1, 3, v24
	s_waitcnt lgkmcnt(0)
	s_barrier
	buffer_gl0_inv
	v_lshl_add_u32 v0, v0, 3, v1
	ds_store_b64 v0, v[13:14]
	s_waitcnt lgkmcnt(0)
	s_barrier
	buffer_gl0_inv
	ds_load_b64 v[13:14], v21
	s_waitcnt lgkmcnt(0)
	s_barrier
	buffer_gl0_inv
	v_and_b32_e32 v0, 1, v13
	v_lshlrev_b32_e32 v1, 30, v13
	v_lshlrev_b32_e32 v2, 29, v13
	;; [unrolled: 1-line block ×4, first 2 shown]
	v_add_co_u32 v0, s12, v0, -1
	s_delay_alu instid0(VALU_DEP_1)
	v_cndmask_b32_e64 v4, 0, 1, s12
	v_not_b32_e32 v24, v1
	v_cmp_gt_i32_e64 s13, 0, v1
	v_not_b32_e32 v1, v2
	v_lshlrev_b32_e32 v6, 26, v13
	v_cmp_ne_u32_e64 s12, 0, v4
	v_ashrrev_i32_e32 v24, 31, v24
	v_lshlrev_b32_e32 v7, 25, v13
	v_ashrrev_i32_e32 v1, 31, v1
	v_lshlrev_b32_e32 v4, 24, v13
	v_xor_b32_e32 v0, s12, v0
	v_cmp_gt_i32_e64 s12, 0, v2
	v_not_b32_e32 v2, v3
	v_xor_b32_e32 v24, s13, v24
	v_cmp_gt_i32_e64 s13, 0, v3
	v_and_b32_e32 v0, exec_lo, v0
	v_not_b32_e32 v3, v5
	v_ashrrev_i32_e32 v2, 31, v2
	v_xor_b32_e32 v1, s12, v1
	v_cmp_gt_i32_e64 s12, 0, v5
	v_and_b32_e32 v0, v0, v24
	v_not_b32_e32 v5, v6
	v_ashrrev_i32_e32 v3, 31, v3
	v_xor_b32_e32 v2, s13, v2
	v_cmp_gt_i32_e64 s13, 0, v6
	v_and_b32_e32 v0, v0, v1
	;; [unrolled: 5-line block ×3, first 2 shown]
	v_not_b32_e32 v2, v4
	v_ashrrev_i32_e32 v1, 31, v1
	v_xor_b32_e32 v5, s13, v5
	v_cmp_gt_i32_e64 s13, 0, v4
	v_dual_mov_b32 v3, s16 :: v_dual_and_b32 v0, v0, v3
	v_ashrrev_i32_e32 v2, 31, v2
	v_xor_b32_e32 v1, s12, v1
	v_mov_b32_e32 v4, s17
	s_delay_alu instid0(VALU_DEP_4) | instskip(NEXT) | instid1(VALU_DEP_4)
	v_and_b32_e32 v0, v0, v5
	v_xor_b32_e32 v5, s13, v2
	s_delay_alu instid0(VALU_DEP_2)
	v_dual_mov_b32 v1, s22 :: v_dual_and_b32 v0, v0, v1
	v_mov_b32_e32 v2, s23
	ds_store_2addr_b64 v15, v[1:2], v[3:4] offset0:4 offset1:5
	ds_store_2addr_b64 v16, v[1:2], v[3:4] offset0:2 offset1:3
	v_and_b32_e32 v0, v0, v5
	v_and_b32_e32 v5, 0xff, v13
	s_waitcnt lgkmcnt(0)
	s_barrier
	buffer_gl0_inv
	v_mbcnt_lo_u32_b32 v24, v0, 0
	v_lshl_add_u32 v1, v5, 3, v22
	v_cmp_ne_u32_e64 s13, 0, v0
	; wave barrier
	s_delay_alu instid0(VALU_DEP_3) | instskip(NEXT) | instid1(VALU_DEP_3)
	v_cmp_eq_u32_e64 s12, 0, v24
	v_lshl_add_u32 v25, v1, 2, 32
	s_delay_alu instid0(VALU_DEP_2) | instskip(NEXT) | instid1(SALU_CYCLE_1)
	s_and_b32 s13, s13, s12
	s_and_saveexec_b32 s12, s13
	s_cbranch_execz .LBB360_36
; %bb.35:                               ;   in Loop: Header=BB360_2 Depth=1
	v_bcnt_u32_b32 v0, v0, 0
	ds_store_b32 v25, v0
.LBB360_36:                             ;   in Loop: Header=BB360_2 Depth=1
	s_or_b32 exec_lo, exec_lo, s12
	; wave barrier
	s_waitcnt lgkmcnt(0)
	s_barrier
	buffer_gl0_inv
	ds_load_2addr_b64 v[4:7], v15 offset0:4 offset1:5
	ds_load_2addr_b64 v[0:3], v16 offset0:2 offset1:3
	s_waitcnt lgkmcnt(1)
	v_add_nc_u32_e32 v26, v5, v4
	s_delay_alu instid0(VALU_DEP_1) | instskip(SKIP_1) | instid1(VALU_DEP_1)
	v_add3_u32 v26, v26, v6, v7
	s_waitcnt lgkmcnt(0)
	v_add3_u32 v26, v26, v0, v1
	s_delay_alu instid0(VALU_DEP_1) | instskip(NEXT) | instid1(VALU_DEP_1)
	v_add3_u32 v3, v26, v2, v3
	v_mov_b32_dpp v26, v3 row_shr:1 row_mask:0xf bank_mask:0xf
	s_delay_alu instid0(VALU_DEP_1) | instskip(NEXT) | instid1(VALU_DEP_1)
	v_cndmask_b32_e64 v26, v26, 0, s0
	v_add_nc_u32_e32 v3, v26, v3
	s_delay_alu instid0(VALU_DEP_1) | instskip(NEXT) | instid1(VALU_DEP_1)
	v_mov_b32_dpp v26, v3 row_shr:2 row_mask:0xf bank_mask:0xf
	v_cndmask_b32_e64 v26, 0, v26, s1
	s_delay_alu instid0(VALU_DEP_1) | instskip(NEXT) | instid1(VALU_DEP_1)
	v_add_nc_u32_e32 v3, v3, v26
	v_mov_b32_dpp v26, v3 row_shr:4 row_mask:0xf bank_mask:0xf
	s_delay_alu instid0(VALU_DEP_1) | instskip(NEXT) | instid1(VALU_DEP_1)
	v_cndmask_b32_e64 v26, 0, v26, s2
	v_add_nc_u32_e32 v3, v3, v26
	s_delay_alu instid0(VALU_DEP_1) | instskip(NEXT) | instid1(VALU_DEP_1)
	v_mov_b32_dpp v26, v3 row_shr:8 row_mask:0xf bank_mask:0xf
	v_cndmask_b32_e64 v26, 0, v26, s3
	s_delay_alu instid0(VALU_DEP_1) | instskip(SKIP_3) | instid1(VALU_DEP_1)
	v_add_nc_u32_e32 v3, v3, v26
	ds_swizzle_b32 v26, v3 offset:swizzle(BROADCAST,32,15)
	s_waitcnt lgkmcnt(0)
	v_cndmask_b32_e64 v26, v26, 0, s4
	v_add_nc_u32_e32 v3, v3, v26
	s_and_saveexec_b32 s12, s11
	s_cbranch_execz .LBB360_38
; %bb.37:                               ;   in Loop: Header=BB360_2 Depth=1
	ds_store_b32 v17, v3
.LBB360_38:                             ;   in Loop: Header=BB360_2 Depth=1
	s_or_b32 exec_lo, exec_lo, s12
	s_waitcnt lgkmcnt(0)
	s_barrier
	buffer_gl0_inv
	s_and_saveexec_b32 s12, s5
	s_cbranch_execz .LBB360_40
; %bb.39:                               ;   in Loop: Header=BB360_2 Depth=1
	ds_load_b32 v26, v19
	s_waitcnt lgkmcnt(0)
	v_mov_b32_dpp v27, v26 row_shr:1 row_mask:0xf bank_mask:0xf
	s_delay_alu instid0(VALU_DEP_1) | instskip(NEXT) | instid1(VALU_DEP_1)
	v_cndmask_b32_e64 v27, v27, 0, s8
	v_add_nc_u32_e32 v26, v27, v26
	s_delay_alu instid0(VALU_DEP_1) | instskip(NEXT) | instid1(VALU_DEP_1)
	v_mov_b32_dpp v27, v26 row_shr:2 row_mask:0xf bank_mask:0xf
	v_cndmask_b32_e64 v27, 0, v27, s9
	s_delay_alu instid0(VALU_DEP_1) | instskip(NEXT) | instid1(VALU_DEP_1)
	v_add_nc_u32_e32 v26, v26, v27
	v_mov_b32_dpp v27, v26 row_shr:4 row_mask:0xf bank_mask:0xf
	s_delay_alu instid0(VALU_DEP_1) | instskip(NEXT) | instid1(VALU_DEP_1)
	v_cndmask_b32_e64 v27, 0, v27, s10
	v_add_nc_u32_e32 v26, v26, v27
	ds_store_b32 v19, v26
.LBB360_40:                             ;   in Loop: Header=BB360_2 Depth=1
	s_or_b32 exec_lo, exec_lo, s12
	v_mov_b32_e32 v26, 0
	s_waitcnt lgkmcnt(0)
	s_barrier
	buffer_gl0_inv
	s_and_saveexec_b32 s12, s6
	s_cbranch_execz .LBB360_42
; %bb.41:                               ;   in Loop: Header=BB360_2 Depth=1
	ds_load_b32 v26, v20
.LBB360_42:                             ;   in Loop: Header=BB360_2 Depth=1
	s_or_b32 exec_lo, exec_lo, s12
	s_waitcnt lgkmcnt(0)
	v_add_nc_u32_e32 v3, v26, v3
	ds_bpermute_b32 v3, v18, v3
	s_waitcnt lgkmcnt(0)
	v_cndmask_b32_e32 v3, v3, v26, vcc_lo
	s_delay_alu instid0(VALU_DEP_1) | instskip(NEXT) | instid1(VALU_DEP_1)
	v_cndmask_b32_e64 v3, v3, 0, s7
	v_add_nc_u32_e32 v4, v3, v4
	s_delay_alu instid0(VALU_DEP_1) | instskip(NEXT) | instid1(VALU_DEP_1)
	v_add_nc_u32_e32 v5, v4, v5
	v_add_nc_u32_e32 v6, v5, v6
	s_delay_alu instid0(VALU_DEP_1) | instskip(NEXT) | instid1(VALU_DEP_1)
	v_add_nc_u32_e32 v26, v6, v7
	;; [unrolled: 3-line block ×3, first 2 shown]
	v_add_nc_u32_e32 v1, v0, v2
	ds_store_2addr_b64 v15, v[3:4], v[5:6] offset0:4 offset1:5
	ds_store_2addr_b64 v16, v[26:27], v[0:1] offset0:2 offset1:3
	s_waitcnt lgkmcnt(0)
	s_barrier
	buffer_gl0_inv
	ds_load_b32 v0, v25
	v_lshlrev_b32_e32 v1, 3, v24
	s_waitcnt lgkmcnt(0)
	s_barrier
	buffer_gl0_inv
	v_lshl_add_u32 v0, v0, 3, v1
	ds_store_b64 v0, v[13:14]
	s_waitcnt lgkmcnt(0)
	s_barrier
	buffer_gl0_inv
	ds_load_b64 v[13:14], v21
	s_waitcnt lgkmcnt(0)
	s_barrier
	buffer_gl0_inv
	v_bfe_u32 v0, v13, 8, 1
	v_lshrrev_b32_e32 v1, 8, v13
	s_delay_alu instid0(VALU_DEP_2) | instskip(NEXT) | instid1(VALU_DEP_1)
	v_add_co_u32 v0, s12, v0, -1
	v_cndmask_b32_e64 v2, 0, 1, s12
	s_delay_alu instid0(VALU_DEP_3)
	v_lshlrev_b32_e32 v3, 30, v1
	v_lshlrev_b32_e32 v4, 29, v1
	;; [unrolled: 1-line block ×4, first 2 shown]
	v_cmp_ne_u32_e64 s12, 0, v2
	v_not_b32_e32 v2, v3
	v_cmp_gt_i32_e64 s13, 0, v3
	v_not_b32_e32 v3, v4
	v_lshlrev_b32_e32 v7, 26, v1
	v_xor_b32_e32 v0, s12, v0
	v_ashrrev_i32_e32 v2, 31, v2
	v_cmp_gt_i32_e64 s12, 0, v4
	v_not_b32_e32 v4, v5
	v_ashrrev_i32_e32 v3, 31, v3
	v_and_b32_e32 v0, exec_lo, v0
	v_xor_b32_e32 v2, s13, v2
	v_cmp_gt_i32_e64 s13, 0, v5
	v_not_b32_e32 v5, v6
	v_ashrrev_i32_e32 v4, 31, v4
	v_xor_b32_e32 v3, s12, v3
	v_and_b32_e32 v0, v0, v2
	v_lshlrev_b32_e32 v24, 25, v1
	v_cmp_gt_i32_e64 s12, 0, v6
	v_not_b32_e32 v2, v7
	v_ashrrev_i32_e32 v5, 31, v5
	v_xor_b32_e32 v4, s13, v4
	v_and_b32_e32 v0, v0, v3
	v_lshlrev_b32_e32 v1, 24, v1
	v_cmp_gt_i32_e64 s13, 0, v7
	v_not_b32_e32 v3, v24
	v_ashrrev_i32_e32 v2, 31, v2
	v_xor_b32_e32 v5, s12, v5
	v_and_b32_e32 v0, v0, v4
	v_cmp_gt_i32_e64 s12, 0, v24
	v_not_b32_e32 v4, v1
	v_ashrrev_i32_e32 v3, 31, v3
	v_xor_b32_e32 v2, s13, v2
	v_and_b32_e32 v0, v0, v5
	v_cmp_gt_i32_e64 s13, 0, v1
	v_ashrrev_i32_e32 v1, 31, v4
	v_xor_b32_e32 v3, s12, v3
	v_lshrrev_b32_e32 v6, 5, v13
	v_and_b32_e32 v0, v0, v2
	s_delay_alu instid0(VALU_DEP_4) | instskip(SKIP_1) | instid1(VALU_DEP_3)
	v_xor_b32_e32 v5, s13, v1
	v_dual_mov_b32 v1, s22 :: v_dual_mov_b32 v2, s23
	v_dual_mov_b32 v3, s16 :: v_dual_and_b32 v0, v0, v3
	v_mov_b32_e32 v4, s17
	ds_store_2addr_b64 v15, v[1:2], v[3:4] offset0:4 offset1:5
	ds_store_2addr_b64 v16, v[1:2], v[3:4] offset0:2 offset1:3
	v_and_b32_e32 v0, v0, v5
	v_and_b32_e32 v5, 0x7f8, v6
	s_waitcnt lgkmcnt(0)
	s_barrier
	buffer_gl0_inv
	v_mbcnt_lo_u32_b32 v24, v0, 0
	v_add_nc_u32_e32 v1, v5, v22
	v_cmp_ne_u32_e64 s13, 0, v0
	; wave barrier
	s_delay_alu instid0(VALU_DEP_3) | instskip(NEXT) | instid1(VALU_DEP_3)
	v_cmp_eq_u32_e64 s12, 0, v24
	v_lshl_add_u32 v25, v1, 2, 32
	s_delay_alu instid0(VALU_DEP_2) | instskip(NEXT) | instid1(SALU_CYCLE_1)
	s_and_b32 s13, s13, s12
	s_and_saveexec_b32 s12, s13
	s_cbranch_execz .LBB360_44
; %bb.43:                               ;   in Loop: Header=BB360_2 Depth=1
	v_bcnt_u32_b32 v0, v0, 0
	ds_store_b32 v25, v0
.LBB360_44:                             ;   in Loop: Header=BB360_2 Depth=1
	s_or_b32 exec_lo, exec_lo, s12
	; wave barrier
	s_waitcnt lgkmcnt(0)
	s_barrier
	buffer_gl0_inv
	ds_load_2addr_b64 v[4:7], v15 offset0:4 offset1:5
	ds_load_2addr_b64 v[0:3], v16 offset0:2 offset1:3
	s_waitcnt lgkmcnt(1)
	v_add_nc_u32_e32 v26, v5, v4
	s_delay_alu instid0(VALU_DEP_1) | instskip(SKIP_1) | instid1(VALU_DEP_1)
	v_add3_u32 v26, v26, v6, v7
	s_waitcnt lgkmcnt(0)
	v_add3_u32 v26, v26, v0, v1
	s_delay_alu instid0(VALU_DEP_1) | instskip(NEXT) | instid1(VALU_DEP_1)
	v_add3_u32 v3, v26, v2, v3
	v_mov_b32_dpp v26, v3 row_shr:1 row_mask:0xf bank_mask:0xf
	s_delay_alu instid0(VALU_DEP_1) | instskip(NEXT) | instid1(VALU_DEP_1)
	v_cndmask_b32_e64 v26, v26, 0, s0
	v_add_nc_u32_e32 v3, v26, v3
	s_delay_alu instid0(VALU_DEP_1) | instskip(NEXT) | instid1(VALU_DEP_1)
	v_mov_b32_dpp v26, v3 row_shr:2 row_mask:0xf bank_mask:0xf
	v_cndmask_b32_e64 v26, 0, v26, s1
	s_delay_alu instid0(VALU_DEP_1) | instskip(NEXT) | instid1(VALU_DEP_1)
	v_add_nc_u32_e32 v3, v3, v26
	v_mov_b32_dpp v26, v3 row_shr:4 row_mask:0xf bank_mask:0xf
	s_delay_alu instid0(VALU_DEP_1) | instskip(NEXT) | instid1(VALU_DEP_1)
	v_cndmask_b32_e64 v26, 0, v26, s2
	v_add_nc_u32_e32 v3, v3, v26
	s_delay_alu instid0(VALU_DEP_1) | instskip(NEXT) | instid1(VALU_DEP_1)
	v_mov_b32_dpp v26, v3 row_shr:8 row_mask:0xf bank_mask:0xf
	v_cndmask_b32_e64 v26, 0, v26, s3
	s_delay_alu instid0(VALU_DEP_1) | instskip(SKIP_3) | instid1(VALU_DEP_1)
	v_add_nc_u32_e32 v3, v3, v26
	ds_swizzle_b32 v26, v3 offset:swizzle(BROADCAST,32,15)
	s_waitcnt lgkmcnt(0)
	v_cndmask_b32_e64 v26, v26, 0, s4
	v_add_nc_u32_e32 v3, v3, v26
	s_and_saveexec_b32 s12, s11
	s_cbranch_execz .LBB360_46
; %bb.45:                               ;   in Loop: Header=BB360_2 Depth=1
	ds_store_b32 v17, v3
.LBB360_46:                             ;   in Loop: Header=BB360_2 Depth=1
	s_or_b32 exec_lo, exec_lo, s12
	s_waitcnt lgkmcnt(0)
	s_barrier
	buffer_gl0_inv
	s_and_saveexec_b32 s12, s5
	s_cbranch_execz .LBB360_48
; %bb.47:                               ;   in Loop: Header=BB360_2 Depth=1
	ds_load_b32 v26, v19
	s_waitcnt lgkmcnt(0)
	v_mov_b32_dpp v27, v26 row_shr:1 row_mask:0xf bank_mask:0xf
	s_delay_alu instid0(VALU_DEP_1) | instskip(NEXT) | instid1(VALU_DEP_1)
	v_cndmask_b32_e64 v27, v27, 0, s8
	v_add_nc_u32_e32 v26, v27, v26
	s_delay_alu instid0(VALU_DEP_1) | instskip(NEXT) | instid1(VALU_DEP_1)
	v_mov_b32_dpp v27, v26 row_shr:2 row_mask:0xf bank_mask:0xf
	v_cndmask_b32_e64 v27, 0, v27, s9
	s_delay_alu instid0(VALU_DEP_1) | instskip(NEXT) | instid1(VALU_DEP_1)
	v_add_nc_u32_e32 v26, v26, v27
	v_mov_b32_dpp v27, v26 row_shr:4 row_mask:0xf bank_mask:0xf
	s_delay_alu instid0(VALU_DEP_1) | instskip(NEXT) | instid1(VALU_DEP_1)
	v_cndmask_b32_e64 v27, 0, v27, s10
	v_add_nc_u32_e32 v26, v26, v27
	ds_store_b32 v19, v26
.LBB360_48:                             ;   in Loop: Header=BB360_2 Depth=1
	s_or_b32 exec_lo, exec_lo, s12
	v_mov_b32_e32 v26, 0
	s_waitcnt lgkmcnt(0)
	s_barrier
	buffer_gl0_inv
	s_and_saveexec_b32 s12, s6
	s_cbranch_execz .LBB360_50
; %bb.49:                               ;   in Loop: Header=BB360_2 Depth=1
	ds_load_b32 v26, v20
.LBB360_50:                             ;   in Loop: Header=BB360_2 Depth=1
	s_or_b32 exec_lo, exec_lo, s12
	s_waitcnt lgkmcnt(0)
	v_add_nc_u32_e32 v3, v26, v3
	ds_bpermute_b32 v3, v18, v3
	s_waitcnt lgkmcnt(0)
	v_cndmask_b32_e32 v3, v3, v26, vcc_lo
	s_delay_alu instid0(VALU_DEP_1) | instskip(NEXT) | instid1(VALU_DEP_1)
	v_cndmask_b32_e64 v3, v3, 0, s7
	v_add_nc_u32_e32 v4, v3, v4
	s_delay_alu instid0(VALU_DEP_1) | instskip(NEXT) | instid1(VALU_DEP_1)
	v_add_nc_u32_e32 v5, v4, v5
	v_add_nc_u32_e32 v6, v5, v6
	s_delay_alu instid0(VALU_DEP_1) | instskip(NEXT) | instid1(VALU_DEP_1)
	v_add_nc_u32_e32 v26, v6, v7
	;; [unrolled: 3-line block ×3, first 2 shown]
	v_add_nc_u32_e32 v1, v0, v2
	ds_store_2addr_b64 v15, v[3:4], v[5:6] offset0:4 offset1:5
	ds_store_2addr_b64 v16, v[26:27], v[0:1] offset0:2 offset1:3
	s_waitcnt lgkmcnt(0)
	s_barrier
	buffer_gl0_inv
	ds_load_b32 v0, v25
	v_lshlrev_b32_e32 v1, 3, v24
	s_waitcnt lgkmcnt(0)
	s_barrier
	buffer_gl0_inv
	v_lshl_add_u32 v0, v0, 3, v1
	ds_store_b64 v0, v[13:14]
	s_waitcnt lgkmcnt(0)
	s_barrier
	buffer_gl0_inv
	ds_load_b64 v[13:14], v21
	s_waitcnt lgkmcnt(0)
	s_barrier
	buffer_gl0_inv
	v_bfe_u32 v0, v13, 16, 1
	v_lshrrev_b32_e32 v1, 16, v13
	s_delay_alu instid0(VALU_DEP_2) | instskip(NEXT) | instid1(VALU_DEP_1)
	v_add_co_u32 v0, s12, v0, -1
	v_cndmask_b32_e64 v2, 0, 1, s12
	s_delay_alu instid0(VALU_DEP_3)
	v_lshlrev_b32_e32 v3, 30, v1
	v_lshlrev_b32_e32 v4, 29, v1
	;; [unrolled: 1-line block ×4, first 2 shown]
	v_cmp_ne_u32_e64 s12, 0, v2
	v_not_b32_e32 v2, v3
	v_cmp_gt_i32_e64 s13, 0, v3
	v_not_b32_e32 v3, v4
	v_lshlrev_b32_e32 v7, 26, v1
	v_xor_b32_e32 v0, s12, v0
	v_ashrrev_i32_e32 v2, 31, v2
	v_cmp_gt_i32_e64 s12, 0, v4
	v_not_b32_e32 v4, v5
	v_ashrrev_i32_e32 v3, 31, v3
	v_and_b32_e32 v0, exec_lo, v0
	v_xor_b32_e32 v2, s13, v2
	v_cmp_gt_i32_e64 s13, 0, v5
	v_not_b32_e32 v5, v6
	v_ashrrev_i32_e32 v4, 31, v4
	v_xor_b32_e32 v3, s12, v3
	v_and_b32_e32 v0, v0, v2
	v_lshlrev_b32_e32 v24, 25, v1
	v_cmp_gt_i32_e64 s12, 0, v6
	v_not_b32_e32 v2, v7
	v_ashrrev_i32_e32 v5, 31, v5
	v_xor_b32_e32 v4, s13, v4
	v_and_b32_e32 v0, v0, v3
	v_lshlrev_b32_e32 v1, 24, v1
	v_cmp_gt_i32_e64 s13, 0, v7
	v_not_b32_e32 v3, v24
	v_ashrrev_i32_e32 v2, 31, v2
	v_xor_b32_e32 v5, s12, v5
	v_and_b32_e32 v0, v0, v4
	v_cmp_gt_i32_e64 s12, 0, v24
	v_not_b32_e32 v4, v1
	v_ashrrev_i32_e32 v3, 31, v3
	v_xor_b32_e32 v2, s13, v2
	v_and_b32_e32 v0, v0, v5
	v_cmp_gt_i32_e64 s13, 0, v1
	v_ashrrev_i32_e32 v1, 31, v4
	v_xor_b32_e32 v3, s12, v3
	v_lshrrev_b32_e32 v6, 13, v13
	v_and_b32_e32 v0, v0, v2
	s_delay_alu instid0(VALU_DEP_4) | instskip(SKIP_1) | instid1(VALU_DEP_3)
	v_xor_b32_e32 v5, s13, v1
	v_dual_mov_b32 v1, s22 :: v_dual_mov_b32 v2, s23
	v_dual_mov_b32 v3, s16 :: v_dual_and_b32 v0, v0, v3
	v_mov_b32_e32 v4, s17
	ds_store_2addr_b64 v15, v[1:2], v[3:4] offset0:4 offset1:5
	ds_store_2addr_b64 v16, v[1:2], v[3:4] offset0:2 offset1:3
	v_and_b32_e32 v0, v0, v5
	v_and_b32_e32 v5, 0x7f8, v6
	s_waitcnt lgkmcnt(0)
	s_barrier
	buffer_gl0_inv
	v_mbcnt_lo_u32_b32 v24, v0, 0
	v_add_nc_u32_e32 v1, v5, v22
	v_cmp_ne_u32_e64 s13, 0, v0
	; wave barrier
	s_delay_alu instid0(VALU_DEP_3) | instskip(NEXT) | instid1(VALU_DEP_3)
	v_cmp_eq_u32_e64 s12, 0, v24
	v_lshl_add_u32 v25, v1, 2, 32
	s_delay_alu instid0(VALU_DEP_2) | instskip(NEXT) | instid1(SALU_CYCLE_1)
	s_and_b32 s13, s13, s12
	s_and_saveexec_b32 s12, s13
	s_cbranch_execz .LBB360_52
; %bb.51:                               ;   in Loop: Header=BB360_2 Depth=1
	v_bcnt_u32_b32 v0, v0, 0
	ds_store_b32 v25, v0
.LBB360_52:                             ;   in Loop: Header=BB360_2 Depth=1
	s_or_b32 exec_lo, exec_lo, s12
	; wave barrier
	s_waitcnt lgkmcnt(0)
	s_barrier
	buffer_gl0_inv
	ds_load_2addr_b64 v[4:7], v15 offset0:4 offset1:5
	ds_load_2addr_b64 v[0:3], v16 offset0:2 offset1:3
	s_waitcnt lgkmcnt(1)
	v_add_nc_u32_e32 v26, v5, v4
	s_delay_alu instid0(VALU_DEP_1) | instskip(SKIP_1) | instid1(VALU_DEP_1)
	v_add3_u32 v26, v26, v6, v7
	s_waitcnt lgkmcnt(0)
	v_add3_u32 v26, v26, v0, v1
	s_delay_alu instid0(VALU_DEP_1) | instskip(NEXT) | instid1(VALU_DEP_1)
	v_add3_u32 v3, v26, v2, v3
	v_mov_b32_dpp v26, v3 row_shr:1 row_mask:0xf bank_mask:0xf
	s_delay_alu instid0(VALU_DEP_1) | instskip(NEXT) | instid1(VALU_DEP_1)
	v_cndmask_b32_e64 v26, v26, 0, s0
	v_add_nc_u32_e32 v3, v26, v3
	s_delay_alu instid0(VALU_DEP_1) | instskip(NEXT) | instid1(VALU_DEP_1)
	v_mov_b32_dpp v26, v3 row_shr:2 row_mask:0xf bank_mask:0xf
	v_cndmask_b32_e64 v26, 0, v26, s1
	s_delay_alu instid0(VALU_DEP_1) | instskip(NEXT) | instid1(VALU_DEP_1)
	v_add_nc_u32_e32 v3, v3, v26
	v_mov_b32_dpp v26, v3 row_shr:4 row_mask:0xf bank_mask:0xf
	s_delay_alu instid0(VALU_DEP_1) | instskip(NEXT) | instid1(VALU_DEP_1)
	v_cndmask_b32_e64 v26, 0, v26, s2
	v_add_nc_u32_e32 v3, v3, v26
	s_delay_alu instid0(VALU_DEP_1) | instskip(NEXT) | instid1(VALU_DEP_1)
	v_mov_b32_dpp v26, v3 row_shr:8 row_mask:0xf bank_mask:0xf
	v_cndmask_b32_e64 v26, 0, v26, s3
	s_delay_alu instid0(VALU_DEP_1) | instskip(SKIP_3) | instid1(VALU_DEP_1)
	v_add_nc_u32_e32 v3, v3, v26
	ds_swizzle_b32 v26, v3 offset:swizzle(BROADCAST,32,15)
	s_waitcnt lgkmcnt(0)
	v_cndmask_b32_e64 v26, v26, 0, s4
	v_add_nc_u32_e32 v3, v3, v26
	s_and_saveexec_b32 s12, s11
	s_cbranch_execz .LBB360_54
; %bb.53:                               ;   in Loop: Header=BB360_2 Depth=1
	ds_store_b32 v17, v3
.LBB360_54:                             ;   in Loop: Header=BB360_2 Depth=1
	s_or_b32 exec_lo, exec_lo, s12
	s_waitcnt lgkmcnt(0)
	s_barrier
	buffer_gl0_inv
	s_and_saveexec_b32 s12, s5
	s_cbranch_execz .LBB360_56
; %bb.55:                               ;   in Loop: Header=BB360_2 Depth=1
	ds_load_b32 v26, v19
	s_waitcnt lgkmcnt(0)
	v_mov_b32_dpp v27, v26 row_shr:1 row_mask:0xf bank_mask:0xf
	s_delay_alu instid0(VALU_DEP_1) | instskip(NEXT) | instid1(VALU_DEP_1)
	v_cndmask_b32_e64 v27, v27, 0, s8
	v_add_nc_u32_e32 v26, v27, v26
	s_delay_alu instid0(VALU_DEP_1) | instskip(NEXT) | instid1(VALU_DEP_1)
	v_mov_b32_dpp v27, v26 row_shr:2 row_mask:0xf bank_mask:0xf
	v_cndmask_b32_e64 v27, 0, v27, s9
	s_delay_alu instid0(VALU_DEP_1) | instskip(NEXT) | instid1(VALU_DEP_1)
	v_add_nc_u32_e32 v26, v26, v27
	v_mov_b32_dpp v27, v26 row_shr:4 row_mask:0xf bank_mask:0xf
	s_delay_alu instid0(VALU_DEP_1) | instskip(NEXT) | instid1(VALU_DEP_1)
	v_cndmask_b32_e64 v27, 0, v27, s10
	v_add_nc_u32_e32 v26, v26, v27
	ds_store_b32 v19, v26
.LBB360_56:                             ;   in Loop: Header=BB360_2 Depth=1
	s_or_b32 exec_lo, exec_lo, s12
	v_mov_b32_e32 v26, 0
	s_waitcnt lgkmcnt(0)
	s_barrier
	buffer_gl0_inv
	s_and_saveexec_b32 s12, s6
	s_cbranch_execz .LBB360_58
; %bb.57:                               ;   in Loop: Header=BB360_2 Depth=1
	ds_load_b32 v26, v20
.LBB360_58:                             ;   in Loop: Header=BB360_2 Depth=1
	s_or_b32 exec_lo, exec_lo, s12
	s_waitcnt lgkmcnt(0)
	v_add_nc_u32_e32 v3, v26, v3
	ds_bpermute_b32 v3, v18, v3
	s_waitcnt lgkmcnt(0)
	v_cndmask_b32_e32 v3, v3, v26, vcc_lo
	s_delay_alu instid0(VALU_DEP_1) | instskip(NEXT) | instid1(VALU_DEP_1)
	v_cndmask_b32_e64 v3, v3, 0, s7
	v_add_nc_u32_e32 v4, v3, v4
	s_delay_alu instid0(VALU_DEP_1) | instskip(NEXT) | instid1(VALU_DEP_1)
	v_add_nc_u32_e32 v5, v4, v5
	v_add_nc_u32_e32 v6, v5, v6
	s_delay_alu instid0(VALU_DEP_1) | instskip(NEXT) | instid1(VALU_DEP_1)
	v_add_nc_u32_e32 v26, v6, v7
	v_add_nc_u32_e32 v27, v26, v0
	s_delay_alu instid0(VALU_DEP_1) | instskip(NEXT) | instid1(VALU_DEP_1)
	v_add_nc_u32_e32 v0, v27, v1
	v_add_nc_u32_e32 v1, v0, v2
	ds_store_2addr_b64 v15, v[3:4], v[5:6] offset0:4 offset1:5
	ds_store_2addr_b64 v16, v[26:27], v[0:1] offset0:2 offset1:3
	s_waitcnt lgkmcnt(0)
	s_barrier
	buffer_gl0_inv
	ds_load_b32 v0, v25
	v_lshlrev_b32_e32 v1, 3, v24
	s_waitcnt lgkmcnt(0)
	s_barrier
	buffer_gl0_inv
	v_lshl_add_u32 v0, v0, 3, v1
	ds_store_b64 v0, v[13:14]
	s_waitcnt lgkmcnt(0)
	s_barrier
	buffer_gl0_inv
	ds_load_b64 v[13:14], v21
	s_waitcnt lgkmcnt(0)
	s_barrier
	buffer_gl0_inv
	v_bfe_u32 v0, v13, 24, 1
	v_lshrrev_b32_e32 v5, 24, v13
	s_delay_alu instid0(VALU_DEP_2) | instskip(NEXT) | instid1(VALU_DEP_1)
	v_add_co_u32 v0, s12, v0, -1
	v_cndmask_b32_e64 v1, 0, 1, s12
	s_delay_alu instid0(VALU_DEP_3)
	v_lshlrev_b32_e32 v2, 30, v5
	v_lshlrev_b32_e32 v3, 29, v5
	;; [unrolled: 1-line block ×4, first 2 shown]
	v_cmp_ne_u32_e64 s12, 0, v1
	v_not_b32_e32 v1, v2
	v_cmp_gt_i32_e64 s13, 0, v2
	v_not_b32_e32 v2, v3
	v_lshlrev_b32_e32 v7, 26, v5
	v_xor_b32_e32 v0, s12, v0
	v_ashrrev_i32_e32 v1, 31, v1
	v_cmp_gt_i32_e64 s12, 0, v3
	v_not_b32_e32 v3, v4
	v_ashrrev_i32_e32 v2, 31, v2
	v_and_b32_e32 v0, exec_lo, v0
	v_xor_b32_e32 v1, s13, v1
	v_cmp_gt_i32_e64 s13, 0, v4
	v_not_b32_e32 v4, v6
	v_ashrrev_i32_e32 v3, 31, v3
	v_xor_b32_e32 v2, s12, v2
	v_and_b32_e32 v0, v0, v1
	v_lshlrev_b32_e32 v24, 25, v5
	v_cmp_gt_i32_e64 s12, 0, v6
	v_not_b32_e32 v1, v7
	v_ashrrev_i32_e32 v4, 31, v4
	v_xor_b32_e32 v3, s13, v3
	v_and_b32_e32 v0, v0, v2
	v_cmp_gt_i32_e64 s13, 0, v7
	v_not_b32_e32 v2, v24
	v_ashrrev_i32_e32 v1, 31, v1
	v_xor_b32_e32 v4, s12, v4
	v_and_b32_e32 v0, v0, v3
	v_not_b32_e32 v3, v13
	v_cmp_gt_i32_e64 s12, 0, v24
	v_ashrrev_i32_e32 v2, 31, v2
	v_xor_b32_e32 v1, s13, v1
	v_and_b32_e32 v0, v0, v4
	v_cmp_gt_i32_e64 s13, 0, v13
	v_ashrrev_i32_e32 v3, 31, v3
	v_xor_b32_e32 v2, s12, v2
	s_delay_alu instid0(VALU_DEP_4) | instskip(NEXT) | instid1(VALU_DEP_3)
	v_and_b32_e32 v0, v0, v1
	v_xor_b32_e32 v3, s13, v3
	s_delay_alu instid0(VALU_DEP_2) | instskip(SKIP_1) | instid1(VALU_DEP_2)
	v_dual_mov_b32 v1, s22 :: v_dual_and_b32 v0, v0, v2
	v_mov_b32_e32 v2, s23
	v_dual_mov_b32 v3, s16 :: v_dual_and_b32 v0, v0, v3
	v_mov_b32_e32 v4, s17
	ds_store_2addr_b64 v15, v[1:2], v[3:4] offset0:4 offset1:5
	ds_store_2addr_b64 v16, v[1:2], v[3:4] offset0:2 offset1:3
	v_mbcnt_lo_u32_b32 v24, v0, 0
	v_lshl_add_u32 v1, v5, 3, v22
	v_cmp_ne_u32_e64 s13, 0, v0
	s_waitcnt lgkmcnt(0)
	s_barrier
	v_cmp_eq_u32_e64 s12, 0, v24
	v_lshl_add_u32 v25, v1, 2, 32
	buffer_gl0_inv
	; wave barrier
	s_and_b32 s13, s13, s12
	s_delay_alu instid0(SALU_CYCLE_1)
	s_and_saveexec_b32 s12, s13
	s_cbranch_execz .LBB360_60
; %bb.59:                               ;   in Loop: Header=BB360_2 Depth=1
	v_bcnt_u32_b32 v0, v0, 0
	ds_store_b32 v25, v0
.LBB360_60:                             ;   in Loop: Header=BB360_2 Depth=1
	s_or_b32 exec_lo, exec_lo, s12
	; wave barrier
	s_waitcnt lgkmcnt(0)
	s_barrier
	buffer_gl0_inv
	ds_load_2addr_b64 v[4:7], v15 offset0:4 offset1:5
	ds_load_2addr_b64 v[0:3], v16 offset0:2 offset1:3
	s_waitcnt lgkmcnt(1)
	v_add_nc_u32_e32 v26, v5, v4
	s_delay_alu instid0(VALU_DEP_1) | instskip(SKIP_1) | instid1(VALU_DEP_1)
	v_add3_u32 v26, v26, v6, v7
	s_waitcnt lgkmcnt(0)
	v_add3_u32 v26, v26, v0, v1
	s_delay_alu instid0(VALU_DEP_1) | instskip(NEXT) | instid1(VALU_DEP_1)
	v_add3_u32 v3, v26, v2, v3
	v_mov_b32_dpp v26, v3 row_shr:1 row_mask:0xf bank_mask:0xf
	s_delay_alu instid0(VALU_DEP_1) | instskip(NEXT) | instid1(VALU_DEP_1)
	v_cndmask_b32_e64 v26, v26, 0, s0
	v_add_nc_u32_e32 v3, v26, v3
	s_delay_alu instid0(VALU_DEP_1) | instskip(NEXT) | instid1(VALU_DEP_1)
	v_mov_b32_dpp v26, v3 row_shr:2 row_mask:0xf bank_mask:0xf
	v_cndmask_b32_e64 v26, 0, v26, s1
	s_delay_alu instid0(VALU_DEP_1) | instskip(NEXT) | instid1(VALU_DEP_1)
	v_add_nc_u32_e32 v3, v3, v26
	v_mov_b32_dpp v26, v3 row_shr:4 row_mask:0xf bank_mask:0xf
	s_delay_alu instid0(VALU_DEP_1) | instskip(NEXT) | instid1(VALU_DEP_1)
	v_cndmask_b32_e64 v26, 0, v26, s2
	v_add_nc_u32_e32 v3, v3, v26
	s_delay_alu instid0(VALU_DEP_1) | instskip(NEXT) | instid1(VALU_DEP_1)
	v_mov_b32_dpp v26, v3 row_shr:8 row_mask:0xf bank_mask:0xf
	v_cndmask_b32_e64 v26, 0, v26, s3
	s_delay_alu instid0(VALU_DEP_1) | instskip(SKIP_3) | instid1(VALU_DEP_1)
	v_add_nc_u32_e32 v3, v3, v26
	ds_swizzle_b32 v26, v3 offset:swizzle(BROADCAST,32,15)
	s_waitcnt lgkmcnt(0)
	v_cndmask_b32_e64 v26, v26, 0, s4
	v_add_nc_u32_e32 v3, v3, v26
	s_and_saveexec_b32 s12, s11
	s_cbranch_execz .LBB360_62
; %bb.61:                               ;   in Loop: Header=BB360_2 Depth=1
	ds_store_b32 v17, v3
.LBB360_62:                             ;   in Loop: Header=BB360_2 Depth=1
	s_or_b32 exec_lo, exec_lo, s12
	s_waitcnt lgkmcnt(0)
	s_barrier
	buffer_gl0_inv
	s_and_saveexec_b32 s12, s5
	s_cbranch_execz .LBB360_64
; %bb.63:                               ;   in Loop: Header=BB360_2 Depth=1
	ds_load_b32 v26, v19
	s_waitcnt lgkmcnt(0)
	v_mov_b32_dpp v27, v26 row_shr:1 row_mask:0xf bank_mask:0xf
	s_delay_alu instid0(VALU_DEP_1) | instskip(NEXT) | instid1(VALU_DEP_1)
	v_cndmask_b32_e64 v27, v27, 0, s8
	v_add_nc_u32_e32 v26, v27, v26
	s_delay_alu instid0(VALU_DEP_1) | instskip(NEXT) | instid1(VALU_DEP_1)
	v_mov_b32_dpp v27, v26 row_shr:2 row_mask:0xf bank_mask:0xf
	v_cndmask_b32_e64 v27, 0, v27, s9
	s_delay_alu instid0(VALU_DEP_1) | instskip(NEXT) | instid1(VALU_DEP_1)
	v_add_nc_u32_e32 v26, v26, v27
	v_mov_b32_dpp v27, v26 row_shr:4 row_mask:0xf bank_mask:0xf
	s_delay_alu instid0(VALU_DEP_1) | instskip(NEXT) | instid1(VALU_DEP_1)
	v_cndmask_b32_e64 v27, 0, v27, s10
	v_add_nc_u32_e32 v26, v26, v27
	ds_store_b32 v19, v26
.LBB360_64:                             ;   in Loop: Header=BB360_2 Depth=1
	s_or_b32 exec_lo, exec_lo, s12
	v_mov_b32_e32 v26, 0
	s_waitcnt lgkmcnt(0)
	s_barrier
	buffer_gl0_inv
	s_and_saveexec_b32 s12, s6
	s_cbranch_execz .LBB360_1
; %bb.65:                               ;   in Loop: Header=BB360_2 Depth=1
	ds_load_b32 v26, v20
	s_branch .LBB360_1
.LBB360_66:
	s_waitcnt lgkmcnt(0)
	v_xor_b32_e32 v1, 0x80000000, v14
	v_xor_b32_e32 v0, 0x80000000, v13
	v_lshlrev_b32_e32 v2, 3, v8
	s_add_u32 s0, s18, s20
	s_addc_u32 s1, s19, s21
	global_store_b64 v2, v[0:1], s[0:1]
	s_nop 0
	s_sendmsg sendmsg(MSG_DEALLOC_VGPRS)
	s_endpgm
	.section	.rodata,"a",@progbits
	.p2align	6, 0x0
	.amdhsa_kernel _Z16sort_keys_kernelI22helper_blocked_stripedN15benchmark_utils11custom_typeIiiEELj256ELj1ELj10EEvPKT0_PS4_
		.amdhsa_group_segment_fixed_size 8224
		.amdhsa_private_segment_fixed_size 0
		.amdhsa_kernarg_size 272
		.amdhsa_user_sgpr_count 15
		.amdhsa_user_sgpr_dispatch_ptr 0
		.amdhsa_user_sgpr_queue_ptr 0
		.amdhsa_user_sgpr_kernarg_segment_ptr 1
		.amdhsa_user_sgpr_dispatch_id 0
		.amdhsa_user_sgpr_private_segment_size 0
		.amdhsa_wavefront_size32 1
		.amdhsa_uses_dynamic_stack 0
		.amdhsa_enable_private_segment 0
		.amdhsa_system_sgpr_workgroup_id_x 1
		.amdhsa_system_sgpr_workgroup_id_y 0
		.amdhsa_system_sgpr_workgroup_id_z 0
		.amdhsa_system_sgpr_workgroup_info 0
		.amdhsa_system_vgpr_workitem_id 2
		.amdhsa_next_free_vgpr 28
		.amdhsa_next_free_sgpr 24
		.amdhsa_reserve_vcc 1
		.amdhsa_float_round_mode_32 0
		.amdhsa_float_round_mode_16_64 0
		.amdhsa_float_denorm_mode_32 3
		.amdhsa_float_denorm_mode_16_64 3
		.amdhsa_dx10_clamp 1
		.amdhsa_ieee_mode 1
		.amdhsa_fp16_overflow 0
		.amdhsa_workgroup_processor_mode 1
		.amdhsa_memory_ordered 1
		.amdhsa_forward_progress 0
		.amdhsa_shared_vgpr_count 0
		.amdhsa_exception_fp_ieee_invalid_op 0
		.amdhsa_exception_fp_denorm_src 0
		.amdhsa_exception_fp_ieee_div_zero 0
		.amdhsa_exception_fp_ieee_overflow 0
		.amdhsa_exception_fp_ieee_underflow 0
		.amdhsa_exception_fp_ieee_inexact 0
		.amdhsa_exception_int_div_zero 0
	.end_amdhsa_kernel
	.section	.text._Z16sort_keys_kernelI22helper_blocked_stripedN15benchmark_utils11custom_typeIiiEELj256ELj1ELj10EEvPKT0_PS4_,"axG",@progbits,_Z16sort_keys_kernelI22helper_blocked_stripedN15benchmark_utils11custom_typeIiiEELj256ELj1ELj10EEvPKT0_PS4_,comdat
.Lfunc_end360:
	.size	_Z16sort_keys_kernelI22helper_blocked_stripedN15benchmark_utils11custom_typeIiiEELj256ELj1ELj10EEvPKT0_PS4_, .Lfunc_end360-_Z16sort_keys_kernelI22helper_blocked_stripedN15benchmark_utils11custom_typeIiiEELj256ELj1ELj10EEvPKT0_PS4_
                                        ; -- End function
	.section	.AMDGPU.csdata,"",@progbits
; Kernel info:
; codeLenInByte = 8132
; NumSgprs: 26
; NumVgprs: 28
; ScratchSize: 0
; MemoryBound: 0
; FloatMode: 240
; IeeeMode: 1
; LDSByteSize: 8224 bytes/workgroup (compile time only)
; SGPRBlocks: 3
; VGPRBlocks: 3
; NumSGPRsForWavesPerEU: 26
; NumVGPRsForWavesPerEU: 28
; Occupancy: 16
; WaveLimiterHint : 0
; COMPUTE_PGM_RSRC2:SCRATCH_EN: 0
; COMPUTE_PGM_RSRC2:USER_SGPR: 15
; COMPUTE_PGM_RSRC2:TRAP_HANDLER: 0
; COMPUTE_PGM_RSRC2:TGID_X_EN: 1
; COMPUTE_PGM_RSRC2:TGID_Y_EN: 0
; COMPUTE_PGM_RSRC2:TGID_Z_EN: 0
; COMPUTE_PGM_RSRC2:TIDIG_COMP_CNT: 2
	.section	.text._Z17sort_pairs_kernelI22helper_blocked_stripedN15benchmark_utils11custom_typeIiiEELj256ELj1ELj10EEvPKT0_PS4_,"axG",@progbits,_Z17sort_pairs_kernelI22helper_blocked_stripedN15benchmark_utils11custom_typeIiiEELj256ELj1ELj10EEvPKT0_PS4_,comdat
	.protected	_Z17sort_pairs_kernelI22helper_blocked_stripedN15benchmark_utils11custom_typeIiiEELj256ELj1ELj10EEvPKT0_PS4_ ; -- Begin function _Z17sort_pairs_kernelI22helper_blocked_stripedN15benchmark_utils11custom_typeIiiEELj256ELj1ELj10EEvPKT0_PS4_
	.globl	_Z17sort_pairs_kernelI22helper_blocked_stripedN15benchmark_utils11custom_typeIiiEELj256ELj1ELj10EEvPKT0_PS4_
	.p2align	8
	.type	_Z17sort_pairs_kernelI22helper_blocked_stripedN15benchmark_utils11custom_typeIiiEELj256ELj1ELj10EEvPKT0_PS4_,@function
_Z17sort_pairs_kernelI22helper_blocked_stripedN15benchmark_utils11custom_typeIiiEELj256ELj1ELj10EEvPKT0_PS4_: ; @_Z17sort_pairs_kernelI22helper_blocked_stripedN15benchmark_utils11custom_typeIiiEELj256ELj1ELj10EEvPKT0_PS4_
; %bb.0:
	s_clause 0x1
	s_load_b128 s[16:19], s[0:1], 0x0
	s_load_b32 s11, s[0:1], 0x1c
	s_mov_b32 s23, 0
	s_lshl_b32 s22, s15, 8
	v_mbcnt_lo_u32_b32 v5, -1, 0
	s_lshl_b64 s[20:21], s[22:23], 3
	v_bfe_u32 v3, v0, 10, 10
	s_mov_b32 s22, s23
	s_mov_b32 s15, 10
	v_and_b32_e32 v6, 16, v5
	v_add_nc_u32_e32 v7, -1, v5
	v_dual_mov_b32 v11, s22 :: v_dual_and_b32 v4, 15, v5
	v_dual_mov_b32 v12, s23 :: v_dual_and_b32 v13, 7, v5
	s_delay_alu instid0(VALU_DEP_4) | instskip(NEXT) | instid1(VALU_DEP_4)
	v_cmp_eq_u32_e64 s4, 0, v6
	v_cmp_gt_i32_e64 s7, 0, v7
	s_delay_alu instid0(VALU_DEP_4)
	v_cmp_lt_u32_e64 s2, 3, v4
	v_cmp_lt_u32_e64 s3, 7, v4
	v_cmp_eq_u32_e64 s8, 0, v13
	s_waitcnt lgkmcnt(0)
	s_add_u32 s0, s16, s20
	s_addc_u32 s1, s17, s21
	s_mov_b32 s16, s23
	s_mov_b32 s17, s23
	v_dual_mov_b32 v9, s16 :: v_dual_and_b32 v8, 0x3ff, v0
	v_mov_b32_e32 v10, s17
	v_bfe_u32 v0, v0, 20, 10
	s_lshr_b32 s12, s11, 16
	s_delay_alu instid0(VALU_DEP_3)
	v_lshlrev_b32_e32 v1, 3, v8
	v_lshlrev_b32_e32 v19, 5, v8
	v_and_b32_e32 v6, 0xe0, v8
	v_mad_u32_u24 v0, v0, s12, v3
	v_lshrrev_b32_e32 v14, 3, v8
	global_load_b64 v[1:2], v1, s[0:1]
	s_and_b32 s11, s11, 0xffff
	v_cmp_eq_u32_e64 s0, 0, v4
	v_cmp_lt_u32_e64 s1, 1, v4
	v_mad_u64_u32 v[3:4], null, v0, s11, v[8:9]
	v_cndmask_b32_e64 v7, v7, v5, s7
	v_cmp_lt_u32_e64 s9, 1, v13
	v_cmp_lt_u32_e64 s10, 3, v13
	v_lshlrev_b32_e32 v17, 2, v8
	v_or_b32_e32 v13, 31, v6
	v_and_b32_e32 v21, 28, v14
	v_or_b32_e32 v0, v5, v6
	v_mad_i32_i24 v23, 0xffffffe4, v8, v19
	v_cmp_eq_u32_e32 vcc_lo, 0, v5
	v_cmp_gt_u32_e64 s5, 8, v8
	v_cmp_lt_u32_e64 s6, 31, v8
	v_cmp_eq_u32_e64 s7, 0, v8
	v_add_nc_u32_e32 v20, 32, v19
	v_lshlrev_b32_e32 v22, 2, v7
	v_cmp_eq_u32_e64 s11, v13, v8
	v_add_nc_u32_e32 v24, -4, v21
	v_lshlrev_b32_e32 v25, 3, v0
	v_lshrrev_b32_e32 v26, 5, v3
	v_add_nc_u32_e32 v27, v23, v17
	s_waitcnt vmcnt(0)
	v_add_nc_u32_e32 v13, 1, v1
	v_add_nc_u32_e32 v14, 1, v2
	v_xor_b32_e32 v15, 0x80000000, v1
	v_xor_b32_e32 v16, 0x80000000, v2
	s_branch .LBB361_2
.LBB361_1:                              ;   in Loop: Header=BB361_2 Depth=1
	s_or_b32 exec_lo, exec_lo, s12
	s_waitcnt lgkmcnt(0)
	v_add_nc_u32_e32 v3, v28, v3
	s_add_i32 s15, s15, -1
	s_delay_alu instid0(SALU_CYCLE_1) | instskip(SKIP_3) | instid1(VALU_DEP_1)
	s_cmp_lg_u32 s15, 0
	ds_bpermute_b32 v3, v22, v3
	s_waitcnt lgkmcnt(0)
	v_cndmask_b32_e32 v3, v3, v28, vcc_lo
	v_cndmask_b32_e64 v3, v3, 0, s7
	s_delay_alu instid0(VALU_DEP_1) | instskip(NEXT) | instid1(VALU_DEP_1)
	v_add_nc_u32_e32 v4, v3, v4
	v_add_nc_u32_e32 v5, v4, v5
	s_delay_alu instid0(VALU_DEP_1) | instskip(NEXT) | instid1(VALU_DEP_1)
	v_add_nc_u32_e32 v6, v5, v6
	v_add_nc_u32_e32 v28, v6, v7
	;; [unrolled: 3-line block ×3, first 2 shown]
	s_delay_alu instid0(VALU_DEP_1)
	v_add_nc_u32_e32 v1, v0, v2
	ds_store_2addr_b64 v19, v[3:4], v[5:6] offset0:4 offset1:5
	ds_store_2addr_b64 v20, v[28:29], v[0:1] offset0:2 offset1:3
	s_waitcnt lgkmcnt(0)
	s_barrier
	buffer_gl0_inv
	ds_load_b32 v0, v16
	v_lshlrev_b32_e32 v1, 3, v15
	s_waitcnt lgkmcnt(0)
	s_barrier
	buffer_gl0_inv
	v_lshl_add_u32 v0, v0, 3, v1
	ds_store_b64 v0, v[13:14]
	s_waitcnt lgkmcnt(0)
	s_barrier
	buffer_gl0_inv
	ds_load_b64 v[15:16], v27
	s_waitcnt lgkmcnt(0)
	s_barrier
	buffer_gl0_inv
	ds_store_b64 v0, v[17:18]
	s_waitcnt lgkmcnt(0)
	s_barrier
	buffer_gl0_inv
	ds_load_b64 v[13:14], v27
	s_cbranch_scc0 .LBB361_66
.LBB361_2:                              ; =>This Inner Loop Header: Depth=1
	s_delay_alu instid0(VALU_DEP_1)
	v_and_b32_e32 v0, 1, v16
	v_lshlrev_b32_e32 v1, 30, v16
	v_lshlrev_b32_e32 v2, 29, v16
	;; [unrolled: 1-line block ×4, first 2 shown]
	v_add_co_u32 v0, s12, v0, -1
	s_delay_alu instid0(VALU_DEP_1)
	v_cndmask_b32_e64 v3, 0, 1, s12
	v_not_b32_e32 v7, v1
	v_cmp_gt_i32_e64 s13, 0, v1
	v_not_b32_e32 v1, v2
	v_lshlrev_b32_e32 v6, 26, v16
	v_cmp_ne_u32_e64 s12, 0, v3
	v_ashrrev_i32_e32 v7, 31, v7
	v_lshlrev_b32_e32 v3, 25, v16
	v_ashrrev_i32_e32 v1, 31, v1
	v_cmp_gt_i32_e64 s14, 0, v5
	v_xor_b32_e32 v0, s12, v0
	v_cmp_gt_i32_e64 s12, 0, v2
	v_not_b32_e32 v2, v4
	v_xor_b32_e32 v7, s13, v7
	v_cmp_gt_i32_e64 s13, 0, v4
	v_and_b32_e32 v0, exec_lo, v0
	v_xor_b32_e32 v1, s12, v1
	v_ashrrev_i32_e32 v2, 31, v2
	v_not_b32_e32 v4, v5
	v_not_b32_e32 v5, v6
	v_and_b32_e32 v0, v0, v7
	v_cmp_gt_i32_e64 s12, 0, v6
	v_xor_b32_e32 v2, s13, v2
	v_not_b32_e32 v6, v3
	ds_store_2addr_b64 v19, v[11:12], v[9:10] offset0:4 offset1:5
	ds_store_2addr_b64 v20, v[11:12], v[9:10] offset0:2 offset1:3
	v_and_b32_e32 v0, v0, v1
	v_ashrrev_i32_e32 v1, 31, v4
	v_ashrrev_i32_e32 v4, 31, v5
	v_lshlrev_b32_e32 v5, 24, v16
	s_waitcnt lgkmcnt(0)
	v_and_b32_e32 v0, v0, v2
	v_xor_b32_e32 v1, s14, v1
	v_xor_b32_e32 v2, s12, v4
	v_cmp_gt_i32_e64 s12, 0, v3
	v_not_b32_e32 v3, v5
	v_ashrrev_i32_e32 v4, 31, v6
	v_and_b32_e32 v0, v0, v1
	v_cmp_gt_i32_e64 s13, 0, v5
	s_barrier
	v_ashrrev_i32_e32 v1, 31, v3
	v_xor_b32_e32 v3, s12, v4
	v_and_b32_e32 v0, v0, v2
	buffer_gl0_inv
	v_xor_b32_e32 v1, s13, v1
	; wave barrier
	v_and_b32_e32 v0, v0, v3
	s_delay_alu instid0(VALU_DEP_1) | instskip(SKIP_1) | instid1(VALU_DEP_2)
	v_and_b32_e32 v0, v0, v1
	v_and_b32_e32 v1, 0xff, v16
	v_mbcnt_lo_u32_b32 v17, v0, 0
	s_delay_alu instid0(VALU_DEP_2) | instskip(SKIP_1) | instid1(VALU_DEP_3)
	v_lshl_add_u32 v1, v1, 3, v26
	v_cmp_ne_u32_e64 s13, 0, v0
	v_cmp_eq_u32_e64 s12, 0, v17
	s_delay_alu instid0(VALU_DEP_3) | instskip(NEXT) | instid1(VALU_DEP_2)
	v_lshl_add_u32 v18, v1, 2, 32
	s_and_b32 s13, s13, s12
	s_delay_alu instid0(SALU_CYCLE_1)
	s_and_saveexec_b32 s12, s13
	s_cbranch_execz .LBB361_4
; %bb.3:                                ;   in Loop: Header=BB361_2 Depth=1
	v_bcnt_u32_b32 v0, v0, 0
	ds_store_b32 v18, v0
.LBB361_4:                              ;   in Loop: Header=BB361_2 Depth=1
	s_or_b32 exec_lo, exec_lo, s12
	; wave barrier
	s_waitcnt lgkmcnt(0)
	s_barrier
	buffer_gl0_inv
	ds_load_2addr_b64 v[4:7], v19 offset0:4 offset1:5
	ds_load_2addr_b64 v[0:3], v20 offset0:2 offset1:3
	s_waitcnt lgkmcnt(1)
	v_add_nc_u32_e32 v28, v5, v4
	s_delay_alu instid0(VALU_DEP_1) | instskip(SKIP_1) | instid1(VALU_DEP_1)
	v_add3_u32 v28, v28, v6, v7
	s_waitcnt lgkmcnt(0)
	v_add3_u32 v28, v28, v0, v1
	s_delay_alu instid0(VALU_DEP_1) | instskip(NEXT) | instid1(VALU_DEP_1)
	v_add3_u32 v3, v28, v2, v3
	v_mov_b32_dpp v28, v3 row_shr:1 row_mask:0xf bank_mask:0xf
	s_delay_alu instid0(VALU_DEP_1) | instskip(NEXT) | instid1(VALU_DEP_1)
	v_cndmask_b32_e64 v28, v28, 0, s0
	v_add_nc_u32_e32 v3, v28, v3
	s_delay_alu instid0(VALU_DEP_1) | instskip(NEXT) | instid1(VALU_DEP_1)
	v_mov_b32_dpp v28, v3 row_shr:2 row_mask:0xf bank_mask:0xf
	v_cndmask_b32_e64 v28, 0, v28, s1
	s_delay_alu instid0(VALU_DEP_1) | instskip(NEXT) | instid1(VALU_DEP_1)
	v_add_nc_u32_e32 v3, v3, v28
	v_mov_b32_dpp v28, v3 row_shr:4 row_mask:0xf bank_mask:0xf
	s_delay_alu instid0(VALU_DEP_1) | instskip(NEXT) | instid1(VALU_DEP_1)
	v_cndmask_b32_e64 v28, 0, v28, s2
	v_add_nc_u32_e32 v3, v3, v28
	s_delay_alu instid0(VALU_DEP_1) | instskip(NEXT) | instid1(VALU_DEP_1)
	v_mov_b32_dpp v28, v3 row_shr:8 row_mask:0xf bank_mask:0xf
	v_cndmask_b32_e64 v28, 0, v28, s3
	s_delay_alu instid0(VALU_DEP_1) | instskip(SKIP_3) | instid1(VALU_DEP_1)
	v_add_nc_u32_e32 v3, v3, v28
	ds_swizzle_b32 v28, v3 offset:swizzle(BROADCAST,32,15)
	s_waitcnt lgkmcnt(0)
	v_cndmask_b32_e64 v28, v28, 0, s4
	v_add_nc_u32_e32 v3, v3, v28
	s_and_saveexec_b32 s12, s11
	s_cbranch_execz .LBB361_6
; %bb.5:                                ;   in Loop: Header=BB361_2 Depth=1
	ds_store_b32 v21, v3
.LBB361_6:                              ;   in Loop: Header=BB361_2 Depth=1
	s_or_b32 exec_lo, exec_lo, s12
	s_waitcnt lgkmcnt(0)
	s_barrier
	buffer_gl0_inv
	s_and_saveexec_b32 s12, s5
	s_cbranch_execz .LBB361_8
; %bb.7:                                ;   in Loop: Header=BB361_2 Depth=1
	ds_load_b32 v28, v23
	s_waitcnt lgkmcnt(0)
	v_mov_b32_dpp v29, v28 row_shr:1 row_mask:0xf bank_mask:0xf
	s_delay_alu instid0(VALU_DEP_1) | instskip(NEXT) | instid1(VALU_DEP_1)
	v_cndmask_b32_e64 v29, v29, 0, s8
	v_add_nc_u32_e32 v28, v29, v28
	s_delay_alu instid0(VALU_DEP_1) | instskip(NEXT) | instid1(VALU_DEP_1)
	v_mov_b32_dpp v29, v28 row_shr:2 row_mask:0xf bank_mask:0xf
	v_cndmask_b32_e64 v29, 0, v29, s9
	s_delay_alu instid0(VALU_DEP_1) | instskip(NEXT) | instid1(VALU_DEP_1)
	v_add_nc_u32_e32 v28, v28, v29
	v_mov_b32_dpp v29, v28 row_shr:4 row_mask:0xf bank_mask:0xf
	s_delay_alu instid0(VALU_DEP_1) | instskip(NEXT) | instid1(VALU_DEP_1)
	v_cndmask_b32_e64 v29, 0, v29, s10
	v_add_nc_u32_e32 v28, v28, v29
	ds_store_b32 v23, v28
.LBB361_8:                              ;   in Loop: Header=BB361_2 Depth=1
	s_or_b32 exec_lo, exec_lo, s12
	v_mov_b32_e32 v28, 0
	s_waitcnt lgkmcnt(0)
	s_barrier
	buffer_gl0_inv
	s_and_saveexec_b32 s12, s6
	s_cbranch_execz .LBB361_10
; %bb.9:                                ;   in Loop: Header=BB361_2 Depth=1
	ds_load_b32 v28, v24
.LBB361_10:                             ;   in Loop: Header=BB361_2 Depth=1
	s_or_b32 exec_lo, exec_lo, s12
	s_waitcnt lgkmcnt(0)
	v_add_nc_u32_e32 v3, v28, v3
	ds_bpermute_b32 v3, v22, v3
	s_waitcnt lgkmcnt(0)
	v_cndmask_b32_e32 v3, v3, v28, vcc_lo
	s_delay_alu instid0(VALU_DEP_1) | instskip(NEXT) | instid1(VALU_DEP_1)
	v_cndmask_b32_e64 v3, v3, 0, s7
	v_add_nc_u32_e32 v4, v3, v4
	s_delay_alu instid0(VALU_DEP_1) | instskip(NEXT) | instid1(VALU_DEP_1)
	v_add_nc_u32_e32 v5, v4, v5
	v_add_nc_u32_e32 v6, v5, v6
	s_delay_alu instid0(VALU_DEP_1) | instskip(NEXT) | instid1(VALU_DEP_1)
	v_add_nc_u32_e32 v28, v6, v7
	;; [unrolled: 3-line block ×3, first 2 shown]
	v_add_nc_u32_e32 v1, v0, v2
	ds_store_2addr_b64 v19, v[3:4], v[5:6] offset0:4 offset1:5
	ds_store_2addr_b64 v20, v[28:29], v[0:1] offset0:2 offset1:3
	s_waitcnt lgkmcnt(0)
	s_barrier
	buffer_gl0_inv
	ds_load_b32 v0, v18
	v_lshlrev_b32_e32 v1, 3, v17
	s_waitcnt lgkmcnt(0)
	s_barrier
	buffer_gl0_inv
	v_lshl_add_u32 v0, v0, 3, v1
	ds_store_b64 v0, v[15:16]
	s_waitcnt lgkmcnt(0)
	s_barrier
	buffer_gl0_inv
	ds_load_b64 v[17:18], v25
	s_waitcnt lgkmcnt(0)
	s_barrier
	buffer_gl0_inv
	ds_store_b64 v0, v[13:14]
	s_waitcnt lgkmcnt(0)
	s_barrier
	buffer_gl0_inv
	v_bfe_u32 v1, v18, 8, 1
	v_lshrrev_b32_e32 v2, 8, v18
	s_delay_alu instid0(VALU_DEP_2) | instskip(NEXT) | instid1(VALU_DEP_1)
	v_add_co_u32 v1, s12, v1, -1
	v_cndmask_b32_e64 v3, 0, 1, s12
	s_delay_alu instid0(VALU_DEP_3)
	v_lshlrev_b32_e32 v4, 30, v2
	v_lshlrev_b32_e32 v5, 29, v2
	;; [unrolled: 1-line block ×4, first 2 shown]
	v_cmp_ne_u32_e64 s12, 0, v3
	v_not_b32_e32 v3, v4
	v_cmp_gt_i32_e64 s13, 0, v4
	v_not_b32_e32 v4, v5
	v_lshlrev_b32_e32 v15, 26, v2
	v_xor_b32_e32 v1, s12, v1
	v_ashrrev_i32_e32 v3, 31, v3
	v_cmp_gt_i32_e64 s12, 0, v5
	v_not_b32_e32 v5, v6
	v_ashrrev_i32_e32 v4, 31, v4
	v_and_b32_e32 v1, exec_lo, v1
	v_xor_b32_e32 v3, s13, v3
	v_cmp_gt_i32_e64 s13, 0, v6
	v_not_b32_e32 v6, v7
	v_ashrrev_i32_e32 v5, 31, v5
	v_xor_b32_e32 v4, s12, v4
	v_and_b32_e32 v1, v1, v3
	v_lshlrev_b32_e32 v16, 25, v2
	v_cmp_gt_i32_e64 s12, 0, v7
	v_not_b32_e32 v3, v15
	v_ashrrev_i32_e32 v6, 31, v6
	v_xor_b32_e32 v5, s13, v5
	v_and_b32_e32 v1, v1, v4
	v_lshlrev_b32_e32 v2, 24, v2
	v_cmp_gt_i32_e64 s13, 0, v15
	v_not_b32_e32 v4, v16
	v_ashrrev_i32_e32 v3, 31, v3
	v_xor_b32_e32 v6, s12, v6
	v_and_b32_e32 v1, v1, v5
	v_cmp_gt_i32_e64 s12, 0, v16
	v_not_b32_e32 v5, v2
	v_ashrrev_i32_e32 v4, 31, v4
	v_xor_b32_e32 v3, s13, v3
	v_and_b32_e32 v1, v1, v6
	v_cmp_gt_i32_e64 s13, 0, v2
	v_ashrrev_i32_e32 v2, 31, v5
	v_xor_b32_e32 v4, s12, v4
	ds_load_b64 v[15:16], v25
	v_and_b32_e32 v1, v1, v3
	s_waitcnt lgkmcnt(0)
	v_xor_b32_e32 v0, s13, v2
	v_lshrrev_b32_e32 v2, 5, v18
	s_barrier
	v_and_b32_e32 v1, v1, v4
	buffer_gl0_inv
	ds_store_2addr_b64 v19, v[11:12], v[9:10] offset0:4 offset1:5
	ds_store_2addr_b64 v20, v[11:12], v[9:10] offset0:2 offset1:3
	s_waitcnt lgkmcnt(0)
	s_barrier
	v_and_b32_e32 v0, v1, v0
	v_and_b32_e32 v1, 0x7f8, v2
	buffer_gl0_inv
	; wave barrier
	v_mbcnt_lo_u32_b32 v13, v0, 0
	v_add_nc_u32_e32 v1, v1, v26
	v_cmp_ne_u32_e64 s13, 0, v0
	s_delay_alu instid0(VALU_DEP_3) | instskip(NEXT) | instid1(VALU_DEP_3)
	v_cmp_eq_u32_e64 s12, 0, v13
	v_lshl_add_u32 v14, v1, 2, 32
	s_delay_alu instid0(VALU_DEP_2) | instskip(NEXT) | instid1(SALU_CYCLE_1)
	s_and_b32 s13, s13, s12
	s_and_saveexec_b32 s12, s13
	s_cbranch_execz .LBB361_12
; %bb.11:                               ;   in Loop: Header=BB361_2 Depth=1
	v_bcnt_u32_b32 v0, v0, 0
	ds_store_b32 v14, v0
.LBB361_12:                             ;   in Loop: Header=BB361_2 Depth=1
	s_or_b32 exec_lo, exec_lo, s12
	; wave barrier
	s_waitcnt lgkmcnt(0)
	s_barrier
	buffer_gl0_inv
	ds_load_2addr_b64 v[4:7], v19 offset0:4 offset1:5
	ds_load_2addr_b64 v[0:3], v20 offset0:2 offset1:3
	s_waitcnt lgkmcnt(1)
	v_add_nc_u32_e32 v28, v5, v4
	s_delay_alu instid0(VALU_DEP_1) | instskip(SKIP_1) | instid1(VALU_DEP_1)
	v_add3_u32 v28, v28, v6, v7
	s_waitcnt lgkmcnt(0)
	v_add3_u32 v28, v28, v0, v1
	s_delay_alu instid0(VALU_DEP_1) | instskip(NEXT) | instid1(VALU_DEP_1)
	v_add3_u32 v3, v28, v2, v3
	v_mov_b32_dpp v28, v3 row_shr:1 row_mask:0xf bank_mask:0xf
	s_delay_alu instid0(VALU_DEP_1) | instskip(NEXT) | instid1(VALU_DEP_1)
	v_cndmask_b32_e64 v28, v28, 0, s0
	v_add_nc_u32_e32 v3, v28, v3
	s_delay_alu instid0(VALU_DEP_1) | instskip(NEXT) | instid1(VALU_DEP_1)
	v_mov_b32_dpp v28, v3 row_shr:2 row_mask:0xf bank_mask:0xf
	v_cndmask_b32_e64 v28, 0, v28, s1
	s_delay_alu instid0(VALU_DEP_1) | instskip(NEXT) | instid1(VALU_DEP_1)
	v_add_nc_u32_e32 v3, v3, v28
	v_mov_b32_dpp v28, v3 row_shr:4 row_mask:0xf bank_mask:0xf
	s_delay_alu instid0(VALU_DEP_1) | instskip(NEXT) | instid1(VALU_DEP_1)
	v_cndmask_b32_e64 v28, 0, v28, s2
	v_add_nc_u32_e32 v3, v3, v28
	s_delay_alu instid0(VALU_DEP_1) | instskip(NEXT) | instid1(VALU_DEP_1)
	v_mov_b32_dpp v28, v3 row_shr:8 row_mask:0xf bank_mask:0xf
	v_cndmask_b32_e64 v28, 0, v28, s3
	s_delay_alu instid0(VALU_DEP_1) | instskip(SKIP_3) | instid1(VALU_DEP_1)
	v_add_nc_u32_e32 v3, v3, v28
	ds_swizzle_b32 v28, v3 offset:swizzle(BROADCAST,32,15)
	s_waitcnt lgkmcnt(0)
	v_cndmask_b32_e64 v28, v28, 0, s4
	v_add_nc_u32_e32 v3, v3, v28
	s_and_saveexec_b32 s12, s11
	s_cbranch_execz .LBB361_14
; %bb.13:                               ;   in Loop: Header=BB361_2 Depth=1
	ds_store_b32 v21, v3
.LBB361_14:                             ;   in Loop: Header=BB361_2 Depth=1
	s_or_b32 exec_lo, exec_lo, s12
	s_waitcnt lgkmcnt(0)
	s_barrier
	buffer_gl0_inv
	s_and_saveexec_b32 s12, s5
	s_cbranch_execz .LBB361_16
; %bb.15:                               ;   in Loop: Header=BB361_2 Depth=1
	ds_load_b32 v28, v23
	s_waitcnt lgkmcnt(0)
	v_mov_b32_dpp v29, v28 row_shr:1 row_mask:0xf bank_mask:0xf
	s_delay_alu instid0(VALU_DEP_1) | instskip(NEXT) | instid1(VALU_DEP_1)
	v_cndmask_b32_e64 v29, v29, 0, s8
	v_add_nc_u32_e32 v28, v29, v28
	s_delay_alu instid0(VALU_DEP_1) | instskip(NEXT) | instid1(VALU_DEP_1)
	v_mov_b32_dpp v29, v28 row_shr:2 row_mask:0xf bank_mask:0xf
	v_cndmask_b32_e64 v29, 0, v29, s9
	s_delay_alu instid0(VALU_DEP_1) | instskip(NEXT) | instid1(VALU_DEP_1)
	v_add_nc_u32_e32 v28, v28, v29
	v_mov_b32_dpp v29, v28 row_shr:4 row_mask:0xf bank_mask:0xf
	s_delay_alu instid0(VALU_DEP_1) | instskip(NEXT) | instid1(VALU_DEP_1)
	v_cndmask_b32_e64 v29, 0, v29, s10
	v_add_nc_u32_e32 v28, v28, v29
	ds_store_b32 v23, v28
.LBB361_16:                             ;   in Loop: Header=BB361_2 Depth=1
	s_or_b32 exec_lo, exec_lo, s12
	v_mov_b32_e32 v28, 0
	s_waitcnt lgkmcnt(0)
	s_barrier
	buffer_gl0_inv
	s_and_saveexec_b32 s12, s6
	s_cbranch_execz .LBB361_18
; %bb.17:                               ;   in Loop: Header=BB361_2 Depth=1
	ds_load_b32 v28, v24
.LBB361_18:                             ;   in Loop: Header=BB361_2 Depth=1
	s_or_b32 exec_lo, exec_lo, s12
	s_waitcnt lgkmcnt(0)
	v_add_nc_u32_e32 v3, v28, v3
	ds_bpermute_b32 v3, v22, v3
	s_waitcnt lgkmcnt(0)
	v_cndmask_b32_e32 v3, v3, v28, vcc_lo
	s_delay_alu instid0(VALU_DEP_1) | instskip(NEXT) | instid1(VALU_DEP_1)
	v_cndmask_b32_e64 v3, v3, 0, s7
	v_add_nc_u32_e32 v4, v3, v4
	s_delay_alu instid0(VALU_DEP_1) | instskip(NEXT) | instid1(VALU_DEP_1)
	v_add_nc_u32_e32 v5, v4, v5
	v_add_nc_u32_e32 v6, v5, v6
	s_delay_alu instid0(VALU_DEP_1) | instskip(NEXT) | instid1(VALU_DEP_1)
	v_add_nc_u32_e32 v28, v6, v7
	;; [unrolled: 3-line block ×3, first 2 shown]
	v_add_nc_u32_e32 v1, v0, v2
	ds_store_2addr_b64 v19, v[3:4], v[5:6] offset0:4 offset1:5
	ds_store_2addr_b64 v20, v[28:29], v[0:1] offset0:2 offset1:3
	s_waitcnt lgkmcnt(0)
	s_barrier
	buffer_gl0_inv
	ds_load_b32 v0, v14
	v_lshlrev_b32_e32 v1, 3, v13
	s_waitcnt lgkmcnt(0)
	s_barrier
	buffer_gl0_inv
	v_lshl_add_u32 v0, v0, 3, v1
	v_dual_mov_b32 v1, s22 :: v_dual_mov_b32 v2, s23
	ds_store_b64 v0, v[17:18]
	s_waitcnt lgkmcnt(0)
	s_barrier
	buffer_gl0_inv
	ds_load_b64 v[13:14], v25
	s_waitcnt lgkmcnt(0)
	s_barrier
	buffer_gl0_inv
	ds_store_b64 v0, v[15:16]
	s_waitcnt lgkmcnt(0)
	s_barrier
	buffer_gl0_inv
	ds_load_b64 v[15:16], v25
	s_waitcnt lgkmcnt(0)
	s_barrier
	buffer_gl0_inv
	v_bfe_u32 v3, v14, 16, 1
	v_lshrrev_b32_e32 v4, 16, v14
	s_delay_alu instid0(VALU_DEP_2) | instskip(NEXT) | instid1(VALU_DEP_1)
	v_add_co_u32 v3, s12, v3, -1
	v_cndmask_b32_e64 v5, 0, 1, s12
	s_delay_alu instid0(VALU_DEP_3)
	v_lshlrev_b32_e32 v6, 30, v4
	v_lshlrev_b32_e32 v7, 29, v4
	;; [unrolled: 1-line block ×4, first 2 shown]
	v_cmp_ne_u32_e64 s12, 0, v5
	v_not_b32_e32 v5, v6
	v_cmp_gt_i32_e64 s13, 0, v6
	v_not_b32_e32 v6, v7
	v_lshlrev_b32_e32 v28, 26, v4
	v_xor_b32_e32 v3, s12, v3
	v_ashrrev_i32_e32 v5, 31, v5
	v_cmp_gt_i32_e64 s12, 0, v7
	v_not_b32_e32 v7, v17
	v_ashrrev_i32_e32 v6, 31, v6
	v_and_b32_e32 v3, exec_lo, v3
	v_xor_b32_e32 v5, s13, v5
	v_cmp_gt_i32_e64 s13, 0, v17
	v_not_b32_e32 v17, v18
	v_ashrrev_i32_e32 v7, 31, v7
	v_xor_b32_e32 v6, s12, v6
	v_and_b32_e32 v3, v3, v5
	v_lshlrev_b32_e32 v29, 25, v4
	v_cmp_gt_i32_e64 s12, 0, v18
	v_not_b32_e32 v5, v28
	v_ashrrev_i32_e32 v17, 31, v17
	v_xor_b32_e32 v7, s13, v7
	v_and_b32_e32 v3, v3, v6
	v_lshlrev_b32_e32 v4, 24, v4
	v_cmp_gt_i32_e64 s13, 0, v28
	v_not_b32_e32 v6, v29
	v_ashrrev_i32_e32 v5, 31, v5
	v_xor_b32_e32 v17, s12, v17
	v_and_b32_e32 v3, v3, v7
	v_cmp_gt_i32_e64 s12, 0, v29
	v_not_b32_e32 v7, v4
	v_ashrrev_i32_e32 v6, 31, v6
	v_xor_b32_e32 v5, s13, v5
	v_and_b32_e32 v3, v3, v17
	v_cmp_gt_i32_e64 s13, 0, v4
	v_ashrrev_i32_e32 v4, 31, v7
	v_xor_b32_e32 v6, s12, v6
	s_delay_alu instid0(VALU_DEP_4) | instskip(NEXT) | instid1(VALU_DEP_3)
	v_and_b32_e32 v3, v3, v5
	v_xor_b32_e32 v0, s13, v4
	s_delay_alu instid0(VALU_DEP_2)
	v_and_b32_e32 v5, v3, v6
	v_mov_b32_e32 v3, s16
	v_lshrrev_b32_e32 v6, 13, v14
	v_mov_b32_e32 v4, s17
	ds_store_2addr_b64 v19, v[1:2], v[3:4] offset0:4 offset1:5
	ds_store_2addr_b64 v20, v[1:2], v[3:4] offset0:2 offset1:3
	v_and_b32_e32 v0, v5, v0
	v_and_b32_e32 v5, 0x7f8, v6
	s_waitcnt lgkmcnt(0)
	s_barrier
	buffer_gl0_inv
	v_mbcnt_lo_u32_b32 v17, v0, 0
	v_add_nc_u32_e32 v1, v5, v26
	v_cmp_ne_u32_e64 s13, 0, v0
	; wave barrier
	s_delay_alu instid0(VALU_DEP_3) | instskip(NEXT) | instid1(VALU_DEP_3)
	v_cmp_eq_u32_e64 s12, 0, v17
	v_lshl_add_u32 v18, v1, 2, 32
	s_delay_alu instid0(VALU_DEP_2) | instskip(NEXT) | instid1(SALU_CYCLE_1)
	s_and_b32 s13, s13, s12
	s_and_saveexec_b32 s12, s13
	s_cbranch_execz .LBB361_20
; %bb.19:                               ;   in Loop: Header=BB361_2 Depth=1
	v_bcnt_u32_b32 v0, v0, 0
	ds_store_b32 v18, v0
.LBB361_20:                             ;   in Loop: Header=BB361_2 Depth=1
	s_or_b32 exec_lo, exec_lo, s12
	; wave barrier
	s_waitcnt lgkmcnt(0)
	s_barrier
	buffer_gl0_inv
	ds_load_2addr_b64 v[4:7], v19 offset0:4 offset1:5
	ds_load_2addr_b64 v[0:3], v20 offset0:2 offset1:3
	s_waitcnt lgkmcnt(1)
	v_add_nc_u32_e32 v28, v5, v4
	s_delay_alu instid0(VALU_DEP_1) | instskip(SKIP_1) | instid1(VALU_DEP_1)
	v_add3_u32 v28, v28, v6, v7
	s_waitcnt lgkmcnt(0)
	v_add3_u32 v28, v28, v0, v1
	s_delay_alu instid0(VALU_DEP_1) | instskip(NEXT) | instid1(VALU_DEP_1)
	v_add3_u32 v3, v28, v2, v3
	v_mov_b32_dpp v28, v3 row_shr:1 row_mask:0xf bank_mask:0xf
	s_delay_alu instid0(VALU_DEP_1) | instskip(NEXT) | instid1(VALU_DEP_1)
	v_cndmask_b32_e64 v28, v28, 0, s0
	v_add_nc_u32_e32 v3, v28, v3
	s_delay_alu instid0(VALU_DEP_1) | instskip(NEXT) | instid1(VALU_DEP_1)
	v_mov_b32_dpp v28, v3 row_shr:2 row_mask:0xf bank_mask:0xf
	v_cndmask_b32_e64 v28, 0, v28, s1
	s_delay_alu instid0(VALU_DEP_1) | instskip(NEXT) | instid1(VALU_DEP_1)
	v_add_nc_u32_e32 v3, v3, v28
	v_mov_b32_dpp v28, v3 row_shr:4 row_mask:0xf bank_mask:0xf
	s_delay_alu instid0(VALU_DEP_1) | instskip(NEXT) | instid1(VALU_DEP_1)
	v_cndmask_b32_e64 v28, 0, v28, s2
	v_add_nc_u32_e32 v3, v3, v28
	s_delay_alu instid0(VALU_DEP_1) | instskip(NEXT) | instid1(VALU_DEP_1)
	v_mov_b32_dpp v28, v3 row_shr:8 row_mask:0xf bank_mask:0xf
	v_cndmask_b32_e64 v28, 0, v28, s3
	s_delay_alu instid0(VALU_DEP_1) | instskip(SKIP_3) | instid1(VALU_DEP_1)
	v_add_nc_u32_e32 v3, v3, v28
	ds_swizzle_b32 v28, v3 offset:swizzle(BROADCAST,32,15)
	s_waitcnt lgkmcnt(0)
	v_cndmask_b32_e64 v28, v28, 0, s4
	v_add_nc_u32_e32 v3, v3, v28
	s_and_saveexec_b32 s12, s11
	s_cbranch_execz .LBB361_22
; %bb.21:                               ;   in Loop: Header=BB361_2 Depth=1
	ds_store_b32 v21, v3
.LBB361_22:                             ;   in Loop: Header=BB361_2 Depth=1
	s_or_b32 exec_lo, exec_lo, s12
	s_waitcnt lgkmcnt(0)
	s_barrier
	buffer_gl0_inv
	s_and_saveexec_b32 s12, s5
	s_cbranch_execz .LBB361_24
; %bb.23:                               ;   in Loop: Header=BB361_2 Depth=1
	ds_load_b32 v28, v23
	s_waitcnt lgkmcnt(0)
	v_mov_b32_dpp v29, v28 row_shr:1 row_mask:0xf bank_mask:0xf
	s_delay_alu instid0(VALU_DEP_1) | instskip(NEXT) | instid1(VALU_DEP_1)
	v_cndmask_b32_e64 v29, v29, 0, s8
	v_add_nc_u32_e32 v28, v29, v28
	s_delay_alu instid0(VALU_DEP_1) | instskip(NEXT) | instid1(VALU_DEP_1)
	v_mov_b32_dpp v29, v28 row_shr:2 row_mask:0xf bank_mask:0xf
	v_cndmask_b32_e64 v29, 0, v29, s9
	s_delay_alu instid0(VALU_DEP_1) | instskip(NEXT) | instid1(VALU_DEP_1)
	v_add_nc_u32_e32 v28, v28, v29
	v_mov_b32_dpp v29, v28 row_shr:4 row_mask:0xf bank_mask:0xf
	s_delay_alu instid0(VALU_DEP_1) | instskip(NEXT) | instid1(VALU_DEP_1)
	v_cndmask_b32_e64 v29, 0, v29, s10
	v_add_nc_u32_e32 v28, v28, v29
	ds_store_b32 v23, v28
.LBB361_24:                             ;   in Loop: Header=BB361_2 Depth=1
	s_or_b32 exec_lo, exec_lo, s12
	v_mov_b32_e32 v28, 0
	s_waitcnt lgkmcnt(0)
	s_barrier
	buffer_gl0_inv
	s_and_saveexec_b32 s12, s6
	s_cbranch_execz .LBB361_26
; %bb.25:                               ;   in Loop: Header=BB361_2 Depth=1
	ds_load_b32 v28, v24
.LBB361_26:                             ;   in Loop: Header=BB361_2 Depth=1
	s_or_b32 exec_lo, exec_lo, s12
	s_waitcnt lgkmcnt(0)
	v_add_nc_u32_e32 v3, v28, v3
	ds_bpermute_b32 v3, v22, v3
	s_waitcnt lgkmcnt(0)
	v_cndmask_b32_e32 v3, v3, v28, vcc_lo
	s_delay_alu instid0(VALU_DEP_1) | instskip(NEXT) | instid1(VALU_DEP_1)
	v_cndmask_b32_e64 v3, v3, 0, s7
	v_add_nc_u32_e32 v4, v3, v4
	s_delay_alu instid0(VALU_DEP_1) | instskip(NEXT) | instid1(VALU_DEP_1)
	v_add_nc_u32_e32 v5, v4, v5
	v_add_nc_u32_e32 v6, v5, v6
	s_delay_alu instid0(VALU_DEP_1) | instskip(NEXT) | instid1(VALU_DEP_1)
	v_add_nc_u32_e32 v28, v6, v7
	;; [unrolled: 3-line block ×3, first 2 shown]
	v_add_nc_u32_e32 v1, v0, v2
	ds_store_2addr_b64 v19, v[3:4], v[5:6] offset0:4 offset1:5
	ds_store_2addr_b64 v20, v[28:29], v[0:1] offset0:2 offset1:3
	s_waitcnt lgkmcnt(0)
	s_barrier
	buffer_gl0_inv
	ds_load_b32 v0, v18
	v_lshlrev_b32_e32 v1, 3, v17
	s_waitcnt lgkmcnt(0)
	s_barrier
	buffer_gl0_inv
	v_lshl_add_u32 v0, v0, 3, v1
	ds_store_b64 v0, v[13:14]
	s_waitcnt lgkmcnt(0)
	s_barrier
	buffer_gl0_inv
	ds_load_b64 v[13:14], v25
	s_waitcnt lgkmcnt(0)
	s_barrier
	buffer_gl0_inv
	ds_store_b64 v0, v[15:16]
	s_waitcnt lgkmcnt(0)
	s_barrier
	buffer_gl0_inv
	ds_load_b64 v[15:16], v25
	s_waitcnt lgkmcnt(0)
	s_barrier
	buffer_gl0_inv
	v_bfe_u32 v1, v14, 24, 1
	v_lshrrev_b32_e32 v5, 24, v14
	s_delay_alu instid0(VALU_DEP_2) | instskip(NEXT) | instid1(VALU_DEP_1)
	v_add_co_u32 v1, s12, v1, -1
	v_cndmask_b32_e64 v2, 0, 1, s12
	s_delay_alu instid0(VALU_DEP_3)
	v_lshlrev_b32_e32 v3, 30, v5
	v_lshlrev_b32_e32 v4, 29, v5
	;; [unrolled: 1-line block ×4, first 2 shown]
	v_cmp_ne_u32_e64 s12, 0, v2
	v_not_b32_e32 v2, v3
	v_cmp_gt_i32_e64 s13, 0, v3
	v_not_b32_e32 v3, v4
	v_lshlrev_b32_e32 v17, 26, v5
	v_xor_b32_e32 v1, s12, v1
	v_ashrrev_i32_e32 v2, 31, v2
	v_cmp_gt_i32_e64 s12, 0, v4
	v_not_b32_e32 v4, v6
	v_ashrrev_i32_e32 v3, 31, v3
	v_and_b32_e32 v1, exec_lo, v1
	v_xor_b32_e32 v2, s13, v2
	v_cmp_gt_i32_e64 s13, 0, v6
	v_not_b32_e32 v6, v7
	v_ashrrev_i32_e32 v4, 31, v4
	v_xor_b32_e32 v3, s12, v3
	v_and_b32_e32 v1, v1, v2
	v_lshlrev_b32_e32 v18, 25, v5
	v_cmp_gt_i32_e64 s12, 0, v7
	v_not_b32_e32 v2, v17
	v_ashrrev_i32_e32 v6, 31, v6
	v_xor_b32_e32 v4, s13, v4
	v_and_b32_e32 v1, v1, v3
	v_cmp_gt_i32_e64 s13, 0, v17
	v_not_b32_e32 v3, v18
	v_ashrrev_i32_e32 v2, 31, v2
	v_xor_b32_e32 v6, s12, v6
	v_and_b32_e32 v1, v1, v4
	v_not_b32_e32 v4, v14
	v_cmp_gt_i32_e64 s12, 0, v18
	v_ashrrev_i32_e32 v3, 31, v3
	v_xor_b32_e32 v2, s13, v2
	v_and_b32_e32 v1, v1, v6
	v_cmp_gt_i32_e64 s13, 0, v14
	v_ashrrev_i32_e32 v4, 31, v4
	v_xor_b32_e32 v3, s12, v3
	s_delay_alu instid0(VALU_DEP_4) | instskip(NEXT) | instid1(VALU_DEP_3)
	v_and_b32_e32 v1, v1, v2
	v_xor_b32_e32 v0, s13, v4
	s_delay_alu instid0(VALU_DEP_2) | instskip(SKIP_1) | instid1(VALU_DEP_2)
	v_and_b32_e32 v3, v1, v3
	v_dual_mov_b32 v1, s22 :: v_dual_mov_b32 v2, s23
	v_dual_mov_b32 v3, s16 :: v_dual_and_b32 v0, v3, v0
	v_mov_b32_e32 v4, s17
	ds_store_2addr_b64 v19, v[1:2], v[3:4] offset0:4 offset1:5
	ds_store_2addr_b64 v20, v[1:2], v[3:4] offset0:2 offset1:3
	v_mbcnt_lo_u32_b32 v17, v0, 0
	v_lshl_add_u32 v1, v5, 3, v26
	v_cmp_ne_u32_e64 s13, 0, v0
	s_waitcnt lgkmcnt(0)
	s_barrier
	v_cmp_eq_u32_e64 s12, 0, v17
	v_lshl_add_u32 v18, v1, 2, 32
	buffer_gl0_inv
	; wave barrier
	s_and_b32 s13, s13, s12
	s_delay_alu instid0(SALU_CYCLE_1)
	s_and_saveexec_b32 s12, s13
	s_cbranch_execz .LBB361_28
; %bb.27:                               ;   in Loop: Header=BB361_2 Depth=1
	v_bcnt_u32_b32 v0, v0, 0
	ds_store_b32 v18, v0
.LBB361_28:                             ;   in Loop: Header=BB361_2 Depth=1
	s_or_b32 exec_lo, exec_lo, s12
	; wave barrier
	s_waitcnt lgkmcnt(0)
	s_barrier
	buffer_gl0_inv
	ds_load_2addr_b64 v[4:7], v19 offset0:4 offset1:5
	ds_load_2addr_b64 v[0:3], v20 offset0:2 offset1:3
	s_waitcnt lgkmcnt(1)
	v_add_nc_u32_e32 v28, v5, v4
	s_delay_alu instid0(VALU_DEP_1) | instskip(SKIP_1) | instid1(VALU_DEP_1)
	v_add3_u32 v28, v28, v6, v7
	s_waitcnt lgkmcnt(0)
	v_add3_u32 v28, v28, v0, v1
	s_delay_alu instid0(VALU_DEP_1) | instskip(NEXT) | instid1(VALU_DEP_1)
	v_add3_u32 v3, v28, v2, v3
	v_mov_b32_dpp v28, v3 row_shr:1 row_mask:0xf bank_mask:0xf
	s_delay_alu instid0(VALU_DEP_1) | instskip(NEXT) | instid1(VALU_DEP_1)
	v_cndmask_b32_e64 v28, v28, 0, s0
	v_add_nc_u32_e32 v3, v28, v3
	s_delay_alu instid0(VALU_DEP_1) | instskip(NEXT) | instid1(VALU_DEP_1)
	v_mov_b32_dpp v28, v3 row_shr:2 row_mask:0xf bank_mask:0xf
	v_cndmask_b32_e64 v28, 0, v28, s1
	s_delay_alu instid0(VALU_DEP_1) | instskip(NEXT) | instid1(VALU_DEP_1)
	v_add_nc_u32_e32 v3, v3, v28
	v_mov_b32_dpp v28, v3 row_shr:4 row_mask:0xf bank_mask:0xf
	s_delay_alu instid0(VALU_DEP_1) | instskip(NEXT) | instid1(VALU_DEP_1)
	v_cndmask_b32_e64 v28, 0, v28, s2
	v_add_nc_u32_e32 v3, v3, v28
	s_delay_alu instid0(VALU_DEP_1) | instskip(NEXT) | instid1(VALU_DEP_1)
	v_mov_b32_dpp v28, v3 row_shr:8 row_mask:0xf bank_mask:0xf
	v_cndmask_b32_e64 v28, 0, v28, s3
	s_delay_alu instid0(VALU_DEP_1) | instskip(SKIP_3) | instid1(VALU_DEP_1)
	v_add_nc_u32_e32 v3, v3, v28
	ds_swizzle_b32 v28, v3 offset:swizzle(BROADCAST,32,15)
	s_waitcnt lgkmcnt(0)
	v_cndmask_b32_e64 v28, v28, 0, s4
	v_add_nc_u32_e32 v3, v3, v28
	s_and_saveexec_b32 s12, s11
	s_cbranch_execz .LBB361_30
; %bb.29:                               ;   in Loop: Header=BB361_2 Depth=1
	ds_store_b32 v21, v3
.LBB361_30:                             ;   in Loop: Header=BB361_2 Depth=1
	s_or_b32 exec_lo, exec_lo, s12
	s_waitcnt lgkmcnt(0)
	s_barrier
	buffer_gl0_inv
	s_and_saveexec_b32 s12, s5
	s_cbranch_execz .LBB361_32
; %bb.31:                               ;   in Loop: Header=BB361_2 Depth=1
	ds_load_b32 v28, v23
	s_waitcnt lgkmcnt(0)
	v_mov_b32_dpp v29, v28 row_shr:1 row_mask:0xf bank_mask:0xf
	s_delay_alu instid0(VALU_DEP_1) | instskip(NEXT) | instid1(VALU_DEP_1)
	v_cndmask_b32_e64 v29, v29, 0, s8
	v_add_nc_u32_e32 v28, v29, v28
	s_delay_alu instid0(VALU_DEP_1) | instskip(NEXT) | instid1(VALU_DEP_1)
	v_mov_b32_dpp v29, v28 row_shr:2 row_mask:0xf bank_mask:0xf
	v_cndmask_b32_e64 v29, 0, v29, s9
	s_delay_alu instid0(VALU_DEP_1) | instskip(NEXT) | instid1(VALU_DEP_1)
	v_add_nc_u32_e32 v28, v28, v29
	v_mov_b32_dpp v29, v28 row_shr:4 row_mask:0xf bank_mask:0xf
	s_delay_alu instid0(VALU_DEP_1) | instskip(NEXT) | instid1(VALU_DEP_1)
	v_cndmask_b32_e64 v29, 0, v29, s10
	v_add_nc_u32_e32 v28, v28, v29
	ds_store_b32 v23, v28
.LBB361_32:                             ;   in Loop: Header=BB361_2 Depth=1
	s_or_b32 exec_lo, exec_lo, s12
	v_mov_b32_e32 v28, 0
	s_waitcnt lgkmcnt(0)
	s_barrier
	buffer_gl0_inv
	s_and_saveexec_b32 s12, s6
	s_cbranch_execz .LBB361_34
; %bb.33:                               ;   in Loop: Header=BB361_2 Depth=1
	ds_load_b32 v28, v24
.LBB361_34:                             ;   in Loop: Header=BB361_2 Depth=1
	s_or_b32 exec_lo, exec_lo, s12
	s_waitcnt lgkmcnt(0)
	v_add_nc_u32_e32 v3, v28, v3
	ds_bpermute_b32 v3, v22, v3
	s_waitcnt lgkmcnt(0)
	v_cndmask_b32_e32 v3, v3, v28, vcc_lo
	s_delay_alu instid0(VALU_DEP_1) | instskip(NEXT) | instid1(VALU_DEP_1)
	v_cndmask_b32_e64 v3, v3, 0, s7
	v_add_nc_u32_e32 v4, v3, v4
	s_delay_alu instid0(VALU_DEP_1) | instskip(NEXT) | instid1(VALU_DEP_1)
	v_add_nc_u32_e32 v5, v4, v5
	v_add_nc_u32_e32 v6, v5, v6
	s_delay_alu instid0(VALU_DEP_1) | instskip(NEXT) | instid1(VALU_DEP_1)
	v_add_nc_u32_e32 v28, v6, v7
	;; [unrolled: 3-line block ×3, first 2 shown]
	v_add_nc_u32_e32 v1, v0, v2
	ds_store_2addr_b64 v19, v[3:4], v[5:6] offset0:4 offset1:5
	ds_store_2addr_b64 v20, v[28:29], v[0:1] offset0:2 offset1:3
	s_waitcnt lgkmcnt(0)
	s_barrier
	buffer_gl0_inv
	ds_load_b32 v0, v18
	v_lshlrev_b32_e32 v1, 3, v17
	s_waitcnt lgkmcnt(0)
	s_barrier
	buffer_gl0_inv
	v_lshl_add_u32 v0, v0, 3, v1
	v_dual_mov_b32 v1, s22 :: v_dual_mov_b32 v2, s23
	ds_store_b64 v0, v[13:14]
	s_waitcnt lgkmcnt(0)
	s_barrier
	buffer_gl0_inv
	ds_load_b64 v[13:14], v25
	s_waitcnt lgkmcnt(0)
	s_barrier
	buffer_gl0_inv
	ds_store_b64 v0, v[15:16]
	s_waitcnt lgkmcnt(0)
	s_barrier
	buffer_gl0_inv
	ds_load_b64 v[15:16], v25
	s_waitcnt lgkmcnt(0)
	s_barrier
	buffer_gl0_inv
	v_and_b32_e32 v3, 1, v13
	v_lshlrev_b32_e32 v4, 30, v13
	v_lshlrev_b32_e32 v5, 29, v13
	v_lshlrev_b32_e32 v6, 28, v13
	v_lshlrev_b32_e32 v17, 27, v13
	v_add_co_u32 v3, s12, v3, -1
	s_delay_alu instid0(VALU_DEP_1)
	v_cndmask_b32_e64 v7, 0, 1, s12
	v_not_b32_e32 v29, v4
	v_cmp_gt_i32_e64 s13, 0, v4
	v_not_b32_e32 v4, v5
	v_lshlrev_b32_e32 v18, 26, v13
	v_cmp_ne_u32_e64 s12, 0, v7
	v_ashrrev_i32_e32 v29, 31, v29
	v_lshlrev_b32_e32 v28, 25, v13
	v_ashrrev_i32_e32 v4, 31, v4
	v_lshlrev_b32_e32 v7, 24, v13
	v_xor_b32_e32 v3, s12, v3
	v_cmp_gt_i32_e64 s12, 0, v5
	v_not_b32_e32 v5, v6
	v_xor_b32_e32 v29, s13, v29
	v_cmp_gt_i32_e64 s13, 0, v6
	v_and_b32_e32 v3, exec_lo, v3
	v_not_b32_e32 v6, v17
	v_ashrrev_i32_e32 v5, 31, v5
	v_xor_b32_e32 v4, s12, v4
	v_cmp_gt_i32_e64 s12, 0, v17
	v_and_b32_e32 v3, v3, v29
	v_not_b32_e32 v17, v18
	v_ashrrev_i32_e32 v6, 31, v6
	v_xor_b32_e32 v5, s13, v5
	v_cmp_gt_i32_e64 s13, 0, v18
	v_and_b32_e32 v3, v3, v4
	;; [unrolled: 5-line block ×4, first 2 shown]
	v_ashrrev_i32_e32 v5, 31, v5
	v_xor_b32_e32 v4, s12, v4
	s_delay_alu instid0(VALU_DEP_3) | instskip(NEXT) | instid1(VALU_DEP_3)
	v_and_b32_e32 v3, v3, v17
	v_xor_b32_e32 v0, s13, v5
	s_delay_alu instid0(VALU_DEP_2)
	v_and_b32_e32 v5, v3, v4
	v_dual_mov_b32 v3, s16 :: v_dual_mov_b32 v4, s17
	ds_store_2addr_b64 v19, v[1:2], v[3:4] offset0:4 offset1:5
	ds_store_2addr_b64 v20, v[1:2], v[3:4] offset0:2 offset1:3
	v_and_b32_e32 v0, v5, v0
	v_and_b32_e32 v5, 0xff, v13
	s_waitcnt lgkmcnt(0)
	s_barrier
	buffer_gl0_inv
	v_mbcnt_lo_u32_b32 v17, v0, 0
	v_lshl_add_u32 v1, v5, 3, v26
	v_cmp_ne_u32_e64 s13, 0, v0
	; wave barrier
	s_delay_alu instid0(VALU_DEP_3) | instskip(NEXT) | instid1(VALU_DEP_3)
	v_cmp_eq_u32_e64 s12, 0, v17
	v_lshl_add_u32 v18, v1, 2, 32
	s_delay_alu instid0(VALU_DEP_2) | instskip(NEXT) | instid1(SALU_CYCLE_1)
	s_and_b32 s13, s13, s12
	s_and_saveexec_b32 s12, s13
	s_cbranch_execz .LBB361_36
; %bb.35:                               ;   in Loop: Header=BB361_2 Depth=1
	v_bcnt_u32_b32 v0, v0, 0
	ds_store_b32 v18, v0
.LBB361_36:                             ;   in Loop: Header=BB361_2 Depth=1
	s_or_b32 exec_lo, exec_lo, s12
	; wave barrier
	s_waitcnt lgkmcnt(0)
	s_barrier
	buffer_gl0_inv
	ds_load_2addr_b64 v[4:7], v19 offset0:4 offset1:5
	ds_load_2addr_b64 v[0:3], v20 offset0:2 offset1:3
	s_waitcnt lgkmcnt(1)
	v_add_nc_u32_e32 v28, v5, v4
	s_delay_alu instid0(VALU_DEP_1) | instskip(SKIP_1) | instid1(VALU_DEP_1)
	v_add3_u32 v28, v28, v6, v7
	s_waitcnt lgkmcnt(0)
	v_add3_u32 v28, v28, v0, v1
	s_delay_alu instid0(VALU_DEP_1) | instskip(NEXT) | instid1(VALU_DEP_1)
	v_add3_u32 v3, v28, v2, v3
	v_mov_b32_dpp v28, v3 row_shr:1 row_mask:0xf bank_mask:0xf
	s_delay_alu instid0(VALU_DEP_1) | instskip(NEXT) | instid1(VALU_DEP_1)
	v_cndmask_b32_e64 v28, v28, 0, s0
	v_add_nc_u32_e32 v3, v28, v3
	s_delay_alu instid0(VALU_DEP_1) | instskip(NEXT) | instid1(VALU_DEP_1)
	v_mov_b32_dpp v28, v3 row_shr:2 row_mask:0xf bank_mask:0xf
	v_cndmask_b32_e64 v28, 0, v28, s1
	s_delay_alu instid0(VALU_DEP_1) | instskip(NEXT) | instid1(VALU_DEP_1)
	v_add_nc_u32_e32 v3, v3, v28
	v_mov_b32_dpp v28, v3 row_shr:4 row_mask:0xf bank_mask:0xf
	s_delay_alu instid0(VALU_DEP_1) | instskip(NEXT) | instid1(VALU_DEP_1)
	v_cndmask_b32_e64 v28, 0, v28, s2
	v_add_nc_u32_e32 v3, v3, v28
	s_delay_alu instid0(VALU_DEP_1) | instskip(NEXT) | instid1(VALU_DEP_1)
	v_mov_b32_dpp v28, v3 row_shr:8 row_mask:0xf bank_mask:0xf
	v_cndmask_b32_e64 v28, 0, v28, s3
	s_delay_alu instid0(VALU_DEP_1) | instskip(SKIP_3) | instid1(VALU_DEP_1)
	v_add_nc_u32_e32 v3, v3, v28
	ds_swizzle_b32 v28, v3 offset:swizzle(BROADCAST,32,15)
	s_waitcnt lgkmcnt(0)
	v_cndmask_b32_e64 v28, v28, 0, s4
	v_add_nc_u32_e32 v3, v3, v28
	s_and_saveexec_b32 s12, s11
	s_cbranch_execz .LBB361_38
; %bb.37:                               ;   in Loop: Header=BB361_2 Depth=1
	ds_store_b32 v21, v3
.LBB361_38:                             ;   in Loop: Header=BB361_2 Depth=1
	s_or_b32 exec_lo, exec_lo, s12
	s_waitcnt lgkmcnt(0)
	s_barrier
	buffer_gl0_inv
	s_and_saveexec_b32 s12, s5
	s_cbranch_execz .LBB361_40
; %bb.39:                               ;   in Loop: Header=BB361_2 Depth=1
	ds_load_b32 v28, v23
	s_waitcnt lgkmcnt(0)
	v_mov_b32_dpp v29, v28 row_shr:1 row_mask:0xf bank_mask:0xf
	s_delay_alu instid0(VALU_DEP_1) | instskip(NEXT) | instid1(VALU_DEP_1)
	v_cndmask_b32_e64 v29, v29, 0, s8
	v_add_nc_u32_e32 v28, v29, v28
	s_delay_alu instid0(VALU_DEP_1) | instskip(NEXT) | instid1(VALU_DEP_1)
	v_mov_b32_dpp v29, v28 row_shr:2 row_mask:0xf bank_mask:0xf
	v_cndmask_b32_e64 v29, 0, v29, s9
	s_delay_alu instid0(VALU_DEP_1) | instskip(NEXT) | instid1(VALU_DEP_1)
	v_add_nc_u32_e32 v28, v28, v29
	v_mov_b32_dpp v29, v28 row_shr:4 row_mask:0xf bank_mask:0xf
	s_delay_alu instid0(VALU_DEP_1) | instskip(NEXT) | instid1(VALU_DEP_1)
	v_cndmask_b32_e64 v29, 0, v29, s10
	v_add_nc_u32_e32 v28, v28, v29
	ds_store_b32 v23, v28
.LBB361_40:                             ;   in Loop: Header=BB361_2 Depth=1
	s_or_b32 exec_lo, exec_lo, s12
	v_mov_b32_e32 v28, 0
	s_waitcnt lgkmcnt(0)
	s_barrier
	buffer_gl0_inv
	s_and_saveexec_b32 s12, s6
	s_cbranch_execz .LBB361_42
; %bb.41:                               ;   in Loop: Header=BB361_2 Depth=1
	ds_load_b32 v28, v24
.LBB361_42:                             ;   in Loop: Header=BB361_2 Depth=1
	s_or_b32 exec_lo, exec_lo, s12
	s_waitcnt lgkmcnt(0)
	v_add_nc_u32_e32 v3, v28, v3
	ds_bpermute_b32 v3, v22, v3
	s_waitcnt lgkmcnt(0)
	v_cndmask_b32_e32 v3, v3, v28, vcc_lo
	s_delay_alu instid0(VALU_DEP_1) | instskip(NEXT) | instid1(VALU_DEP_1)
	v_cndmask_b32_e64 v3, v3, 0, s7
	v_add_nc_u32_e32 v4, v3, v4
	s_delay_alu instid0(VALU_DEP_1) | instskip(NEXT) | instid1(VALU_DEP_1)
	v_add_nc_u32_e32 v5, v4, v5
	v_add_nc_u32_e32 v6, v5, v6
	s_delay_alu instid0(VALU_DEP_1) | instskip(NEXT) | instid1(VALU_DEP_1)
	v_add_nc_u32_e32 v28, v6, v7
	;; [unrolled: 3-line block ×3, first 2 shown]
	v_add_nc_u32_e32 v1, v0, v2
	ds_store_2addr_b64 v19, v[3:4], v[5:6] offset0:4 offset1:5
	ds_store_2addr_b64 v20, v[28:29], v[0:1] offset0:2 offset1:3
	s_waitcnt lgkmcnt(0)
	s_barrier
	buffer_gl0_inv
	ds_load_b32 v0, v18
	v_lshlrev_b32_e32 v1, 3, v17
	s_waitcnt lgkmcnt(0)
	s_barrier
	buffer_gl0_inv
	v_lshl_add_u32 v0, v0, 3, v1
	v_dual_mov_b32 v1, s22 :: v_dual_mov_b32 v2, s23
	ds_store_b64 v0, v[13:14]
	s_waitcnt lgkmcnt(0)
	s_barrier
	buffer_gl0_inv
	ds_load_b64 v[13:14], v25
	s_waitcnt lgkmcnt(0)
	s_barrier
	buffer_gl0_inv
	ds_store_b64 v0, v[15:16]
	s_waitcnt lgkmcnt(0)
	s_barrier
	buffer_gl0_inv
	ds_load_b64 v[15:16], v25
	s_waitcnt lgkmcnt(0)
	s_barrier
	buffer_gl0_inv
	v_bfe_u32 v3, v13, 8, 1
	v_lshrrev_b32_e32 v4, 8, v13
	s_delay_alu instid0(VALU_DEP_2) | instskip(NEXT) | instid1(VALU_DEP_1)
	v_add_co_u32 v3, s12, v3, -1
	v_cndmask_b32_e64 v5, 0, 1, s12
	s_delay_alu instid0(VALU_DEP_3)
	v_lshlrev_b32_e32 v6, 30, v4
	v_lshlrev_b32_e32 v7, 29, v4
	;; [unrolled: 1-line block ×4, first 2 shown]
	v_cmp_ne_u32_e64 s12, 0, v5
	v_not_b32_e32 v5, v6
	v_cmp_gt_i32_e64 s13, 0, v6
	v_not_b32_e32 v6, v7
	v_lshlrev_b32_e32 v28, 26, v4
	v_xor_b32_e32 v3, s12, v3
	v_ashrrev_i32_e32 v5, 31, v5
	v_cmp_gt_i32_e64 s12, 0, v7
	v_not_b32_e32 v7, v17
	v_ashrrev_i32_e32 v6, 31, v6
	v_and_b32_e32 v3, exec_lo, v3
	v_xor_b32_e32 v5, s13, v5
	v_cmp_gt_i32_e64 s13, 0, v17
	v_not_b32_e32 v17, v18
	v_ashrrev_i32_e32 v7, 31, v7
	v_xor_b32_e32 v6, s12, v6
	v_and_b32_e32 v3, v3, v5
	v_lshlrev_b32_e32 v29, 25, v4
	v_cmp_gt_i32_e64 s12, 0, v18
	v_not_b32_e32 v5, v28
	v_ashrrev_i32_e32 v17, 31, v17
	v_xor_b32_e32 v7, s13, v7
	v_and_b32_e32 v3, v3, v6
	v_lshlrev_b32_e32 v4, 24, v4
	v_cmp_gt_i32_e64 s13, 0, v28
	v_not_b32_e32 v6, v29
	v_ashrrev_i32_e32 v5, 31, v5
	v_xor_b32_e32 v17, s12, v17
	v_and_b32_e32 v3, v3, v7
	v_cmp_gt_i32_e64 s12, 0, v29
	v_not_b32_e32 v7, v4
	v_ashrrev_i32_e32 v6, 31, v6
	v_xor_b32_e32 v5, s13, v5
	v_and_b32_e32 v3, v3, v17
	v_cmp_gt_i32_e64 s13, 0, v4
	v_ashrrev_i32_e32 v4, 31, v7
	v_xor_b32_e32 v6, s12, v6
	s_delay_alu instid0(VALU_DEP_4) | instskip(NEXT) | instid1(VALU_DEP_3)
	v_and_b32_e32 v3, v3, v5
	v_xor_b32_e32 v0, s13, v4
	s_delay_alu instid0(VALU_DEP_2)
	v_and_b32_e32 v5, v3, v6
	v_mov_b32_e32 v3, s16
	v_lshrrev_b32_e32 v6, 5, v13
	v_mov_b32_e32 v4, s17
	ds_store_2addr_b64 v19, v[1:2], v[3:4] offset0:4 offset1:5
	ds_store_2addr_b64 v20, v[1:2], v[3:4] offset0:2 offset1:3
	v_and_b32_e32 v0, v5, v0
	v_and_b32_e32 v5, 0x7f8, v6
	s_waitcnt lgkmcnt(0)
	s_barrier
	buffer_gl0_inv
	v_mbcnt_lo_u32_b32 v17, v0, 0
	v_add_nc_u32_e32 v1, v5, v26
	v_cmp_ne_u32_e64 s13, 0, v0
	; wave barrier
	s_delay_alu instid0(VALU_DEP_3) | instskip(NEXT) | instid1(VALU_DEP_3)
	v_cmp_eq_u32_e64 s12, 0, v17
	v_lshl_add_u32 v18, v1, 2, 32
	s_delay_alu instid0(VALU_DEP_2) | instskip(NEXT) | instid1(SALU_CYCLE_1)
	s_and_b32 s13, s13, s12
	s_and_saveexec_b32 s12, s13
	s_cbranch_execz .LBB361_44
; %bb.43:                               ;   in Loop: Header=BB361_2 Depth=1
	v_bcnt_u32_b32 v0, v0, 0
	ds_store_b32 v18, v0
.LBB361_44:                             ;   in Loop: Header=BB361_2 Depth=1
	s_or_b32 exec_lo, exec_lo, s12
	; wave barrier
	s_waitcnt lgkmcnt(0)
	s_barrier
	buffer_gl0_inv
	ds_load_2addr_b64 v[4:7], v19 offset0:4 offset1:5
	ds_load_2addr_b64 v[0:3], v20 offset0:2 offset1:3
	s_waitcnt lgkmcnt(1)
	v_add_nc_u32_e32 v28, v5, v4
	s_delay_alu instid0(VALU_DEP_1) | instskip(SKIP_1) | instid1(VALU_DEP_1)
	v_add3_u32 v28, v28, v6, v7
	s_waitcnt lgkmcnt(0)
	v_add3_u32 v28, v28, v0, v1
	s_delay_alu instid0(VALU_DEP_1) | instskip(NEXT) | instid1(VALU_DEP_1)
	v_add3_u32 v3, v28, v2, v3
	v_mov_b32_dpp v28, v3 row_shr:1 row_mask:0xf bank_mask:0xf
	s_delay_alu instid0(VALU_DEP_1) | instskip(NEXT) | instid1(VALU_DEP_1)
	v_cndmask_b32_e64 v28, v28, 0, s0
	v_add_nc_u32_e32 v3, v28, v3
	s_delay_alu instid0(VALU_DEP_1) | instskip(NEXT) | instid1(VALU_DEP_1)
	v_mov_b32_dpp v28, v3 row_shr:2 row_mask:0xf bank_mask:0xf
	v_cndmask_b32_e64 v28, 0, v28, s1
	s_delay_alu instid0(VALU_DEP_1) | instskip(NEXT) | instid1(VALU_DEP_1)
	v_add_nc_u32_e32 v3, v3, v28
	v_mov_b32_dpp v28, v3 row_shr:4 row_mask:0xf bank_mask:0xf
	s_delay_alu instid0(VALU_DEP_1) | instskip(NEXT) | instid1(VALU_DEP_1)
	v_cndmask_b32_e64 v28, 0, v28, s2
	v_add_nc_u32_e32 v3, v3, v28
	s_delay_alu instid0(VALU_DEP_1) | instskip(NEXT) | instid1(VALU_DEP_1)
	v_mov_b32_dpp v28, v3 row_shr:8 row_mask:0xf bank_mask:0xf
	v_cndmask_b32_e64 v28, 0, v28, s3
	s_delay_alu instid0(VALU_DEP_1) | instskip(SKIP_3) | instid1(VALU_DEP_1)
	v_add_nc_u32_e32 v3, v3, v28
	ds_swizzle_b32 v28, v3 offset:swizzle(BROADCAST,32,15)
	s_waitcnt lgkmcnt(0)
	v_cndmask_b32_e64 v28, v28, 0, s4
	v_add_nc_u32_e32 v3, v3, v28
	s_and_saveexec_b32 s12, s11
	s_cbranch_execz .LBB361_46
; %bb.45:                               ;   in Loop: Header=BB361_2 Depth=1
	ds_store_b32 v21, v3
.LBB361_46:                             ;   in Loop: Header=BB361_2 Depth=1
	s_or_b32 exec_lo, exec_lo, s12
	s_waitcnt lgkmcnt(0)
	s_barrier
	buffer_gl0_inv
	s_and_saveexec_b32 s12, s5
	s_cbranch_execz .LBB361_48
; %bb.47:                               ;   in Loop: Header=BB361_2 Depth=1
	ds_load_b32 v28, v23
	s_waitcnt lgkmcnt(0)
	v_mov_b32_dpp v29, v28 row_shr:1 row_mask:0xf bank_mask:0xf
	s_delay_alu instid0(VALU_DEP_1) | instskip(NEXT) | instid1(VALU_DEP_1)
	v_cndmask_b32_e64 v29, v29, 0, s8
	v_add_nc_u32_e32 v28, v29, v28
	s_delay_alu instid0(VALU_DEP_1) | instskip(NEXT) | instid1(VALU_DEP_1)
	v_mov_b32_dpp v29, v28 row_shr:2 row_mask:0xf bank_mask:0xf
	v_cndmask_b32_e64 v29, 0, v29, s9
	s_delay_alu instid0(VALU_DEP_1) | instskip(NEXT) | instid1(VALU_DEP_1)
	v_add_nc_u32_e32 v28, v28, v29
	v_mov_b32_dpp v29, v28 row_shr:4 row_mask:0xf bank_mask:0xf
	s_delay_alu instid0(VALU_DEP_1) | instskip(NEXT) | instid1(VALU_DEP_1)
	v_cndmask_b32_e64 v29, 0, v29, s10
	v_add_nc_u32_e32 v28, v28, v29
	ds_store_b32 v23, v28
.LBB361_48:                             ;   in Loop: Header=BB361_2 Depth=1
	s_or_b32 exec_lo, exec_lo, s12
	v_mov_b32_e32 v28, 0
	s_waitcnt lgkmcnt(0)
	s_barrier
	buffer_gl0_inv
	s_and_saveexec_b32 s12, s6
	s_cbranch_execz .LBB361_50
; %bb.49:                               ;   in Loop: Header=BB361_2 Depth=1
	ds_load_b32 v28, v24
.LBB361_50:                             ;   in Loop: Header=BB361_2 Depth=1
	s_or_b32 exec_lo, exec_lo, s12
	s_waitcnt lgkmcnt(0)
	v_add_nc_u32_e32 v3, v28, v3
	ds_bpermute_b32 v3, v22, v3
	s_waitcnt lgkmcnt(0)
	v_cndmask_b32_e32 v3, v3, v28, vcc_lo
	s_delay_alu instid0(VALU_DEP_1) | instskip(NEXT) | instid1(VALU_DEP_1)
	v_cndmask_b32_e64 v3, v3, 0, s7
	v_add_nc_u32_e32 v4, v3, v4
	s_delay_alu instid0(VALU_DEP_1) | instskip(NEXT) | instid1(VALU_DEP_1)
	v_add_nc_u32_e32 v5, v4, v5
	v_add_nc_u32_e32 v6, v5, v6
	s_delay_alu instid0(VALU_DEP_1) | instskip(NEXT) | instid1(VALU_DEP_1)
	v_add_nc_u32_e32 v28, v6, v7
	;; [unrolled: 3-line block ×3, first 2 shown]
	v_add_nc_u32_e32 v1, v0, v2
	ds_store_2addr_b64 v19, v[3:4], v[5:6] offset0:4 offset1:5
	ds_store_2addr_b64 v20, v[28:29], v[0:1] offset0:2 offset1:3
	s_waitcnt lgkmcnt(0)
	s_barrier
	buffer_gl0_inv
	ds_load_b32 v0, v18
	v_lshlrev_b32_e32 v1, 3, v17
	s_waitcnt lgkmcnt(0)
	s_barrier
	buffer_gl0_inv
	v_lshl_add_u32 v0, v0, 3, v1
	v_dual_mov_b32 v1, s22 :: v_dual_mov_b32 v2, s23
	ds_store_b64 v0, v[13:14]
	s_waitcnt lgkmcnt(0)
	s_barrier
	buffer_gl0_inv
	ds_load_b64 v[13:14], v25
	s_waitcnt lgkmcnt(0)
	s_barrier
	buffer_gl0_inv
	ds_store_b64 v0, v[15:16]
	s_waitcnt lgkmcnt(0)
	s_barrier
	buffer_gl0_inv
	ds_load_b64 v[15:16], v25
	s_waitcnt lgkmcnt(0)
	s_barrier
	buffer_gl0_inv
	v_bfe_u32 v3, v13, 16, 1
	v_lshrrev_b32_e32 v4, 16, v13
	s_delay_alu instid0(VALU_DEP_2) | instskip(NEXT) | instid1(VALU_DEP_1)
	v_add_co_u32 v3, s12, v3, -1
	v_cndmask_b32_e64 v5, 0, 1, s12
	s_delay_alu instid0(VALU_DEP_3)
	v_lshlrev_b32_e32 v6, 30, v4
	v_lshlrev_b32_e32 v7, 29, v4
	;; [unrolled: 1-line block ×4, first 2 shown]
	v_cmp_ne_u32_e64 s12, 0, v5
	v_not_b32_e32 v5, v6
	v_cmp_gt_i32_e64 s13, 0, v6
	v_not_b32_e32 v6, v7
	v_lshlrev_b32_e32 v28, 26, v4
	v_xor_b32_e32 v3, s12, v3
	v_ashrrev_i32_e32 v5, 31, v5
	v_cmp_gt_i32_e64 s12, 0, v7
	v_not_b32_e32 v7, v17
	v_ashrrev_i32_e32 v6, 31, v6
	v_and_b32_e32 v3, exec_lo, v3
	v_xor_b32_e32 v5, s13, v5
	v_cmp_gt_i32_e64 s13, 0, v17
	v_not_b32_e32 v17, v18
	v_ashrrev_i32_e32 v7, 31, v7
	v_xor_b32_e32 v6, s12, v6
	v_and_b32_e32 v3, v3, v5
	v_lshlrev_b32_e32 v29, 25, v4
	v_cmp_gt_i32_e64 s12, 0, v18
	v_not_b32_e32 v5, v28
	v_ashrrev_i32_e32 v17, 31, v17
	v_xor_b32_e32 v7, s13, v7
	v_and_b32_e32 v3, v3, v6
	v_lshlrev_b32_e32 v4, 24, v4
	v_cmp_gt_i32_e64 s13, 0, v28
	v_not_b32_e32 v6, v29
	v_ashrrev_i32_e32 v5, 31, v5
	v_xor_b32_e32 v17, s12, v17
	v_and_b32_e32 v3, v3, v7
	v_cmp_gt_i32_e64 s12, 0, v29
	v_not_b32_e32 v7, v4
	v_ashrrev_i32_e32 v6, 31, v6
	v_xor_b32_e32 v5, s13, v5
	v_and_b32_e32 v3, v3, v17
	v_cmp_gt_i32_e64 s13, 0, v4
	v_ashrrev_i32_e32 v4, 31, v7
	v_xor_b32_e32 v6, s12, v6
	s_delay_alu instid0(VALU_DEP_4) | instskip(NEXT) | instid1(VALU_DEP_3)
	v_and_b32_e32 v3, v3, v5
	v_xor_b32_e32 v0, s13, v4
	s_delay_alu instid0(VALU_DEP_2)
	v_and_b32_e32 v5, v3, v6
	v_mov_b32_e32 v3, s16
	v_lshrrev_b32_e32 v6, 13, v13
	v_mov_b32_e32 v4, s17
	ds_store_2addr_b64 v19, v[1:2], v[3:4] offset0:4 offset1:5
	ds_store_2addr_b64 v20, v[1:2], v[3:4] offset0:2 offset1:3
	v_and_b32_e32 v0, v5, v0
	v_and_b32_e32 v5, 0x7f8, v6
	s_waitcnt lgkmcnt(0)
	s_barrier
	buffer_gl0_inv
	v_mbcnt_lo_u32_b32 v17, v0, 0
	v_add_nc_u32_e32 v1, v5, v26
	v_cmp_ne_u32_e64 s13, 0, v0
	; wave barrier
	s_delay_alu instid0(VALU_DEP_3) | instskip(NEXT) | instid1(VALU_DEP_3)
	v_cmp_eq_u32_e64 s12, 0, v17
	v_lshl_add_u32 v18, v1, 2, 32
	s_delay_alu instid0(VALU_DEP_2) | instskip(NEXT) | instid1(SALU_CYCLE_1)
	s_and_b32 s13, s13, s12
	s_and_saveexec_b32 s12, s13
	s_cbranch_execz .LBB361_52
; %bb.51:                               ;   in Loop: Header=BB361_2 Depth=1
	v_bcnt_u32_b32 v0, v0, 0
	ds_store_b32 v18, v0
.LBB361_52:                             ;   in Loop: Header=BB361_2 Depth=1
	s_or_b32 exec_lo, exec_lo, s12
	; wave barrier
	s_waitcnt lgkmcnt(0)
	s_barrier
	buffer_gl0_inv
	ds_load_2addr_b64 v[4:7], v19 offset0:4 offset1:5
	ds_load_2addr_b64 v[0:3], v20 offset0:2 offset1:3
	s_waitcnt lgkmcnt(1)
	v_add_nc_u32_e32 v28, v5, v4
	s_delay_alu instid0(VALU_DEP_1) | instskip(SKIP_1) | instid1(VALU_DEP_1)
	v_add3_u32 v28, v28, v6, v7
	s_waitcnt lgkmcnt(0)
	v_add3_u32 v28, v28, v0, v1
	s_delay_alu instid0(VALU_DEP_1) | instskip(NEXT) | instid1(VALU_DEP_1)
	v_add3_u32 v3, v28, v2, v3
	v_mov_b32_dpp v28, v3 row_shr:1 row_mask:0xf bank_mask:0xf
	s_delay_alu instid0(VALU_DEP_1) | instskip(NEXT) | instid1(VALU_DEP_1)
	v_cndmask_b32_e64 v28, v28, 0, s0
	v_add_nc_u32_e32 v3, v28, v3
	s_delay_alu instid0(VALU_DEP_1) | instskip(NEXT) | instid1(VALU_DEP_1)
	v_mov_b32_dpp v28, v3 row_shr:2 row_mask:0xf bank_mask:0xf
	v_cndmask_b32_e64 v28, 0, v28, s1
	s_delay_alu instid0(VALU_DEP_1) | instskip(NEXT) | instid1(VALU_DEP_1)
	v_add_nc_u32_e32 v3, v3, v28
	v_mov_b32_dpp v28, v3 row_shr:4 row_mask:0xf bank_mask:0xf
	s_delay_alu instid0(VALU_DEP_1) | instskip(NEXT) | instid1(VALU_DEP_1)
	v_cndmask_b32_e64 v28, 0, v28, s2
	v_add_nc_u32_e32 v3, v3, v28
	s_delay_alu instid0(VALU_DEP_1) | instskip(NEXT) | instid1(VALU_DEP_1)
	v_mov_b32_dpp v28, v3 row_shr:8 row_mask:0xf bank_mask:0xf
	v_cndmask_b32_e64 v28, 0, v28, s3
	s_delay_alu instid0(VALU_DEP_1) | instskip(SKIP_3) | instid1(VALU_DEP_1)
	v_add_nc_u32_e32 v3, v3, v28
	ds_swizzle_b32 v28, v3 offset:swizzle(BROADCAST,32,15)
	s_waitcnt lgkmcnt(0)
	v_cndmask_b32_e64 v28, v28, 0, s4
	v_add_nc_u32_e32 v3, v3, v28
	s_and_saveexec_b32 s12, s11
	s_cbranch_execz .LBB361_54
; %bb.53:                               ;   in Loop: Header=BB361_2 Depth=1
	ds_store_b32 v21, v3
.LBB361_54:                             ;   in Loop: Header=BB361_2 Depth=1
	s_or_b32 exec_lo, exec_lo, s12
	s_waitcnt lgkmcnt(0)
	s_barrier
	buffer_gl0_inv
	s_and_saveexec_b32 s12, s5
	s_cbranch_execz .LBB361_56
; %bb.55:                               ;   in Loop: Header=BB361_2 Depth=1
	ds_load_b32 v28, v23
	s_waitcnt lgkmcnt(0)
	v_mov_b32_dpp v29, v28 row_shr:1 row_mask:0xf bank_mask:0xf
	s_delay_alu instid0(VALU_DEP_1) | instskip(NEXT) | instid1(VALU_DEP_1)
	v_cndmask_b32_e64 v29, v29, 0, s8
	v_add_nc_u32_e32 v28, v29, v28
	s_delay_alu instid0(VALU_DEP_1) | instskip(NEXT) | instid1(VALU_DEP_1)
	v_mov_b32_dpp v29, v28 row_shr:2 row_mask:0xf bank_mask:0xf
	v_cndmask_b32_e64 v29, 0, v29, s9
	s_delay_alu instid0(VALU_DEP_1) | instskip(NEXT) | instid1(VALU_DEP_1)
	v_add_nc_u32_e32 v28, v28, v29
	v_mov_b32_dpp v29, v28 row_shr:4 row_mask:0xf bank_mask:0xf
	s_delay_alu instid0(VALU_DEP_1) | instskip(NEXT) | instid1(VALU_DEP_1)
	v_cndmask_b32_e64 v29, 0, v29, s10
	v_add_nc_u32_e32 v28, v28, v29
	ds_store_b32 v23, v28
.LBB361_56:                             ;   in Loop: Header=BB361_2 Depth=1
	s_or_b32 exec_lo, exec_lo, s12
	v_mov_b32_e32 v28, 0
	s_waitcnt lgkmcnt(0)
	s_barrier
	buffer_gl0_inv
	s_and_saveexec_b32 s12, s6
	s_cbranch_execz .LBB361_58
; %bb.57:                               ;   in Loop: Header=BB361_2 Depth=1
	ds_load_b32 v28, v24
.LBB361_58:                             ;   in Loop: Header=BB361_2 Depth=1
	s_or_b32 exec_lo, exec_lo, s12
	s_waitcnt lgkmcnt(0)
	v_add_nc_u32_e32 v3, v28, v3
	ds_bpermute_b32 v3, v22, v3
	s_waitcnt lgkmcnt(0)
	v_cndmask_b32_e32 v3, v3, v28, vcc_lo
	s_delay_alu instid0(VALU_DEP_1) | instskip(NEXT) | instid1(VALU_DEP_1)
	v_cndmask_b32_e64 v3, v3, 0, s7
	v_add_nc_u32_e32 v4, v3, v4
	s_delay_alu instid0(VALU_DEP_1) | instskip(NEXT) | instid1(VALU_DEP_1)
	v_add_nc_u32_e32 v5, v4, v5
	v_add_nc_u32_e32 v6, v5, v6
	s_delay_alu instid0(VALU_DEP_1) | instskip(NEXT) | instid1(VALU_DEP_1)
	v_add_nc_u32_e32 v28, v6, v7
	;; [unrolled: 3-line block ×3, first 2 shown]
	v_add_nc_u32_e32 v1, v0, v2
	ds_store_2addr_b64 v19, v[3:4], v[5:6] offset0:4 offset1:5
	ds_store_2addr_b64 v20, v[28:29], v[0:1] offset0:2 offset1:3
	s_waitcnt lgkmcnt(0)
	s_barrier
	buffer_gl0_inv
	ds_load_b32 v0, v18
	v_lshlrev_b32_e32 v1, 3, v17
	s_waitcnt lgkmcnt(0)
	s_barrier
	buffer_gl0_inv
	v_lshl_add_u32 v0, v0, 3, v1
	ds_store_b64 v0, v[13:14]
	s_waitcnt lgkmcnt(0)
	s_barrier
	buffer_gl0_inv
	ds_load_b64 v[13:14], v25
	s_waitcnt lgkmcnt(0)
	s_barrier
	buffer_gl0_inv
	ds_store_b64 v0, v[15:16]
	s_waitcnt lgkmcnt(0)
	s_barrier
	buffer_gl0_inv
	v_bfe_u32 v1, v13, 24, 1
	v_lshrrev_b32_e32 v5, 24, v13
	s_delay_alu instid0(VALU_DEP_2) | instskip(NEXT) | instid1(VALU_DEP_1)
	v_add_co_u32 v1, s12, v1, -1
	v_cndmask_b32_e64 v2, 0, 1, s12
	s_delay_alu instid0(VALU_DEP_3)
	v_lshlrev_b32_e32 v3, 30, v5
	v_lshlrev_b32_e32 v4, 29, v5
	;; [unrolled: 1-line block ×4, first 2 shown]
	v_cmp_ne_u32_e64 s12, 0, v2
	v_not_b32_e32 v2, v3
	v_cmp_gt_i32_e64 s13, 0, v3
	v_not_b32_e32 v3, v4
	v_lshlrev_b32_e32 v17, 26, v5
	v_xor_b32_e32 v1, s12, v1
	v_ashrrev_i32_e32 v2, 31, v2
	v_cmp_gt_i32_e64 s12, 0, v4
	v_not_b32_e32 v4, v6
	v_ashrrev_i32_e32 v3, 31, v3
	v_and_b32_e32 v1, exec_lo, v1
	v_xor_b32_e32 v2, s13, v2
	v_cmp_gt_i32_e64 s13, 0, v6
	v_not_b32_e32 v6, v7
	v_ashrrev_i32_e32 v4, 31, v4
	v_xor_b32_e32 v3, s12, v3
	v_and_b32_e32 v1, v1, v2
	v_lshlrev_b32_e32 v18, 25, v5
	v_cmp_gt_i32_e64 s12, 0, v7
	v_not_b32_e32 v2, v17
	v_ashrrev_i32_e32 v6, 31, v6
	v_xor_b32_e32 v4, s13, v4
	v_and_b32_e32 v1, v1, v3
	v_cmp_gt_i32_e64 s13, 0, v17
	v_not_b32_e32 v3, v18
	v_ashrrev_i32_e32 v2, 31, v2
	v_xor_b32_e32 v6, s12, v6
	v_and_b32_e32 v1, v1, v4
	v_not_b32_e32 v4, v13
	v_cmp_gt_i32_e64 s12, 0, v18
	v_ashrrev_i32_e32 v3, 31, v3
	v_xor_b32_e32 v2, s13, v2
	v_and_b32_e32 v1, v1, v6
	v_cmp_gt_i32_e64 s13, 0, v13
	v_ashrrev_i32_e32 v4, 31, v4
	v_xor_b32_e32 v3, s12, v3
	ds_load_b64 v[17:18], v25
	v_and_b32_e32 v1, v1, v2
	s_waitcnt lgkmcnt(0)
	v_xor_b32_e32 v0, s13, v4
	s_barrier
	buffer_gl0_inv
	v_and_b32_e32 v3, v1, v3
	v_dual_mov_b32 v1, s22 :: v_dual_mov_b32 v2, s23
	s_delay_alu instid0(VALU_DEP_2)
	v_dual_mov_b32 v3, s16 :: v_dual_and_b32 v0, v3, v0
	v_mov_b32_e32 v4, s17
	ds_store_2addr_b64 v19, v[1:2], v[3:4] offset0:4 offset1:5
	ds_store_2addr_b64 v20, v[1:2], v[3:4] offset0:2 offset1:3
	v_mbcnt_lo_u32_b32 v15, v0, 0
	v_lshl_add_u32 v1, v5, 3, v26
	v_cmp_ne_u32_e64 s13, 0, v0
	s_waitcnt lgkmcnt(0)
	s_barrier
	v_cmp_eq_u32_e64 s12, 0, v15
	v_lshl_add_u32 v16, v1, 2, 32
	buffer_gl0_inv
	; wave barrier
	s_and_b32 s13, s13, s12
	s_delay_alu instid0(SALU_CYCLE_1)
	s_and_saveexec_b32 s12, s13
	s_cbranch_execz .LBB361_60
; %bb.59:                               ;   in Loop: Header=BB361_2 Depth=1
	v_bcnt_u32_b32 v0, v0, 0
	ds_store_b32 v16, v0
.LBB361_60:                             ;   in Loop: Header=BB361_2 Depth=1
	s_or_b32 exec_lo, exec_lo, s12
	; wave barrier
	s_waitcnt lgkmcnt(0)
	s_barrier
	buffer_gl0_inv
	ds_load_2addr_b64 v[4:7], v19 offset0:4 offset1:5
	ds_load_2addr_b64 v[0:3], v20 offset0:2 offset1:3
	s_waitcnt lgkmcnt(1)
	v_add_nc_u32_e32 v28, v5, v4
	s_delay_alu instid0(VALU_DEP_1) | instskip(SKIP_1) | instid1(VALU_DEP_1)
	v_add3_u32 v28, v28, v6, v7
	s_waitcnt lgkmcnt(0)
	v_add3_u32 v28, v28, v0, v1
	s_delay_alu instid0(VALU_DEP_1) | instskip(NEXT) | instid1(VALU_DEP_1)
	v_add3_u32 v3, v28, v2, v3
	v_mov_b32_dpp v28, v3 row_shr:1 row_mask:0xf bank_mask:0xf
	s_delay_alu instid0(VALU_DEP_1) | instskip(NEXT) | instid1(VALU_DEP_1)
	v_cndmask_b32_e64 v28, v28, 0, s0
	v_add_nc_u32_e32 v3, v28, v3
	s_delay_alu instid0(VALU_DEP_1) | instskip(NEXT) | instid1(VALU_DEP_1)
	v_mov_b32_dpp v28, v3 row_shr:2 row_mask:0xf bank_mask:0xf
	v_cndmask_b32_e64 v28, 0, v28, s1
	s_delay_alu instid0(VALU_DEP_1) | instskip(NEXT) | instid1(VALU_DEP_1)
	v_add_nc_u32_e32 v3, v3, v28
	v_mov_b32_dpp v28, v3 row_shr:4 row_mask:0xf bank_mask:0xf
	s_delay_alu instid0(VALU_DEP_1) | instskip(NEXT) | instid1(VALU_DEP_1)
	v_cndmask_b32_e64 v28, 0, v28, s2
	v_add_nc_u32_e32 v3, v3, v28
	s_delay_alu instid0(VALU_DEP_1) | instskip(NEXT) | instid1(VALU_DEP_1)
	v_mov_b32_dpp v28, v3 row_shr:8 row_mask:0xf bank_mask:0xf
	v_cndmask_b32_e64 v28, 0, v28, s3
	s_delay_alu instid0(VALU_DEP_1) | instskip(SKIP_3) | instid1(VALU_DEP_1)
	v_add_nc_u32_e32 v3, v3, v28
	ds_swizzle_b32 v28, v3 offset:swizzle(BROADCAST,32,15)
	s_waitcnt lgkmcnt(0)
	v_cndmask_b32_e64 v28, v28, 0, s4
	v_add_nc_u32_e32 v3, v3, v28
	s_and_saveexec_b32 s12, s11
	s_cbranch_execz .LBB361_62
; %bb.61:                               ;   in Loop: Header=BB361_2 Depth=1
	ds_store_b32 v21, v3
.LBB361_62:                             ;   in Loop: Header=BB361_2 Depth=1
	s_or_b32 exec_lo, exec_lo, s12
	s_waitcnt lgkmcnt(0)
	s_barrier
	buffer_gl0_inv
	s_and_saveexec_b32 s12, s5
	s_cbranch_execz .LBB361_64
; %bb.63:                               ;   in Loop: Header=BB361_2 Depth=1
	ds_load_b32 v28, v23
	s_waitcnt lgkmcnt(0)
	v_mov_b32_dpp v29, v28 row_shr:1 row_mask:0xf bank_mask:0xf
	s_delay_alu instid0(VALU_DEP_1) | instskip(NEXT) | instid1(VALU_DEP_1)
	v_cndmask_b32_e64 v29, v29, 0, s8
	v_add_nc_u32_e32 v28, v29, v28
	s_delay_alu instid0(VALU_DEP_1) | instskip(NEXT) | instid1(VALU_DEP_1)
	v_mov_b32_dpp v29, v28 row_shr:2 row_mask:0xf bank_mask:0xf
	v_cndmask_b32_e64 v29, 0, v29, s9
	s_delay_alu instid0(VALU_DEP_1) | instskip(NEXT) | instid1(VALU_DEP_1)
	v_add_nc_u32_e32 v28, v28, v29
	v_mov_b32_dpp v29, v28 row_shr:4 row_mask:0xf bank_mask:0xf
	s_delay_alu instid0(VALU_DEP_1) | instskip(NEXT) | instid1(VALU_DEP_1)
	v_cndmask_b32_e64 v29, 0, v29, s10
	v_add_nc_u32_e32 v28, v28, v29
	ds_store_b32 v23, v28
.LBB361_64:                             ;   in Loop: Header=BB361_2 Depth=1
	s_or_b32 exec_lo, exec_lo, s12
	v_mov_b32_e32 v28, 0
	s_waitcnt lgkmcnt(0)
	s_barrier
	buffer_gl0_inv
	s_and_saveexec_b32 s12, s6
	s_cbranch_execz .LBB361_1
; %bb.65:                               ;   in Loop: Header=BB361_2 Depth=1
	ds_load_b32 v28, v24
	s_branch .LBB361_1
.LBB361_66:
	s_waitcnt lgkmcnt(0)
	v_add3_u32 v0, v13, v15, 0x80000000
	v_add3_u32 v1, v14, v16, 0x80000000
	v_lshlrev_b32_e32 v2, 3, v8
	s_add_u32 s0, s18, s20
	s_addc_u32 s1, s19, s21
	global_store_b64 v2, v[0:1], s[0:1]
	s_nop 0
	s_sendmsg sendmsg(MSG_DEALLOC_VGPRS)
	s_endpgm
	.section	.rodata,"a",@progbits
	.p2align	6, 0x0
	.amdhsa_kernel _Z17sort_pairs_kernelI22helper_blocked_stripedN15benchmark_utils11custom_typeIiiEELj256ELj1ELj10EEvPKT0_PS4_
		.amdhsa_group_segment_fixed_size 8224
		.amdhsa_private_segment_fixed_size 0
		.amdhsa_kernarg_size 272
		.amdhsa_user_sgpr_count 15
		.amdhsa_user_sgpr_dispatch_ptr 0
		.amdhsa_user_sgpr_queue_ptr 0
		.amdhsa_user_sgpr_kernarg_segment_ptr 1
		.amdhsa_user_sgpr_dispatch_id 0
		.amdhsa_user_sgpr_private_segment_size 0
		.amdhsa_wavefront_size32 1
		.amdhsa_uses_dynamic_stack 0
		.amdhsa_enable_private_segment 0
		.amdhsa_system_sgpr_workgroup_id_x 1
		.amdhsa_system_sgpr_workgroup_id_y 0
		.amdhsa_system_sgpr_workgroup_id_z 0
		.amdhsa_system_sgpr_workgroup_info 0
		.amdhsa_system_vgpr_workitem_id 2
		.amdhsa_next_free_vgpr 30
		.amdhsa_next_free_sgpr 24
		.amdhsa_reserve_vcc 1
		.amdhsa_float_round_mode_32 0
		.amdhsa_float_round_mode_16_64 0
		.amdhsa_float_denorm_mode_32 3
		.amdhsa_float_denorm_mode_16_64 3
		.amdhsa_dx10_clamp 1
		.amdhsa_ieee_mode 1
		.amdhsa_fp16_overflow 0
		.amdhsa_workgroup_processor_mode 1
		.amdhsa_memory_ordered 1
		.amdhsa_forward_progress 0
		.amdhsa_shared_vgpr_count 0
		.amdhsa_exception_fp_ieee_invalid_op 0
		.amdhsa_exception_fp_denorm_src 0
		.amdhsa_exception_fp_ieee_div_zero 0
		.amdhsa_exception_fp_ieee_overflow 0
		.amdhsa_exception_fp_ieee_underflow 0
		.amdhsa_exception_fp_ieee_inexact 0
		.amdhsa_exception_int_div_zero 0
	.end_amdhsa_kernel
	.section	.text._Z17sort_pairs_kernelI22helper_blocked_stripedN15benchmark_utils11custom_typeIiiEELj256ELj1ELj10EEvPKT0_PS4_,"axG",@progbits,_Z17sort_pairs_kernelI22helper_blocked_stripedN15benchmark_utils11custom_typeIiiEELj256ELj1ELj10EEvPKT0_PS4_,comdat
.Lfunc_end361:
	.size	_Z17sort_pairs_kernelI22helper_blocked_stripedN15benchmark_utils11custom_typeIiiEELj256ELj1ELj10EEvPKT0_PS4_, .Lfunc_end361-_Z17sort_pairs_kernelI22helper_blocked_stripedN15benchmark_utils11custom_typeIiiEELj256ELj1ELj10EEvPKT0_PS4_
                                        ; -- End function
	.section	.AMDGPU.csdata,"",@progbits
; Kernel info:
; codeLenInByte = 8520
; NumSgprs: 26
; NumVgprs: 30
; ScratchSize: 0
; MemoryBound: 0
; FloatMode: 240
; IeeeMode: 1
; LDSByteSize: 8224 bytes/workgroup (compile time only)
; SGPRBlocks: 3
; VGPRBlocks: 3
; NumSGPRsForWavesPerEU: 26
; NumVGPRsForWavesPerEU: 30
; Occupancy: 16
; WaveLimiterHint : 0
; COMPUTE_PGM_RSRC2:SCRATCH_EN: 0
; COMPUTE_PGM_RSRC2:USER_SGPR: 15
; COMPUTE_PGM_RSRC2:TRAP_HANDLER: 0
; COMPUTE_PGM_RSRC2:TGID_X_EN: 1
; COMPUTE_PGM_RSRC2:TGID_Y_EN: 0
; COMPUTE_PGM_RSRC2:TGID_Z_EN: 0
; COMPUTE_PGM_RSRC2:TIDIG_COMP_CNT: 2
	.section	.text._Z16sort_keys_kernelI22helper_blocked_stripedN15benchmark_utils11custom_typeIiiEELj256ELj3ELj10EEvPKT0_PS4_,"axG",@progbits,_Z16sort_keys_kernelI22helper_blocked_stripedN15benchmark_utils11custom_typeIiiEELj256ELj3ELj10EEvPKT0_PS4_,comdat
	.protected	_Z16sort_keys_kernelI22helper_blocked_stripedN15benchmark_utils11custom_typeIiiEELj256ELj3ELj10EEvPKT0_PS4_ ; -- Begin function _Z16sort_keys_kernelI22helper_blocked_stripedN15benchmark_utils11custom_typeIiiEELj256ELj3ELj10EEvPKT0_PS4_
	.globl	_Z16sort_keys_kernelI22helper_blocked_stripedN15benchmark_utils11custom_typeIiiEELj256ELj3ELj10EEvPKT0_PS4_
	.p2align	8
	.type	_Z16sort_keys_kernelI22helper_blocked_stripedN15benchmark_utils11custom_typeIiiEELj256ELj3ELj10EEvPKT0_PS4_,@function
_Z16sort_keys_kernelI22helper_blocked_stripedN15benchmark_utils11custom_typeIiiEELj256ELj3ELj10EEvPKT0_PS4_: ; @_Z16sort_keys_kernelI22helper_blocked_stripedN15benchmark_utils11custom_typeIiiEELj256ELj3ELj10EEvPKT0_PS4_
; %bb.0:
	s_clause 0x1
	s_load_b128 s[16:19], s[0:1], 0x0
	s_load_b32 s2, s[0:1], 0x1c
	s_mov_b32 s23, 0
	s_mul_i32 s22, s15, 0x300
	v_bfe_u32 v9, v0, 10, 10
	s_lshl_b64 s[20:21], s[22:23], 3
	s_mov_b32 s22, s23
	v_and_b32_e32 v8, 0x3ff, v0
	v_bfe_u32 v0, v0, 20, 10
	v_mbcnt_lo_u32_b32 v12, -1, 0
	s_mov_b32 s14, s23
	s_mov_b32 s15, s23
	v_mul_u32_u24_e32 v1, 3, v8
	s_delay_alu instid0(VALU_DEP_2) | instskip(NEXT) | instid1(VALU_DEP_2)
	v_cmp_eq_u32_e64 s8, 0, v12
	v_lshlrev_b32_e32 v7, 3, v1
	s_waitcnt lgkmcnt(0)
	s_add_u32 s0, s16, s20
	s_addc_u32 s1, s17, s21
	s_clause 0x2
	global_load_b64 v[5:6], v7, s[0:1] offset:16
	global_load_b128 v[1:4], v7, s[0:1]
	global_load_b64 v[1:2], v7, s[0:1]
	s_lshr_b32 s0, s2, 16
	s_delay_alu instid0(SALU_CYCLE_1)
	v_mad_u32_u24 v0, v0, s0, v9
	s_and_b32 s0, s2, 0xffff
	s_delay_alu instid0(VALU_DEP_1) | instid1(SALU_CYCLE_1)
	v_mad_u64_u32 v[9:10], null, v0, s0, v[8:9]
	v_and_b32_e32 v10, 15, v12
	s_delay_alu instid0(VALU_DEP_1) | instskip(NEXT) | instid1(VALU_DEP_3)
	v_cmp_eq_u32_e64 s0, 0, v10
	v_lshrrev_b32_e32 v23, 5, v9
	v_add_nc_u32_e32 v9, -1, v12
	v_cmp_lt_u32_e64 s1, 1, v10
	v_cmp_lt_u32_e64 s2, 3, v10
	;; [unrolled: 1-line block ×3, first 2 shown]
	s_delay_alu instid0(VALU_DEP_4) | instskip(SKIP_1) | instid1(VALU_DEP_1)
	v_cmp_gt_i32_e32 vcc_lo, 0, v9
	v_cndmask_b32_e32 v9, v9, v12, vcc_lo
	v_lshlrev_b32_e32 v24, 2, v9
	v_and_b32_e32 v9, 7, v12
	s_delay_alu instid0(VALU_DEP_1)
	v_cmp_eq_u32_e64 s10, 0, v9
	v_cmp_lt_u32_e64 s11, 1, v9
	v_cmp_lt_u32_e64 s12, 3, v9
	v_mov_b32_e32 v9, s22
	v_lshrrev_b32_e32 v7, 5, v8
	v_lshlrev_b32_e32 v19, 5, v8
	v_cmp_gt_u32_e64 s6, 8, v8
	v_cmp_lt_u32_e64 s7, 31, v8
	v_cmp_eq_u32_e64 s9, 0, v8
	v_mul_u32_u24_e32 v11, 0x60, v7
	v_lshlrev_b32_e32 v25, 2, v7
	v_mad_i32_i24 v26, 0xffffffe4, v8, v19
	v_add_nc_u32_e32 v22, 32, v19
	v_mov_b32_e32 v10, s23
	v_or_b32_e32 v0, v12, v11
	v_lshlrev_b32_e32 v13, 3, v11
	v_and_b32_e32 v11, 16, v12
	v_add_nc_u32_e32 v27, -4, v25
	s_delay_alu instid0(VALU_DEP_4) | instskip(SKIP_3) | instid1(VALU_DEP_3)
	v_lshlrev_b32_e32 v21, 3, v0
	v_and_b32_e32 v0, 0xe0, v8
	v_mad_u32_u24 v20, v12, 24, v13
	v_cmp_eq_u32_e64 s4, 0, v11
	v_or_b32_e32 v13, 31, v0
	v_mul_u32_u24_e32 v0, 3, v0
	s_delay_alu instid0(VALU_DEP_2) | instskip(NEXT) | instid1(VALU_DEP_2)
	v_cmp_eq_u32_e64 s5, v13, v8
	v_or_b32_e32 v0, v12, v0
	v_dual_mov_b32 v11, s14 :: v_dual_mov_b32 v12, s15
	s_delay_alu instid0(VALU_DEP_2) | instskip(SKIP_1) | instid1(VALU_DEP_1)
	v_lshlrev_b32_e32 v28, 3, v0
	v_lshlrev_b32_e32 v0, 2, v8
	v_add_nc_u32_e32 v29, v26, v0
	s_branch .LBB362_2
.LBB362_1:                              ;   in Loop: Header=BB362_2 Depth=1
	s_barrier
	buffer_gl0_inv
	ds_store_b64 v6, v[13:14]
	ds_store_b64 v7, v[17:18]
	;; [unrolled: 1-line block ×3, first 2 shown]
	s_waitcnt lgkmcnt(0)
	s_barrier
	buffer_gl0_inv
	ds_load_2addr_stride64_b64 v[1:4], v29 offset1:4
	ds_load_b64 v[5:6], v29 offset:4096
	s_add_i32 s23, s23, 1
	s_delay_alu instid0(SALU_CYCLE_1)
	s_cmp_eq_u32 s23, 10
	s_waitcnt lgkmcnt(1)
	v_xor_b32_e32 v1, 0x80000000, v1
	v_xor_b32_e32 v2, 0x80000000, v2
	;; [unrolled: 1-line block ×4, first 2 shown]
	s_waitcnt lgkmcnt(0)
	v_xor_b32_e32 v5, 0x80000000, v5
	v_xor_b32_e32 v6, 0x80000000, v6
	s_cbranch_scc1 .LBB362_18
.LBB362_2:                              ; =>This Loop Header: Depth=1
                                        ;     Child Loop BB362_4 Depth 2
	s_waitcnt vmcnt(0)
	v_xor_b32_e32 v2, 0x80000000, v2
	v_xor_b32_e32 v1, 0x80000000, v1
	;; [unrolled: 1-line block ×6, first 2 shown]
	ds_store_2addr_b64 v20, v[1:2], v[3:4] offset1:1
	ds_store_b64 v20, v[5:6] offset:16
	; wave barrier
	ds_load_2addr_b64 v[0:3], v21 offset1:32
	ds_load_b64 v[4:5], v21 offset:512
	s_mov_b32 s16, 8
	s_mov_b32 s17, 32
	s_mov_b32 s22, 0
	s_waitcnt lgkmcnt(0)
	s_barrier
	buffer_gl0_inv
	; wave barrier
	s_barrier
	s_branch .LBB362_4
.LBB362_3:                              ;   in Loop: Header=BB362_4 Depth=2
	s_barrier
	buffer_gl0_inv
	ds_store_b64 v6, v[13:14]
	ds_store_b64 v7, v[17:18]
	;; [unrolled: 1-line block ×3, first 2 shown]
	s_waitcnt lgkmcnt(0)
	s_barrier
	buffer_gl0_inv
	ds_load_2addr_b64 v[0:3], v28 offset1:32
	ds_load_b64 v[4:5], v28 offset:512
	s_add_i32 s17, s17, -8
	s_add_i32 s16, s16, 8
	s_add_i32 s22, s22, 8
	s_waitcnt lgkmcnt(0)
	s_barrier
	s_cbranch_execz .LBB362_1
.LBB362_4:                              ;   Parent Loop BB362_2 Depth=1
                                        ; =>  This Inner Loop Header: Depth=2
	s_min_i32 s14, s16, 32
	s_cmp_lt_u32 s22, 32
	v_dual_mov_b32 v14, v1 :: v_dual_mov_b32 v13, v0
	s_cselect_b32 vcc_lo, -1, 0
	s_cmp_gt_u32 s22, 24
	buffer_gl0_inv
	s_cselect_b32 s13, -1, 0
	s_sub_i32 s14, s14, 32
	v_lshrrev_b32_e32 v1, s22, v14
	s_add_i32 s15, s14, s17
	ds_store_2addr_b64 v19, v[9:10], v[11:12] offset0:4 offset1:5
	ds_store_2addr_b64 v22, v[9:10], v[11:12] offset0:2 offset1:3
	s_lshl_b32 s15, -1, s15
	s_waitcnt lgkmcnt(0)
	s_not_b32 s15, s15
	s_cmp_lg_u32 s14, s22
	s_barrier
	s_cselect_b32 s24, s15, -1
	s_max_i32 s25, s17, 0
	s_max_i32 s14, s22, 32
	v_and_b32_e32 v1, s24, v1
	s_sub_i32 s15, s14, s25
	s_sub_i32 s26, s14, 32
	;; [unrolled: 1-line block ×3, first 2 shown]
	v_lshrrev_b32_e32 v0, s26, v13
	s_min_i32 s14, s15, 32
	buffer_gl0_inv
	s_sub_i32 s14, s14, s26
	s_delay_alu instid0(SALU_CYCLE_1) | instskip(NEXT) | instid1(SALU_CYCLE_1)
	s_lshl_b32 s15, -1, s14
	; wave barrier
	s_not_b32 s15, s15
	s_cmp_lg_u32 s14, 32
	v_cndmask_b32_e32 v1, 0, v1, vcc_lo
	s_cselect_b32 s27, s15, -1
	s_delay_alu instid0(SALU_CYCLE_1) | instskip(NEXT) | instid1(VALU_DEP_1)
	v_and_b32_e32 v0, s27, v0
	v_lshlrev_b32_e32 v0, s25, v0
	s_delay_alu instid0(VALU_DEP_1) | instskip(NEXT) | instid1(VALU_DEP_1)
	v_cndmask_b32_e64 v0, 0, v0, s13
	v_or_b32_e32 v1, v1, v0
	s_delay_alu instid0(VALU_DEP_1)
	v_and_b32_e32 v0, 1, v1
	v_lshlrev_b32_e32 v6, 30, v1
	v_lshlrev_b32_e32 v7, 29, v1
	;; [unrolled: 1-line block ×4, first 2 shown]
	v_add_co_u32 v0, s14, v0, -1
	s_delay_alu instid0(VALU_DEP_1)
	v_cndmask_b32_e64 v16, 0, 1, s14
	v_not_b32_e32 v31, v6
	v_cmp_gt_i32_e64 s15, 0, v6
	v_not_b32_e32 v6, v7
	v_lshlrev_b32_e32 v18, 26, v1
	v_cmp_ne_u32_e64 s14, 0, v16
	v_ashrrev_i32_e32 v31, 31, v31
	v_lshlrev_b32_e32 v30, 25, v1
	v_ashrrev_i32_e32 v6, 31, v6
	v_lshlrev_b32_e32 v16, 24, v1
	v_xor_b32_e32 v0, s14, v0
	v_cmp_gt_i32_e64 s14, 0, v7
	v_not_b32_e32 v7, v15
	v_xor_b32_e32 v31, s15, v31
	v_cmp_gt_i32_e64 s15, 0, v15
	v_and_b32_e32 v0, exec_lo, v0
	v_not_b32_e32 v15, v17
	v_ashrrev_i32_e32 v7, 31, v7
	v_xor_b32_e32 v6, s14, v6
	v_cmp_gt_i32_e64 s14, 0, v17
	v_and_b32_e32 v0, v0, v31
	v_not_b32_e32 v17, v18
	v_ashrrev_i32_e32 v15, 31, v15
	v_xor_b32_e32 v7, s15, v7
	v_cmp_gt_i32_e64 s15, 0, v18
	v_and_b32_e32 v0, v0, v6
	;; [unrolled: 5-line block ×4, first 2 shown]
	v_mov_b32_e32 v16, v5
	v_ashrrev_i32_e32 v7, 31, v7
	v_xor_b32_e32 v6, s14, v6
	v_lshl_add_u32 v1, v1, 3, v23
	v_and_b32_e32 v0, v0, v17
	v_mov_b32_e32 v18, v3
	v_xor_b32_e32 v7, s15, v7
	v_mov_b32_e32 v17, v2
	v_mov_b32_e32 v15, v4
	v_and_b32_e32 v0, v0, v6
	v_lshl_add_u32 v31, v1, 2, 32
	s_delay_alu instid0(VALU_DEP_2) | instskip(NEXT) | instid1(VALU_DEP_1)
	v_and_b32_e32 v0, v0, v7
	v_mbcnt_lo_u32_b32 v30, v0, 0
	v_cmp_ne_u32_e64 s15, 0, v0
	s_delay_alu instid0(VALU_DEP_2) | instskip(NEXT) | instid1(VALU_DEP_1)
	v_cmp_eq_u32_e64 s14, 0, v30
	s_and_b32 s15, s14, s15
	s_delay_alu instid0(SALU_CYCLE_1)
	s_and_saveexec_b32 s14, s15
	s_cbranch_execz .LBB362_6
; %bb.5:                                ;   in Loop: Header=BB362_4 Depth=2
	v_bcnt_u32_b32 v0, v0, 0
	ds_store_b32 v31, v0
.LBB362_6:                              ;   in Loop: Header=BB362_4 Depth=2
	s_or_b32 exec_lo, exec_lo, s14
	v_lshrrev_b32_e32 v0, s26, v17
	v_lshrrev_b32_e32 v1, s22, v18
	; wave barrier
	s_delay_alu instid0(VALU_DEP_1) | instskip(NEXT) | instid1(VALU_DEP_1)
	v_and_b32_e32 v1, s24, v1
	v_dual_cndmask_b32 v1, 0, v1 :: v_dual_and_b32 v0, s27, v0
	s_delay_alu instid0(VALU_DEP_1) | instskip(NEXT) | instid1(VALU_DEP_1)
	v_lshlrev_b32_e32 v0, s25, v0
	v_cndmask_b32_e64 v0, 0, v0, s13
	s_delay_alu instid0(VALU_DEP_1) | instskip(NEXT) | instid1(VALU_DEP_1)
	v_or_b32_e32 v0, v1, v0
	v_and_b32_e32 v1, 1, v0
	v_lshlrev_b32_e32 v2, 30, v0
	v_lshlrev_b32_e32 v3, 29, v0
	;; [unrolled: 1-line block ×4, first 2 shown]
	v_add_co_u32 v1, s14, v1, -1
	s_delay_alu instid0(VALU_DEP_1)
	v_cndmask_b32_e64 v5, 0, 1, s14
	v_not_b32_e32 v33, v2
	v_cmp_gt_i32_e64 s15, 0, v2
	v_not_b32_e32 v2, v3
	v_lshlrev_b32_e32 v7, 26, v0
	v_cmp_ne_u32_e64 s14, 0, v5
	v_ashrrev_i32_e32 v33, 31, v33
	v_lshlrev_b32_e32 v32, 25, v0
	v_ashrrev_i32_e32 v2, 31, v2
	v_lshlrev_b32_e32 v5, 24, v0
	v_xor_b32_e32 v1, s14, v1
	v_cmp_gt_i32_e64 s14, 0, v3
	v_not_b32_e32 v3, v4
	v_xor_b32_e32 v33, s15, v33
	v_cmp_gt_i32_e64 s15, 0, v4
	v_and_b32_e32 v1, exec_lo, v1
	v_not_b32_e32 v4, v6
	v_ashrrev_i32_e32 v3, 31, v3
	v_xor_b32_e32 v2, s14, v2
	v_cmp_gt_i32_e64 s14, 0, v6
	v_and_b32_e32 v1, v1, v33
	v_not_b32_e32 v6, v7
	v_ashrrev_i32_e32 v4, 31, v4
	v_xor_b32_e32 v3, s15, v3
	v_cmp_gt_i32_e64 s15, 0, v7
	v_and_b32_e32 v1, v1, v2
	;; [unrolled: 5-line block ×3, first 2 shown]
	v_not_b32_e32 v3, v5
	v_ashrrev_i32_e32 v2, 31, v2
	v_xor_b32_e32 v6, s15, v6
	v_lshlrev_b32_e32 v0, 3, v0
	v_and_b32_e32 v1, v1, v4
	v_cmp_gt_i32_e64 s15, 0, v5
	v_ashrrev_i32_e32 v3, 31, v3
	v_xor_b32_e32 v2, s14, v2
	v_add_lshl_u32 v4, v0, v23, 2
	v_and_b32_e32 v1, v1, v6
	s_delay_alu instid0(VALU_DEP_4) | instskip(SKIP_3) | instid1(VALU_DEP_2)
	v_xor_b32_e32 v0, s15, v3
	ds_load_b32 v32, v4 offset:32
	v_and_b32_e32 v1, v1, v2
	v_add_nc_u32_e32 v34, 32, v4
	; wave barrier
	v_and_b32_e32 v0, v1, v0
	s_delay_alu instid0(VALU_DEP_1) | instskip(SKIP_1) | instid1(VALU_DEP_2)
	v_mbcnt_lo_u32_b32 v33, v0, 0
	v_cmp_ne_u32_e64 s15, 0, v0
	v_cmp_eq_u32_e64 s14, 0, v33
	s_delay_alu instid0(VALU_DEP_1) | instskip(NEXT) | instid1(SALU_CYCLE_1)
	s_and_b32 s15, s14, s15
	s_and_saveexec_b32 s14, s15
	s_cbranch_execz .LBB362_8
; %bb.7:                                ;   in Loop: Header=BB362_4 Depth=2
	s_waitcnt lgkmcnt(0)
	v_bcnt_u32_b32 v0, v0, v32
	ds_store_b32 v34, v0
.LBB362_8:                              ;   in Loop: Header=BB362_4 Depth=2
	s_or_b32 exec_lo, exec_lo, s14
	v_lshrrev_b32_e32 v0, s26, v15
	v_lshrrev_b32_e32 v1, s22, v16
	; wave barrier
	s_delay_alu instid0(VALU_DEP_1) | instskip(NEXT) | instid1(VALU_DEP_1)
	v_and_b32_e32 v1, s24, v1
	v_dual_cndmask_b32 v1, 0, v1 :: v_dual_and_b32 v0, s27, v0
	s_delay_alu instid0(VALU_DEP_1) | instskip(NEXT) | instid1(VALU_DEP_1)
	v_lshlrev_b32_e32 v0, s25, v0
	v_cndmask_b32_e64 v0, 0, v0, s13
	s_delay_alu instid0(VALU_DEP_1) | instskip(NEXT) | instid1(VALU_DEP_1)
	v_or_b32_e32 v0, v1, v0
	v_and_b32_e32 v1, 1, v0
	v_lshlrev_b32_e32 v2, 30, v0
	v_lshlrev_b32_e32 v3, 29, v0
	;; [unrolled: 1-line block ×4, first 2 shown]
	v_add_co_u32 v1, s13, v1, -1
	s_delay_alu instid0(VALU_DEP_1)
	v_cndmask_b32_e64 v5, 0, 1, s13
	v_not_b32_e32 v36, v2
	v_cmp_gt_i32_e64 s13, 0, v2
	v_not_b32_e32 v2, v3
	v_lshlrev_b32_e32 v7, 26, v0
	v_cmp_ne_u32_e32 vcc_lo, 0, v5
	v_ashrrev_i32_e32 v36, 31, v36
	v_lshlrev_b32_e32 v35, 25, v0
	v_ashrrev_i32_e32 v2, 31, v2
	v_lshlrev_b32_e32 v5, 24, v0
	v_xor_b32_e32 v1, vcc_lo, v1
	v_cmp_gt_i32_e32 vcc_lo, 0, v3
	v_not_b32_e32 v3, v4
	v_xor_b32_e32 v36, s13, v36
	v_cmp_gt_i32_e64 s13, 0, v4
	v_and_b32_e32 v1, exec_lo, v1
	v_not_b32_e32 v4, v6
	v_ashrrev_i32_e32 v3, 31, v3
	v_xor_b32_e32 v2, vcc_lo, v2
	v_cmp_gt_i32_e32 vcc_lo, 0, v6
	v_and_b32_e32 v1, v1, v36
	v_not_b32_e32 v6, v7
	v_ashrrev_i32_e32 v4, 31, v4
	v_xor_b32_e32 v3, s13, v3
	v_cmp_gt_i32_e64 s13, 0, v7
	v_and_b32_e32 v1, v1, v2
	v_not_b32_e32 v2, v35
	v_ashrrev_i32_e32 v6, 31, v6
	v_xor_b32_e32 v4, vcc_lo, v4
	v_cmp_gt_i32_e32 vcc_lo, 0, v35
	v_and_b32_e32 v1, v1, v3
	v_not_b32_e32 v3, v5
	v_ashrrev_i32_e32 v2, 31, v2
	v_xor_b32_e32 v6, s13, v6
	v_lshlrev_b32_e32 v0, 3, v0
	v_and_b32_e32 v1, v1, v4
	v_cmp_gt_i32_e64 s13, 0, v5
	v_ashrrev_i32_e32 v3, 31, v3
	v_xor_b32_e32 v2, vcc_lo, v2
	v_add_lshl_u32 v4, v0, v23, 2
	v_and_b32_e32 v1, v1, v6
	s_delay_alu instid0(VALU_DEP_4) | instskip(SKIP_3) | instid1(VALU_DEP_2)
	v_xor_b32_e32 v0, s13, v3
	ds_load_b32 v35, v4 offset:32
	v_and_b32_e32 v1, v1, v2
	v_add_nc_u32_e32 v37, 32, v4
	; wave barrier
	v_and_b32_e32 v0, v1, v0
	s_delay_alu instid0(VALU_DEP_1) | instskip(SKIP_1) | instid1(VALU_DEP_2)
	v_mbcnt_lo_u32_b32 v36, v0, 0
	v_cmp_ne_u32_e64 s13, 0, v0
	v_cmp_eq_u32_e32 vcc_lo, 0, v36
	s_delay_alu instid0(VALU_DEP_2) | instskip(NEXT) | instid1(SALU_CYCLE_1)
	s_and_b32 s14, vcc_lo, s13
	s_and_saveexec_b32 s13, s14
	s_cbranch_execz .LBB362_10
; %bb.9:                                ;   in Loop: Header=BB362_4 Depth=2
	s_waitcnt lgkmcnt(0)
	v_bcnt_u32_b32 v0, v0, v35
	ds_store_b32 v37, v0
.LBB362_10:                             ;   in Loop: Header=BB362_4 Depth=2
	s_or_b32 exec_lo, exec_lo, s13
	; wave barrier
	s_waitcnt lgkmcnt(0)
	s_barrier
	buffer_gl0_inv
	ds_load_2addr_b64 v[4:7], v19 offset0:4 offset1:5
	ds_load_2addr_b64 v[0:3], v22 offset0:2 offset1:3
	s_waitcnt lgkmcnt(1)
	v_add_nc_u32_e32 v38, v5, v4
	s_delay_alu instid0(VALU_DEP_1) | instskip(SKIP_1) | instid1(VALU_DEP_1)
	v_add3_u32 v38, v38, v6, v7
	s_waitcnt lgkmcnt(0)
	v_add3_u32 v38, v38, v0, v1
	s_delay_alu instid0(VALU_DEP_1) | instskip(NEXT) | instid1(VALU_DEP_1)
	v_add3_u32 v3, v38, v2, v3
	v_mov_b32_dpp v38, v3 row_shr:1 row_mask:0xf bank_mask:0xf
	s_delay_alu instid0(VALU_DEP_1) | instskip(NEXT) | instid1(VALU_DEP_1)
	v_cndmask_b32_e64 v38, v38, 0, s0
	v_add_nc_u32_e32 v3, v38, v3
	s_delay_alu instid0(VALU_DEP_1) | instskip(NEXT) | instid1(VALU_DEP_1)
	v_mov_b32_dpp v38, v3 row_shr:2 row_mask:0xf bank_mask:0xf
	v_cndmask_b32_e64 v38, 0, v38, s1
	s_delay_alu instid0(VALU_DEP_1) | instskip(NEXT) | instid1(VALU_DEP_1)
	v_add_nc_u32_e32 v3, v3, v38
	v_mov_b32_dpp v38, v3 row_shr:4 row_mask:0xf bank_mask:0xf
	s_delay_alu instid0(VALU_DEP_1) | instskip(NEXT) | instid1(VALU_DEP_1)
	v_cndmask_b32_e64 v38, 0, v38, s2
	v_add_nc_u32_e32 v3, v3, v38
	s_delay_alu instid0(VALU_DEP_1) | instskip(NEXT) | instid1(VALU_DEP_1)
	v_mov_b32_dpp v38, v3 row_shr:8 row_mask:0xf bank_mask:0xf
	v_cndmask_b32_e64 v38, 0, v38, s3
	s_delay_alu instid0(VALU_DEP_1) | instskip(SKIP_3) | instid1(VALU_DEP_1)
	v_add_nc_u32_e32 v3, v3, v38
	ds_swizzle_b32 v38, v3 offset:swizzle(BROADCAST,32,15)
	s_waitcnt lgkmcnt(0)
	v_cndmask_b32_e64 v38, v38, 0, s4
	v_add_nc_u32_e32 v3, v3, v38
	s_and_saveexec_b32 s13, s5
	s_cbranch_execz .LBB362_12
; %bb.11:                               ;   in Loop: Header=BB362_4 Depth=2
	ds_store_b32 v25, v3
.LBB362_12:                             ;   in Loop: Header=BB362_4 Depth=2
	s_or_b32 exec_lo, exec_lo, s13
	s_waitcnt lgkmcnt(0)
	s_barrier
	buffer_gl0_inv
	s_and_saveexec_b32 s13, s6
	s_cbranch_execz .LBB362_14
; %bb.13:                               ;   in Loop: Header=BB362_4 Depth=2
	ds_load_b32 v38, v26
	s_waitcnt lgkmcnt(0)
	v_mov_b32_dpp v39, v38 row_shr:1 row_mask:0xf bank_mask:0xf
	s_delay_alu instid0(VALU_DEP_1) | instskip(NEXT) | instid1(VALU_DEP_1)
	v_cndmask_b32_e64 v39, v39, 0, s10
	v_add_nc_u32_e32 v38, v39, v38
	s_delay_alu instid0(VALU_DEP_1) | instskip(NEXT) | instid1(VALU_DEP_1)
	v_mov_b32_dpp v39, v38 row_shr:2 row_mask:0xf bank_mask:0xf
	v_cndmask_b32_e64 v39, 0, v39, s11
	s_delay_alu instid0(VALU_DEP_1) | instskip(NEXT) | instid1(VALU_DEP_1)
	v_add_nc_u32_e32 v38, v38, v39
	v_mov_b32_dpp v39, v38 row_shr:4 row_mask:0xf bank_mask:0xf
	s_delay_alu instid0(VALU_DEP_1) | instskip(NEXT) | instid1(VALU_DEP_1)
	v_cndmask_b32_e64 v39, 0, v39, s12
	v_add_nc_u32_e32 v38, v38, v39
	ds_store_b32 v26, v38
.LBB362_14:                             ;   in Loop: Header=BB362_4 Depth=2
	s_or_b32 exec_lo, exec_lo, s13
	v_mov_b32_e32 v38, 0
	s_waitcnt lgkmcnt(0)
	s_barrier
	buffer_gl0_inv
	s_and_saveexec_b32 s13, s7
	s_cbranch_execz .LBB362_16
; %bb.15:                               ;   in Loop: Header=BB362_4 Depth=2
	ds_load_b32 v38, v27
.LBB362_16:                             ;   in Loop: Header=BB362_4 Depth=2
	s_or_b32 exec_lo, exec_lo, s13
	s_waitcnt lgkmcnt(0)
	v_add_nc_u32_e32 v3, v38, v3
	s_cmp_gt_u32 s22, 55
	ds_bpermute_b32 v3, v24, v3
	s_waitcnt lgkmcnt(0)
	v_cndmask_b32_e64 v3, v3, v38, s8
	s_delay_alu instid0(VALU_DEP_1) | instskip(NEXT) | instid1(VALU_DEP_1)
	v_cndmask_b32_e64 v3, v3, 0, s9
	v_add_nc_u32_e32 v4, v3, v4
	s_delay_alu instid0(VALU_DEP_1) | instskip(NEXT) | instid1(VALU_DEP_1)
	v_add_nc_u32_e32 v5, v4, v5
	v_add_nc_u32_e32 v6, v5, v6
	s_delay_alu instid0(VALU_DEP_1) | instskip(NEXT) | instid1(VALU_DEP_1)
	v_add_nc_u32_e32 v38, v6, v7
	;; [unrolled: 3-line block ×3, first 2 shown]
	v_add_nc_u32_e32 v1, v0, v2
	ds_store_2addr_b64 v19, v[3:4], v[5:6] offset0:4 offset1:5
	ds_store_2addr_b64 v22, v[38:39], v[0:1] offset0:2 offset1:3
	s_waitcnt lgkmcnt(0)
	s_barrier
	buffer_gl0_inv
	ds_load_b32 v0, v34
	ds_load_b32 v1, v37
	;; [unrolled: 1-line block ×3, first 2 shown]
	v_lshlrev_b32_e32 v3, 3, v30
	v_lshlrev_b32_e32 v4, 3, v33
	;; [unrolled: 1-line block ×5, first 2 shown]
	s_waitcnt lgkmcnt(0)
	v_lshlrev_b32_e32 v0, 3, v0
	v_lshlrev_b32_e32 v1, 3, v1
	v_lshl_add_u32 v6, v2, 3, v3
	s_delay_alu instid0(VALU_DEP_3) | instskip(NEXT) | instid1(VALU_DEP_3)
	v_add3_u32 v7, v4, v5, v0
	v_add3_u32 v30, v30, v31, v1
	s_cbranch_scc0 .LBB362_3
; %bb.17:                               ;   in Loop: Header=BB362_2 Depth=1
                                        ; implicit-def: $sgpr22
                                        ; implicit-def: $vgpr0_vgpr1
                                        ; implicit-def: $vgpr4_vgpr5
                                        ; implicit-def: $sgpr17
                                        ; implicit-def: $sgpr16
	s_branch .LBB362_1
.LBB362_18:
	v_lshlrev_b32_e32 v0, 3, v8
	s_add_u32 s0, s18, s20
	s_addc_u32 s1, s19, s21
	s_delay_alu instid0(VALU_DEP_1) | instskip(NEXT) | instid1(VALU_DEP_1)
	v_add_co_u32 v7, s2, s0, v0
	v_add_co_ci_u32_e64 v8, null, s1, 0, s2
	s_delay_alu instid0(VALU_DEP_2) | instskip(NEXT) | instid1(VALU_DEP_2)
	v_add_co_u32 v7, vcc_lo, 0x1000, v7
	v_add_co_ci_u32_e32 v8, vcc_lo, 0, v8, vcc_lo
	s_clause 0x2
	global_store_b64 v0, v[1:2], s[0:1]
	global_store_b64 v0, v[3:4], s[0:1] offset:2048
	global_store_b64 v[7:8], v[5:6], off
	s_nop 0
	s_sendmsg sendmsg(MSG_DEALLOC_VGPRS)
	s_endpgm
	.section	.rodata,"a",@progbits
	.p2align	6, 0x0
	.amdhsa_kernel _Z16sort_keys_kernelI22helper_blocked_stripedN15benchmark_utils11custom_typeIiiEELj256ELj3ELj10EEvPKT0_PS4_
		.amdhsa_group_segment_fixed_size 8224
		.amdhsa_private_segment_fixed_size 0
		.amdhsa_kernarg_size 272
		.amdhsa_user_sgpr_count 15
		.amdhsa_user_sgpr_dispatch_ptr 0
		.amdhsa_user_sgpr_queue_ptr 0
		.amdhsa_user_sgpr_kernarg_segment_ptr 1
		.amdhsa_user_sgpr_dispatch_id 0
		.amdhsa_user_sgpr_private_segment_size 0
		.amdhsa_wavefront_size32 1
		.amdhsa_uses_dynamic_stack 0
		.amdhsa_enable_private_segment 0
		.amdhsa_system_sgpr_workgroup_id_x 1
		.amdhsa_system_sgpr_workgroup_id_y 0
		.amdhsa_system_sgpr_workgroup_id_z 0
		.amdhsa_system_sgpr_workgroup_info 0
		.amdhsa_system_vgpr_workitem_id 2
		.amdhsa_next_free_vgpr 40
		.amdhsa_next_free_sgpr 28
		.amdhsa_reserve_vcc 1
		.amdhsa_float_round_mode_32 0
		.amdhsa_float_round_mode_16_64 0
		.amdhsa_float_denorm_mode_32 3
		.amdhsa_float_denorm_mode_16_64 3
		.amdhsa_dx10_clamp 1
		.amdhsa_ieee_mode 1
		.amdhsa_fp16_overflow 0
		.amdhsa_workgroup_processor_mode 1
		.amdhsa_memory_ordered 1
		.amdhsa_forward_progress 0
		.amdhsa_shared_vgpr_count 0
		.amdhsa_exception_fp_ieee_invalid_op 0
		.amdhsa_exception_fp_denorm_src 0
		.amdhsa_exception_fp_ieee_div_zero 0
		.amdhsa_exception_fp_ieee_overflow 0
		.amdhsa_exception_fp_ieee_underflow 0
		.amdhsa_exception_fp_ieee_inexact 0
		.amdhsa_exception_int_div_zero 0
	.end_amdhsa_kernel
	.section	.text._Z16sort_keys_kernelI22helper_blocked_stripedN15benchmark_utils11custom_typeIiiEELj256ELj3ELj10EEvPKT0_PS4_,"axG",@progbits,_Z16sort_keys_kernelI22helper_blocked_stripedN15benchmark_utils11custom_typeIiiEELj256ELj3ELj10EEvPKT0_PS4_,comdat
.Lfunc_end362:
	.size	_Z16sort_keys_kernelI22helper_blocked_stripedN15benchmark_utils11custom_typeIiiEELj256ELj3ELj10EEvPKT0_PS4_, .Lfunc_end362-_Z16sort_keys_kernelI22helper_blocked_stripedN15benchmark_utils11custom_typeIiiEELj256ELj3ELj10EEvPKT0_PS4_
                                        ; -- End function
	.section	.AMDGPU.csdata,"",@progbits
; Kernel info:
; codeLenInByte = 2744
; NumSgprs: 30
; NumVgprs: 40
; ScratchSize: 0
; MemoryBound: 0
; FloatMode: 240
; IeeeMode: 1
; LDSByteSize: 8224 bytes/workgroup (compile time only)
; SGPRBlocks: 3
; VGPRBlocks: 4
; NumSGPRsForWavesPerEU: 30
; NumVGPRsForWavesPerEU: 40
; Occupancy: 16
; WaveLimiterHint : 1
; COMPUTE_PGM_RSRC2:SCRATCH_EN: 0
; COMPUTE_PGM_RSRC2:USER_SGPR: 15
; COMPUTE_PGM_RSRC2:TRAP_HANDLER: 0
; COMPUTE_PGM_RSRC2:TGID_X_EN: 1
; COMPUTE_PGM_RSRC2:TGID_Y_EN: 0
; COMPUTE_PGM_RSRC2:TGID_Z_EN: 0
; COMPUTE_PGM_RSRC2:TIDIG_COMP_CNT: 2
	.section	.text._Z17sort_pairs_kernelI22helper_blocked_stripedN15benchmark_utils11custom_typeIiiEELj256ELj3ELj10EEvPKT0_PS4_,"axG",@progbits,_Z17sort_pairs_kernelI22helper_blocked_stripedN15benchmark_utils11custom_typeIiiEELj256ELj3ELj10EEvPKT0_PS4_,comdat
	.protected	_Z17sort_pairs_kernelI22helper_blocked_stripedN15benchmark_utils11custom_typeIiiEELj256ELj3ELj10EEvPKT0_PS4_ ; -- Begin function _Z17sort_pairs_kernelI22helper_blocked_stripedN15benchmark_utils11custom_typeIiiEELj256ELj3ELj10EEvPKT0_PS4_
	.globl	_Z17sort_pairs_kernelI22helper_blocked_stripedN15benchmark_utils11custom_typeIiiEELj256ELj3ELj10EEvPKT0_PS4_
	.p2align	8
	.type	_Z17sort_pairs_kernelI22helper_blocked_stripedN15benchmark_utils11custom_typeIiiEELj256ELj3ELj10EEvPKT0_PS4_,@function
_Z17sort_pairs_kernelI22helper_blocked_stripedN15benchmark_utils11custom_typeIiiEELj256ELj3ELj10EEvPKT0_PS4_: ; @_Z17sort_pairs_kernelI22helper_blocked_stripedN15benchmark_utils11custom_typeIiiEELj256ELj3ELj10EEvPKT0_PS4_
; %bb.0:
	s_clause 0x1
	s_load_b128 s[16:19], s[0:1], 0x0
	s_load_b32 s12, s[0:1], 0x1c
	s_mov_b32 s23, 0
	s_mul_i32 s22, s15, 0x300
	v_mbcnt_lo_u32_b32 v7, -1, 0
	s_lshl_b64 s[20:21], s[22:23], 3
	s_mov_b32 s22, s23
	s_delay_alu instid0(SALU_CYCLE_1) | instskip(NEXT) | instid1(VALU_DEP_2)
	v_dual_mov_b32 v10, s22 :: v_dual_and_b32 v9, 0x3ff, v0
	v_add_nc_u32_e32 v12, -1, v7
	s_mov_b32 s14, s23
	s_mov_b32 s15, s23
	s_delay_alu instid0(VALU_DEP_2) | instskip(SKIP_3) | instid1(VALU_DEP_4)
	v_mul_u32_u24_e32 v1, 3, v9
	v_and_b32_e32 v8, 16, v7
	v_cmp_gt_i32_e32 vcc_lo, 0, v12
	v_dual_mov_b32 v11, s23 :: v_dual_and_b32 v6, 15, v7
	v_lshlrev_b32_e32 v5, 3, v1
	s_delay_alu instid0(VALU_DEP_4)
	v_cmp_eq_u32_e64 s5, 0, v8
	v_cndmask_b32_e32 v8, v12, v7, vcc_lo
	s_waitcnt lgkmcnt(0)
	s_add_u32 s0, s16, s20
	s_addc_u32 s1, s17, s21
	v_and_b32_e32 v13, 7, v7
	s_clause 0x1
	global_load_b128 v[1:4], v5, s[0:1]
	global_load_b64 v[14:15], v5, s[0:1] offset:16
	v_bfe_u32 v5, v0, 10, 10
	v_bfe_u32 v0, v0, 20, 10
	v_lshrrev_b32_e32 v16, 5, v9
	v_cmp_eq_u32_e64 s1, 0, v6
	v_cmp_lt_u32_e64 s2, 1, v6
	v_cmp_lt_u32_e64 s3, 3, v6
	;; [unrolled: 1-line block ×3, first 2 shown]
	v_and_b32_e32 v6, 0xe0, v9
	s_lshr_b32 s13, s12, 16
	v_lshlrev_b32_e32 v30, 5, v9
	v_mad_u32_u24 v0, v0, s13, v5
	v_cmp_eq_u32_e64 s9, 0, v13
	v_cmp_lt_u32_e64 s10, 1, v13
	v_cmp_lt_u32_e64 s11, 3, v13
	v_mul_u32_u24_e32 v13, 0x60, v16
	v_lshlrev_b32_e32 v32, 2, v8
	v_mul_u32_u24_e32 v8, 3, v6
	s_and_b32 s12, s12, 0xffff
	v_or_b32_e32 v17, 31, v6
	v_mad_u64_u32 v[5:6], null, v0, s12, v[9:10]
	v_lshlrev_b32_e32 v12, 2, v9
	v_lshlrev_b32_e32 v33, 2, v16
	v_mad_i32_i24 v34, 0xffffffe4, v9, v30
	v_lshlrev_b32_e32 v16, 3, v13
	v_or_b32_e32 v13, v7, v13
	v_or_b32_e32 v0, v7, v8
	v_add_nc_u32_e32 v31, 32, v30
	v_add_nc_u32_e32 v36, v34, v12
	v_cmp_eq_u32_e64 s0, 0, v7
	v_lshlrev_b32_e32 v38, 3, v13
	v_mov_b32_e32 v12, s14
	v_cmp_gt_u32_e64 s6, 8, v9
	v_cmp_lt_u32_e64 s7, 31, v9
	v_cmp_eq_u32_e64 s8, 0, v9
	v_cmp_eq_u32_e64 s12, v17, v9
	v_add_nc_u32_e32 v35, -4, v33
	v_mad_u32_u24 v37, v7, 24, v16
	v_lshlrev_b32_e32 v39, 3, v0
	v_lshrrev_b32_e32 v40, 5, v5
	s_waitcnt vmcnt(1)
	v_dual_mov_b32 v13, s15 :: v_dual_add_nc_u32 v6, 1, v2
	v_add_nc_u32_e32 v5, 1, v1
	v_add_nc_u32_e32 v8, 1, v4
	;; [unrolled: 1-line block ×3, first 2 shown]
	s_waitcnt vmcnt(0)
	v_add_nc_u32_e32 v17, 1, v15
	v_add_nc_u32_e32 v16, 1, v14
	s_branch .LBB363_2
.LBB363_1:                              ;   in Loop: Header=BB363_2 Depth=1
	s_barrier
	buffer_gl0_inv
	ds_store_b64 v8, v[14:15]
	ds_store_b64 v41, v[24:25]
	;; [unrolled: 1-line block ×3, first 2 shown]
	s_waitcnt lgkmcnt(0)
	s_barrier
	buffer_gl0_inv
	ds_load_2addr_stride64_b64 v[1:4], v36 offset1:4
	ds_load_b64 v[14:15], v36 offset:4096
	s_waitcnt lgkmcnt(0)
	s_barrier
	buffer_gl0_inv
	ds_store_b64 v8, v[18:19]
	ds_store_b64 v41, v[16:17]
	;; [unrolled: 1-line block ×3, first 2 shown]
	s_waitcnt lgkmcnt(0)
	s_barrier
	buffer_gl0_inv
	ds_load_2addr_stride64_b64 v[5:8], v36 offset1:4
	ds_load_b64 v[16:17], v36 offset:4096
	s_add_i32 s23, s23, 1
	s_delay_alu instid0(SALU_CYCLE_1)
	s_cmp_lg_u32 s23, 10
	v_xor_b32_e32 v1, 0x80000000, v1
	v_xor_b32_e32 v2, 0x80000000, v2
	;; [unrolled: 1-line block ×6, first 2 shown]
	s_cbranch_scc0 .LBB363_18
.LBB363_2:                              ; =>This Loop Header: Depth=1
                                        ;     Child Loop BB363_4 Depth 2
	v_xor_b32_e32 v2, 0x80000000, v2
	v_xor_b32_e32 v1, 0x80000000, v1
	;; [unrolled: 1-line block ×6, first 2 shown]
	ds_store_2addr_b64 v37, v[1:2], v[3:4] offset1:1
	ds_store_b64 v37, v[14:15] offset:16
	; wave barrier
	ds_load_2addr_b64 v[0:3], v38 offset1:32
	ds_load_b64 v[26:27], v38 offset:512
	; wave barrier
	s_waitcnt lgkmcnt(5)
	ds_store_2addr_b64 v37, v[5:6], v[7:8] offset1:1
	s_waitcnt lgkmcnt(5)
	ds_store_b64 v37, v[16:17] offset:16
	; wave barrier
	ds_load_2addr_b64 v[4:7], v38 offset1:32
	ds_load_b64 v[28:29], v38 offset:512
	s_mov_b32 s16, 8
	s_mov_b32 s17, 32
	;; [unrolled: 1-line block ×3, first 2 shown]
	s_waitcnt lgkmcnt(0)
	s_barrier
	s_branch .LBB363_4
.LBB363_3:                              ;   in Loop: Header=BB363_4 Depth=2
	s_barrier
	buffer_gl0_inv
	ds_store_b64 v8, v[14:15]
	ds_store_b64 v41, v[24:25]
	;; [unrolled: 1-line block ×3, first 2 shown]
	s_waitcnt lgkmcnt(0)
	s_barrier
	buffer_gl0_inv
	ds_load_2addr_b64 v[0:3], v39 offset1:32
	ds_load_b64 v[26:27], v39 offset:512
	s_waitcnt lgkmcnt(0)
	s_barrier
	buffer_gl0_inv
	ds_store_b64 v8, v[18:19]
	ds_store_b64 v41, v[16:17]
	ds_store_b64 v42, v[20:21]
	s_waitcnt lgkmcnt(0)
	s_barrier
	buffer_gl0_inv
	ds_load_2addr_b64 v[4:7], v39 offset1:32
	ds_load_b64 v[28:29], v39 offset:512
	s_add_i32 s17, s17, -8
	s_add_i32 s16, s16, 8
	s_add_i32 s22, s22, 8
	s_waitcnt lgkmcnt(0)
	s_barrier
	s_cbranch_execz .LBB363_1
.LBB363_4:                              ;   Parent Loop BB363_2 Depth=1
                                        ; =>  This Inner Loop Header: Depth=2
	s_min_i32 s14, s16, 32
	s_cmp_lt_u32 s22, 32
	v_dual_mov_b32 v15, v1 :: v_dual_mov_b32 v14, v0
	s_cselect_b32 vcc_lo, -1, 0
	s_cmp_gt_u32 s22, 24
	buffer_gl0_inv
	s_cselect_b32 s13, -1, 0
	s_sub_i32 s14, s14, 32
	v_lshrrev_b32_e32 v1, s22, v15
	s_add_i32 s15, s14, s17
	ds_store_2addr_b64 v30, v[10:11], v[12:13] offset0:4 offset1:5
	ds_store_2addr_b64 v31, v[10:11], v[12:13] offset0:2 offset1:3
	s_lshl_b32 s15, -1, s15
	s_waitcnt lgkmcnt(0)
	s_not_b32 s15, s15
	s_cmp_lg_u32 s14, s22
	s_barrier
	s_cselect_b32 s24, s15, -1
	s_max_i32 s25, s17, 0
	s_max_i32 s14, s22, 32
	v_and_b32_e32 v1, s24, v1
	s_sub_i32 s15, s14, s25
	s_sub_i32 s26, s14, 32
	;; [unrolled: 1-line block ×3, first 2 shown]
	v_lshrrev_b32_e32 v0, s26, v14
	s_min_i32 s14, s15, 32
	buffer_gl0_inv
	s_sub_i32 s14, s14, s26
	s_delay_alu instid0(SALU_CYCLE_1) | instskip(NEXT) | instid1(SALU_CYCLE_1)
	s_lshl_b32 s15, -1, s14
	; wave barrier
	s_not_b32 s15, s15
	s_cmp_lg_u32 s14, 32
	v_cndmask_b32_e32 v1, 0, v1, vcc_lo
	s_cselect_b32 s27, s15, -1
	s_delay_alu instid0(SALU_CYCLE_1) | instskip(SKIP_1) | instid1(VALU_DEP_2)
	v_dual_mov_b32 v25, v3 :: v_dual_and_b32 v0, s27, v0
	v_mov_b32_e32 v24, v2
	v_lshlrev_b32_e32 v0, s25, v0
	s_delay_alu instid0(VALU_DEP_1) | instskip(NEXT) | instid1(VALU_DEP_1)
	v_cndmask_b32_e64 v0, 0, v0, s13
	v_or_b32_e32 v1, v1, v0
	s_delay_alu instid0(VALU_DEP_1)
	v_and_b32_e32 v0, 1, v1
	v_lshlrev_b32_e32 v8, 30, v1
	v_lshlrev_b32_e32 v16, 29, v1
	;; [unrolled: 1-line block ×4, first 2 shown]
	v_add_co_u32 v0, s14, v0, -1
	s_delay_alu instid0(VALU_DEP_1)
	v_cndmask_b32_e64 v18, 0, 1, s14
	v_not_b32_e32 v22, v8
	v_cmp_gt_i32_e64 s15, 0, v8
	v_not_b32_e32 v8, v16
	v_lshlrev_b32_e32 v20, 26, v1
	v_cmp_ne_u32_e64 s14, 0, v18
	v_ashrrev_i32_e32 v22, 31, v22
	v_lshlrev_b32_e32 v21, 25, v1
	v_ashrrev_i32_e32 v8, 31, v8
	v_lshlrev_b32_e32 v18, 24, v1
	v_xor_b32_e32 v0, s14, v0
	v_cmp_gt_i32_e64 s14, 0, v16
	v_not_b32_e32 v16, v17
	v_xor_b32_e32 v22, s15, v22
	v_cmp_gt_i32_e64 s15, 0, v17
	v_and_b32_e32 v0, exec_lo, v0
	v_not_b32_e32 v17, v19
	v_ashrrev_i32_e32 v16, 31, v16
	v_xor_b32_e32 v8, s14, v8
	v_cmp_gt_i32_e64 s14, 0, v19
	v_and_b32_e32 v0, v0, v22
	v_mov_b32_e32 v22, v26
	v_ashrrev_i32_e32 v17, 31, v17
	v_xor_b32_e32 v16, s15, v16
	v_mov_b32_e32 v23, v27
	v_not_b32_e32 v19, v20
	v_and_b32_e32 v0, v0, v8
	v_cmp_gt_i32_e64 s15, 0, v20
	v_not_b32_e32 v8, v21
	v_xor_b32_e32 v17, s14, v17
	v_ashrrev_i32_e32 v19, 31, v19
	v_and_b32_e32 v0, v0, v16
	v_cmp_gt_i32_e64 s14, 0, v21
	v_not_b32_e32 v16, v18
	v_ashrrev_i32_e32 v8, 31, v8
	v_xor_b32_e32 v19, s15, v19
	v_and_b32_e32 v0, v0, v17
	v_cmp_gt_i32_e64 s15, 0, v18
	v_ashrrev_i32_e32 v16, 31, v16
	v_xor_b32_e32 v8, s14, v8
	v_lshl_add_u32 v1, v1, 3, v40
	v_dual_mov_b32 v19, v5 :: v_dual_and_b32 v0, v0, v19
	s_delay_alu instid0(VALU_DEP_4) | instskip(SKIP_1) | instid1(VALU_DEP_3)
	v_xor_b32_e32 v20, s15, v16
	v_dual_mov_b32 v17, v7 :: v_dual_mov_b32 v18, v4
	v_and_b32_e32 v0, v0, v8
	v_mov_b32_e32 v16, v6
	v_lshl_add_u32 v26, v1, 2, 32
	s_delay_alu instid0(VALU_DEP_3) | instskip(SKIP_1) | instid1(VALU_DEP_2)
	v_and_b32_e32 v0, v0, v20
	v_dual_mov_b32 v20, v28 :: v_dual_mov_b32 v21, v29
	v_mbcnt_lo_u32_b32 v8, v0, 0
	v_cmp_ne_u32_e64 s15, 0, v0
	s_delay_alu instid0(VALU_DEP_2) | instskip(NEXT) | instid1(VALU_DEP_1)
	v_cmp_eq_u32_e64 s14, 0, v8
	s_and_b32 s15, s14, s15
	s_delay_alu instid0(SALU_CYCLE_1)
	s_and_saveexec_b32 s14, s15
	s_cbranch_execz .LBB363_6
; %bb.5:                                ;   in Loop: Header=BB363_4 Depth=2
	v_bcnt_u32_b32 v0, v0, 0
	ds_store_b32 v26, v0
.LBB363_6:                              ;   in Loop: Header=BB363_4 Depth=2
	s_or_b32 exec_lo, exec_lo, s14
	v_lshrrev_b32_e32 v0, s26, v24
	v_lshrrev_b32_e32 v1, s22, v25
	; wave barrier
	s_delay_alu instid0(VALU_DEP_1) | instskip(NEXT) | instid1(VALU_DEP_1)
	v_and_b32_e32 v1, s24, v1
	v_dual_cndmask_b32 v1, 0, v1 :: v_dual_and_b32 v0, s27, v0
	s_delay_alu instid0(VALU_DEP_1) | instskip(NEXT) | instid1(VALU_DEP_1)
	v_lshlrev_b32_e32 v0, s25, v0
	v_cndmask_b32_e64 v0, 0, v0, s13
	s_delay_alu instid0(VALU_DEP_1) | instskip(NEXT) | instid1(VALU_DEP_1)
	v_or_b32_e32 v0, v1, v0
	v_and_b32_e32 v1, 1, v0
	v_lshlrev_b32_e32 v2, 30, v0
	v_lshlrev_b32_e32 v3, 29, v0
	;; [unrolled: 1-line block ×4, first 2 shown]
	v_add_co_u32 v1, s14, v1, -1
	s_delay_alu instid0(VALU_DEP_1)
	v_cndmask_b32_e64 v5, 0, 1, s14
	v_not_b32_e32 v28, v2
	v_cmp_gt_i32_e64 s15, 0, v2
	v_not_b32_e32 v2, v3
	v_lshlrev_b32_e32 v7, 26, v0
	v_cmp_ne_u32_e64 s14, 0, v5
	v_ashrrev_i32_e32 v28, 31, v28
	v_lshlrev_b32_e32 v27, 25, v0
	v_ashrrev_i32_e32 v2, 31, v2
	v_lshlrev_b32_e32 v5, 24, v0
	v_xor_b32_e32 v1, s14, v1
	v_cmp_gt_i32_e64 s14, 0, v3
	v_not_b32_e32 v3, v4
	v_xor_b32_e32 v28, s15, v28
	v_cmp_gt_i32_e64 s15, 0, v4
	v_and_b32_e32 v1, exec_lo, v1
	v_not_b32_e32 v4, v6
	v_ashrrev_i32_e32 v3, 31, v3
	v_xor_b32_e32 v2, s14, v2
	v_cmp_gt_i32_e64 s14, 0, v6
	v_and_b32_e32 v1, v1, v28
	v_not_b32_e32 v6, v7
	v_ashrrev_i32_e32 v4, 31, v4
	v_xor_b32_e32 v3, s15, v3
	v_cmp_gt_i32_e64 s15, 0, v7
	v_and_b32_e32 v1, v1, v2
	;; [unrolled: 5-line block ×3, first 2 shown]
	v_not_b32_e32 v3, v5
	v_ashrrev_i32_e32 v2, 31, v2
	v_xor_b32_e32 v6, s15, v6
	v_lshlrev_b32_e32 v0, 3, v0
	v_and_b32_e32 v1, v1, v4
	v_cmp_gt_i32_e64 s15, 0, v5
	v_ashrrev_i32_e32 v3, 31, v3
	v_xor_b32_e32 v2, s14, v2
	v_add_lshl_u32 v4, v0, v40, 2
	v_and_b32_e32 v1, v1, v6
	s_delay_alu instid0(VALU_DEP_4) | instskip(SKIP_3) | instid1(VALU_DEP_2)
	v_xor_b32_e32 v0, s15, v3
	ds_load_b32 v27, v4 offset:32
	v_and_b32_e32 v1, v1, v2
	v_add_nc_u32_e32 v29, 32, v4
	; wave barrier
	v_and_b32_e32 v0, v1, v0
	s_delay_alu instid0(VALU_DEP_1) | instskip(SKIP_1) | instid1(VALU_DEP_2)
	v_mbcnt_lo_u32_b32 v28, v0, 0
	v_cmp_ne_u32_e64 s15, 0, v0
	v_cmp_eq_u32_e64 s14, 0, v28
	s_delay_alu instid0(VALU_DEP_1) | instskip(NEXT) | instid1(SALU_CYCLE_1)
	s_and_b32 s15, s14, s15
	s_and_saveexec_b32 s14, s15
	s_cbranch_execz .LBB363_8
; %bb.7:                                ;   in Loop: Header=BB363_4 Depth=2
	s_waitcnt lgkmcnt(0)
	v_bcnt_u32_b32 v0, v0, v27
	ds_store_b32 v29, v0
.LBB363_8:                              ;   in Loop: Header=BB363_4 Depth=2
	s_or_b32 exec_lo, exec_lo, s14
	v_lshrrev_b32_e32 v0, s26, v22
	v_lshrrev_b32_e32 v1, s22, v23
	; wave barrier
	s_delay_alu instid0(VALU_DEP_1) | instskip(NEXT) | instid1(VALU_DEP_1)
	v_and_b32_e32 v1, s24, v1
	v_dual_cndmask_b32 v1, 0, v1 :: v_dual_and_b32 v0, s27, v0
	s_delay_alu instid0(VALU_DEP_1) | instskip(NEXT) | instid1(VALU_DEP_1)
	v_lshlrev_b32_e32 v0, s25, v0
	v_cndmask_b32_e64 v0, 0, v0, s13
	s_delay_alu instid0(VALU_DEP_1) | instskip(NEXT) | instid1(VALU_DEP_1)
	v_or_b32_e32 v0, v1, v0
	v_and_b32_e32 v1, 1, v0
	v_lshlrev_b32_e32 v2, 30, v0
	v_lshlrev_b32_e32 v3, 29, v0
	;; [unrolled: 1-line block ×4, first 2 shown]
	v_add_co_u32 v1, s13, v1, -1
	s_delay_alu instid0(VALU_DEP_1)
	v_cndmask_b32_e64 v5, 0, 1, s13
	v_not_b32_e32 v42, v2
	v_cmp_gt_i32_e64 s13, 0, v2
	v_not_b32_e32 v2, v3
	v_lshlrev_b32_e32 v7, 26, v0
	v_cmp_ne_u32_e32 vcc_lo, 0, v5
	v_ashrrev_i32_e32 v42, 31, v42
	v_lshlrev_b32_e32 v41, 25, v0
	v_ashrrev_i32_e32 v2, 31, v2
	v_lshlrev_b32_e32 v5, 24, v0
	v_xor_b32_e32 v1, vcc_lo, v1
	v_cmp_gt_i32_e32 vcc_lo, 0, v3
	v_not_b32_e32 v3, v4
	v_xor_b32_e32 v42, s13, v42
	v_cmp_gt_i32_e64 s13, 0, v4
	v_and_b32_e32 v1, exec_lo, v1
	v_not_b32_e32 v4, v6
	v_ashrrev_i32_e32 v3, 31, v3
	v_xor_b32_e32 v2, vcc_lo, v2
	v_cmp_gt_i32_e32 vcc_lo, 0, v6
	v_and_b32_e32 v1, v1, v42
	v_not_b32_e32 v6, v7
	v_ashrrev_i32_e32 v4, 31, v4
	v_xor_b32_e32 v3, s13, v3
	v_cmp_gt_i32_e64 s13, 0, v7
	v_and_b32_e32 v1, v1, v2
	v_not_b32_e32 v2, v41
	v_ashrrev_i32_e32 v6, 31, v6
	v_xor_b32_e32 v4, vcc_lo, v4
	v_cmp_gt_i32_e32 vcc_lo, 0, v41
	v_and_b32_e32 v1, v1, v3
	v_not_b32_e32 v3, v5
	v_ashrrev_i32_e32 v2, 31, v2
	v_xor_b32_e32 v6, s13, v6
	v_lshlrev_b32_e32 v0, 3, v0
	v_and_b32_e32 v1, v1, v4
	v_cmp_gt_i32_e64 s13, 0, v5
	v_ashrrev_i32_e32 v3, 31, v3
	v_xor_b32_e32 v2, vcc_lo, v2
	v_add_lshl_u32 v4, v0, v40, 2
	v_and_b32_e32 v1, v1, v6
	s_delay_alu instid0(VALU_DEP_4) | instskip(SKIP_3) | instid1(VALU_DEP_2)
	v_xor_b32_e32 v0, s13, v3
	ds_load_b32 v41, v4 offset:32
	v_and_b32_e32 v1, v1, v2
	v_add_nc_u32_e32 v43, 32, v4
	; wave barrier
	v_and_b32_e32 v0, v1, v0
	s_delay_alu instid0(VALU_DEP_1) | instskip(SKIP_1) | instid1(VALU_DEP_2)
	v_mbcnt_lo_u32_b32 v42, v0, 0
	v_cmp_ne_u32_e64 s13, 0, v0
	v_cmp_eq_u32_e32 vcc_lo, 0, v42
	s_delay_alu instid0(VALU_DEP_2) | instskip(NEXT) | instid1(SALU_CYCLE_1)
	s_and_b32 s14, vcc_lo, s13
	s_and_saveexec_b32 s13, s14
	s_cbranch_execz .LBB363_10
; %bb.9:                                ;   in Loop: Header=BB363_4 Depth=2
	s_waitcnt lgkmcnt(0)
	v_bcnt_u32_b32 v0, v0, v41
	ds_store_b32 v43, v0
.LBB363_10:                             ;   in Loop: Header=BB363_4 Depth=2
	s_or_b32 exec_lo, exec_lo, s13
	; wave barrier
	s_waitcnt lgkmcnt(0)
	s_barrier
	buffer_gl0_inv
	ds_load_2addr_b64 v[4:7], v30 offset0:4 offset1:5
	ds_load_2addr_b64 v[0:3], v31 offset0:2 offset1:3
	s_waitcnt lgkmcnt(1)
	v_add_nc_u32_e32 v44, v5, v4
	s_delay_alu instid0(VALU_DEP_1) | instskip(SKIP_1) | instid1(VALU_DEP_1)
	v_add3_u32 v44, v44, v6, v7
	s_waitcnt lgkmcnt(0)
	v_add3_u32 v44, v44, v0, v1
	s_delay_alu instid0(VALU_DEP_1) | instskip(NEXT) | instid1(VALU_DEP_1)
	v_add3_u32 v3, v44, v2, v3
	v_mov_b32_dpp v44, v3 row_shr:1 row_mask:0xf bank_mask:0xf
	s_delay_alu instid0(VALU_DEP_1) | instskip(NEXT) | instid1(VALU_DEP_1)
	v_cndmask_b32_e64 v44, v44, 0, s1
	v_add_nc_u32_e32 v3, v44, v3
	s_delay_alu instid0(VALU_DEP_1) | instskip(NEXT) | instid1(VALU_DEP_1)
	v_mov_b32_dpp v44, v3 row_shr:2 row_mask:0xf bank_mask:0xf
	v_cndmask_b32_e64 v44, 0, v44, s2
	s_delay_alu instid0(VALU_DEP_1) | instskip(NEXT) | instid1(VALU_DEP_1)
	v_add_nc_u32_e32 v3, v3, v44
	v_mov_b32_dpp v44, v3 row_shr:4 row_mask:0xf bank_mask:0xf
	s_delay_alu instid0(VALU_DEP_1) | instskip(NEXT) | instid1(VALU_DEP_1)
	v_cndmask_b32_e64 v44, 0, v44, s3
	v_add_nc_u32_e32 v3, v3, v44
	s_delay_alu instid0(VALU_DEP_1) | instskip(NEXT) | instid1(VALU_DEP_1)
	v_mov_b32_dpp v44, v3 row_shr:8 row_mask:0xf bank_mask:0xf
	v_cndmask_b32_e64 v44, 0, v44, s4
	s_delay_alu instid0(VALU_DEP_1) | instskip(SKIP_3) | instid1(VALU_DEP_1)
	v_add_nc_u32_e32 v3, v3, v44
	ds_swizzle_b32 v44, v3 offset:swizzle(BROADCAST,32,15)
	s_waitcnt lgkmcnt(0)
	v_cndmask_b32_e64 v44, v44, 0, s5
	v_add_nc_u32_e32 v3, v3, v44
	s_and_saveexec_b32 s13, s12
	s_cbranch_execz .LBB363_12
; %bb.11:                               ;   in Loop: Header=BB363_4 Depth=2
	ds_store_b32 v33, v3
.LBB363_12:                             ;   in Loop: Header=BB363_4 Depth=2
	s_or_b32 exec_lo, exec_lo, s13
	s_waitcnt lgkmcnt(0)
	s_barrier
	buffer_gl0_inv
	s_and_saveexec_b32 s13, s6
	s_cbranch_execz .LBB363_14
; %bb.13:                               ;   in Loop: Header=BB363_4 Depth=2
	ds_load_b32 v44, v34
	s_waitcnt lgkmcnt(0)
	v_mov_b32_dpp v45, v44 row_shr:1 row_mask:0xf bank_mask:0xf
	s_delay_alu instid0(VALU_DEP_1) | instskip(NEXT) | instid1(VALU_DEP_1)
	v_cndmask_b32_e64 v45, v45, 0, s9
	v_add_nc_u32_e32 v44, v45, v44
	s_delay_alu instid0(VALU_DEP_1) | instskip(NEXT) | instid1(VALU_DEP_1)
	v_mov_b32_dpp v45, v44 row_shr:2 row_mask:0xf bank_mask:0xf
	v_cndmask_b32_e64 v45, 0, v45, s10
	s_delay_alu instid0(VALU_DEP_1) | instskip(NEXT) | instid1(VALU_DEP_1)
	v_add_nc_u32_e32 v44, v44, v45
	v_mov_b32_dpp v45, v44 row_shr:4 row_mask:0xf bank_mask:0xf
	s_delay_alu instid0(VALU_DEP_1) | instskip(NEXT) | instid1(VALU_DEP_1)
	v_cndmask_b32_e64 v45, 0, v45, s11
	v_add_nc_u32_e32 v44, v44, v45
	ds_store_b32 v34, v44
.LBB363_14:                             ;   in Loop: Header=BB363_4 Depth=2
	s_or_b32 exec_lo, exec_lo, s13
	v_mov_b32_e32 v44, 0
	s_waitcnt lgkmcnt(0)
	s_barrier
	buffer_gl0_inv
	s_and_saveexec_b32 s13, s7
	s_cbranch_execz .LBB363_16
; %bb.15:                               ;   in Loop: Header=BB363_4 Depth=2
	ds_load_b32 v44, v35
.LBB363_16:                             ;   in Loop: Header=BB363_4 Depth=2
	s_or_b32 exec_lo, exec_lo, s13
	s_waitcnt lgkmcnt(0)
	v_add_nc_u32_e32 v3, v44, v3
	s_cmp_gt_u32 s22, 55
	ds_bpermute_b32 v3, v32, v3
	s_waitcnt lgkmcnt(0)
	v_cndmask_b32_e64 v3, v3, v44, s0
	s_delay_alu instid0(VALU_DEP_1) | instskip(NEXT) | instid1(VALU_DEP_1)
	v_cndmask_b32_e64 v3, v3, 0, s8
	v_add_nc_u32_e32 v4, v3, v4
	s_delay_alu instid0(VALU_DEP_1) | instskip(NEXT) | instid1(VALU_DEP_1)
	v_add_nc_u32_e32 v5, v4, v5
	v_add_nc_u32_e32 v6, v5, v6
	s_delay_alu instid0(VALU_DEP_1) | instskip(SKIP_1) | instid1(VALU_DEP_2)
	v_add_nc_u32_e32 v44, v6, v7
	v_lshlrev_b32_e32 v7, 3, v41
	v_add_nc_u32_e32 v45, v44, v0
	s_delay_alu instid0(VALU_DEP_1) | instskip(NEXT) | instid1(VALU_DEP_1)
	v_add_nc_u32_e32 v0, v45, v1
	v_add_nc_u32_e32 v1, v0, v2
	ds_store_2addr_b64 v30, v[3:4], v[5:6] offset0:4 offset1:5
	ds_store_2addr_b64 v31, v[44:45], v[0:1] offset0:2 offset1:3
	s_waitcnt lgkmcnt(0)
	s_barrier
	buffer_gl0_inv
	ds_load_b32 v0, v29
	ds_load_b32 v1, v43
	;; [unrolled: 1-line block ×3, first 2 shown]
	v_lshlrev_b32_e32 v3, 3, v8
	v_lshlrev_b32_e32 v4, 3, v28
	v_lshlrev_b32_e32 v5, 3, v27
	v_lshlrev_b32_e32 v6, 3, v42
	s_waitcnt lgkmcnt(0)
	v_lshlrev_b32_e32 v0, 3, v0
	v_lshlrev_b32_e32 v1, 3, v1
	v_lshl_add_u32 v8, v2, 3, v3
	s_delay_alu instid0(VALU_DEP_3) | instskip(NEXT) | instid1(VALU_DEP_3)
	v_add3_u32 v41, v4, v5, v0
	v_add3_u32 v42, v6, v7, v1
	s_cbranch_scc0 .LBB363_3
; %bb.17:                               ;   in Loop: Header=BB363_2 Depth=1
                                        ; implicit-def: $sgpr22
                                        ; implicit-def: $vgpr4_vgpr5
                                        ; implicit-def: $vgpr28_vgpr29
                                        ; implicit-def: $vgpr0_vgpr1
                                        ; implicit-def: $vgpr26_vgpr27
                                        ; implicit-def: $sgpr17
                                        ; implicit-def: $sgpr16
	s_branch .LBB363_1
.LBB363_18:
	s_waitcnt lgkmcnt(1)
	v_add_nc_u32_e32 v0, v1, v5
	v_add_nc_u32_e32 v1, v2, v6
	;; [unrolled: 1-line block ×4, first 2 shown]
	v_lshlrev_b32_e32 v8, 3, v9
	s_add_u32 s0, s18, s20
	s_addc_u32 s1, s19, s21
	s_waitcnt lgkmcnt(0)
	v_add_nc_u32_e32 v4, v14, v16
	v_add_nc_u32_e32 v5, v15, v17
	v_add_co_u32 v6, s2, s0, v8
	s_delay_alu instid0(VALU_DEP_1) | instskip(NEXT) | instid1(VALU_DEP_2)
	v_add_co_ci_u32_e64 v7, null, s1, 0, s2
	v_add_co_u32 v6, vcc_lo, 0x1000, v6
	s_delay_alu instid0(VALU_DEP_2)
	v_add_co_ci_u32_e32 v7, vcc_lo, 0, v7, vcc_lo
	s_clause 0x2
	global_store_b64 v8, v[0:1], s[0:1]
	global_store_b64 v8, v[2:3], s[0:1] offset:2048
	global_store_b64 v[6:7], v[4:5], off
	s_nop 0
	s_sendmsg sendmsg(MSG_DEALLOC_VGPRS)
	s_endpgm
	.section	.rodata,"a",@progbits
	.p2align	6, 0x0
	.amdhsa_kernel _Z17sort_pairs_kernelI22helper_blocked_stripedN15benchmark_utils11custom_typeIiiEELj256ELj3ELj10EEvPKT0_PS4_
		.amdhsa_group_segment_fixed_size 8224
		.amdhsa_private_segment_fixed_size 0
		.amdhsa_kernarg_size 272
		.amdhsa_user_sgpr_count 15
		.amdhsa_user_sgpr_dispatch_ptr 0
		.amdhsa_user_sgpr_queue_ptr 0
		.amdhsa_user_sgpr_kernarg_segment_ptr 1
		.amdhsa_user_sgpr_dispatch_id 0
		.amdhsa_user_sgpr_private_segment_size 0
		.amdhsa_wavefront_size32 1
		.amdhsa_uses_dynamic_stack 0
		.amdhsa_enable_private_segment 0
		.amdhsa_system_sgpr_workgroup_id_x 1
		.amdhsa_system_sgpr_workgroup_id_y 0
		.amdhsa_system_sgpr_workgroup_id_z 0
		.amdhsa_system_sgpr_workgroup_info 0
		.amdhsa_system_vgpr_workitem_id 2
		.amdhsa_next_free_vgpr 46
		.amdhsa_next_free_sgpr 28
		.amdhsa_reserve_vcc 1
		.amdhsa_float_round_mode_32 0
		.amdhsa_float_round_mode_16_64 0
		.amdhsa_float_denorm_mode_32 3
		.amdhsa_float_denorm_mode_16_64 3
		.amdhsa_dx10_clamp 1
		.amdhsa_ieee_mode 1
		.amdhsa_fp16_overflow 0
		.amdhsa_workgroup_processor_mode 1
		.amdhsa_memory_ordered 1
		.amdhsa_forward_progress 0
		.amdhsa_shared_vgpr_count 0
		.amdhsa_exception_fp_ieee_invalid_op 0
		.amdhsa_exception_fp_denorm_src 0
		.amdhsa_exception_fp_ieee_div_zero 0
		.amdhsa_exception_fp_ieee_overflow 0
		.amdhsa_exception_fp_ieee_underflow 0
		.amdhsa_exception_fp_ieee_inexact 0
		.amdhsa_exception_int_div_zero 0
	.end_amdhsa_kernel
	.section	.text._Z17sort_pairs_kernelI22helper_blocked_stripedN15benchmark_utils11custom_typeIiiEELj256ELj3ELj10EEvPKT0_PS4_,"axG",@progbits,_Z17sort_pairs_kernelI22helper_blocked_stripedN15benchmark_utils11custom_typeIiiEELj256ELj3ELj10EEvPKT0_PS4_,comdat
.Lfunc_end363:
	.size	_Z17sort_pairs_kernelI22helper_blocked_stripedN15benchmark_utils11custom_typeIiiEELj256ELj3ELj10EEvPKT0_PS4_, .Lfunc_end363-_Z17sort_pairs_kernelI22helper_blocked_stripedN15benchmark_utils11custom_typeIiiEELj256ELj3ELj10EEvPKT0_PS4_
                                        ; -- End function
	.section	.AMDGPU.csdata,"",@progbits
; Kernel info:
; codeLenInByte = 2964
; NumSgprs: 30
; NumVgprs: 46
; ScratchSize: 0
; MemoryBound: 0
; FloatMode: 240
; IeeeMode: 1
; LDSByteSize: 8224 bytes/workgroup (compile time only)
; SGPRBlocks: 3
; VGPRBlocks: 5
; NumSGPRsForWavesPerEU: 30
; NumVGPRsForWavesPerEU: 46
; Occupancy: 16
; WaveLimiterHint : 1
; COMPUTE_PGM_RSRC2:SCRATCH_EN: 0
; COMPUTE_PGM_RSRC2:USER_SGPR: 15
; COMPUTE_PGM_RSRC2:TRAP_HANDLER: 0
; COMPUTE_PGM_RSRC2:TGID_X_EN: 1
; COMPUTE_PGM_RSRC2:TGID_Y_EN: 0
; COMPUTE_PGM_RSRC2:TGID_Z_EN: 0
; COMPUTE_PGM_RSRC2:TIDIG_COMP_CNT: 2
	.section	.text._Z16sort_keys_kernelI22helper_blocked_stripedN15benchmark_utils11custom_typeIiiEELj256ELj4ELj10EEvPKT0_PS4_,"axG",@progbits,_Z16sort_keys_kernelI22helper_blocked_stripedN15benchmark_utils11custom_typeIiiEELj256ELj4ELj10EEvPKT0_PS4_,comdat
	.protected	_Z16sort_keys_kernelI22helper_blocked_stripedN15benchmark_utils11custom_typeIiiEELj256ELj4ELj10EEvPKT0_PS4_ ; -- Begin function _Z16sort_keys_kernelI22helper_blocked_stripedN15benchmark_utils11custom_typeIiiEELj256ELj4ELj10EEvPKT0_PS4_
	.globl	_Z16sort_keys_kernelI22helper_blocked_stripedN15benchmark_utils11custom_typeIiiEELj256ELj4ELj10EEvPKT0_PS4_
	.p2align	8
	.type	_Z16sort_keys_kernelI22helper_blocked_stripedN15benchmark_utils11custom_typeIiiEELj256ELj4ELj10EEvPKT0_PS4_,@function
_Z16sort_keys_kernelI22helper_blocked_stripedN15benchmark_utils11custom_typeIiiEELj256ELj4ELj10EEvPKT0_PS4_: ; @_Z16sort_keys_kernelI22helper_blocked_stripedN15benchmark_utils11custom_typeIiiEELj256ELj4ELj10EEvPKT0_PS4_
; %bb.0:
	s_clause 0x1
	s_load_b128 s[20:23], s[0:1], 0x0
	s_load_b32 s2, s[0:1], 0x1c
	s_mov_b32 s27, 0
	s_lshl_b32 s26, s15, 10
	v_bfe_u32 v10, v0, 10, 10
	s_lshl_b64 s[24:25], s[26:27], 3
	s_mov_b32 s26, s27
	v_and_b32_e32 v9, 0x3ff, v0
	v_bfe_u32 v0, v0, 20, 10
	v_mbcnt_lo_u32_b32 v12, -1, 0
	s_mov_b32 s18, s27
	s_mov_b32 s19, s27
	v_lshlrev_b32_e32 v22, 5, v9
	s_delay_alu instid0(VALU_DEP_2) | instskip(SKIP_2) | instid1(VALU_DEP_3)
	v_and_b32_e32 v13, 3, v12
	v_and_b32_e32 v24, 28, v12
	v_cmp_eq_u32_e64 s12, 0, v12
	v_cmp_eq_u32_e64 s3, 3, v13
	s_waitcnt lgkmcnt(0)
	s_add_u32 s0, s20, s24
	s_addc_u32 s1, s21, s25
	s_clause 0x2
	global_load_b128 v[1:4], v22, s[0:1] offset:16
	global_load_b128 v[5:8], v22, s[0:1]
	global_load_b64 v[5:6], v22, s[0:1]
	s_lshr_b32 s0, s2, 16
	s_and_b32 s2, s2, 0xffff
	v_mad_u32_u24 v0, v0, s0, v10
	v_cmp_eq_u32_e64 s0, 0, v13
	v_cmp_eq_u32_e64 s1, 1, v13
	s_delay_alu instid0(VALU_DEP_3) | instskip(SKIP_3) | instid1(VALU_DEP_3)
	v_mad_u64_u32 v[10:11], null, v0, s2, v[9:10]
	v_add_nc_u32_e32 v11, -1, v12
	v_and_b32_e32 v0, 15, v12
	v_cmp_eq_u32_e64 s2, 2, v13
	v_cmp_gt_i32_e32 vcc_lo, 0, v11
	v_lshrrev_b32_e32 v29, 5, v10
	v_and_b32_e32 v10, 16, v12
	v_lshlrev_b32_e32 v23, 2, v9
	v_cmp_eq_u32_e64 s4, 0, v0
	v_cmp_lt_u32_e64 s5, 1, v0
	v_cmp_lt_u32_e64 s6, 3, v0
	v_cmp_eq_u32_e64 s8, 0, v10
	v_lshrrev_b32_e32 v10, 3, v9
	v_cmp_lt_u32_e64 s7, 7, v0
	s_delay_alu instid0(VALU_DEP_2) | instskip(SKIP_1) | instid1(VALU_DEP_2)
	v_dual_cndmask_b32 v0, v11, v12 :: v_dual_and_b32 v31, 28, v10
	v_and_or_b32 v10, 0x380, v23, v12
	v_lshlrev_b32_e32 v30, 2, v0
	v_and_b32_e32 v0, 7, v12
	s_delay_alu instid0(VALU_DEP_4) | instskip(NEXT) | instid1(VALU_DEP_4)
	v_add_nc_u32_e32 v33, -4, v31
	v_lshlrev_b32_e32 v34, 3, v10
	v_mov_b32_e32 v10, s26
	v_or_b32_e32 v13, 31, v9
	v_cmp_gt_u32_e64 s10, 8, v9
	v_cmp_lt_u32_e64 s11, 31, v9
	v_cmp_eq_u32_e64 s13, 0, v9
	v_cmp_eq_u32_e64 s14, 0, v0
	;; [unrolled: 1-line block ×3, first 2 shown]
	v_mov_b32_e32 v12, s18
	v_cmp_lt_u32_e64 s15, 1, v0
	v_cmp_lt_u32_e64 s16, 3, v0
	v_dual_mov_b32 v11, s27 :: v_dual_add_nc_u32 v28, 32, v22
	v_mad_i32_i24 v32, 0xffffffe4, v9, v22
	v_mov_b32_e32 v13, s19
	v_or_b32_e32 v25, 32, v24
	v_or_b32_e32 v26, 64, v24
	;; [unrolled: 1-line block ×3, first 2 shown]
	s_branch .LBB364_2
.LBB364_1:                              ;   in Loop: Header=BB364_2 Depth=1
	v_add_nc_u32_e32 v4, v32, v23
	s_barrier
	buffer_gl0_inv
	ds_store_b64 v35, v[14:15]
	ds_store_b64 v36, v[20:21]
	;; [unrolled: 1-line block ×4, first 2 shown]
	s_waitcnt lgkmcnt(0)
	s_barrier
	buffer_gl0_inv
	ds_load_2addr_stride64_b64 v[0:3], v4 offset1:4
	ds_load_2addr_stride64_b64 v[14:17], v4 offset0:8 offset1:12
	s_add_i32 s27, s27, 1
	s_delay_alu instid0(SALU_CYCLE_1)
	s_cmp_eq_u32 s27, 10
	s_waitcnt lgkmcnt(1)
	v_xor_b32_e32 v5, 0x80000000, v0
	v_xor_b32_e32 v6, 0x80000000, v1
	;; [unrolled: 1-line block ×4, first 2 shown]
	s_waitcnt lgkmcnt(0)
	v_xor_b32_e32 v1, 0x80000000, v14
	v_xor_b32_e32 v2, 0x80000000, v15
	;; [unrolled: 1-line block ×4, first 2 shown]
	s_cbranch_scc1 .LBB364_20
.LBB364_2:                              ; =>This Loop Header: Depth=1
                                        ;     Child Loop BB364_4 Depth 2
	s_waitcnt vmcnt(0)
	v_xor_b32_e32 v0, 0x80000000, v6
	v_xor_b32_e32 v5, 0x80000000, v5
	;; [unrolled: 1-line block ×5, first 2 shown]
	ds_bpermute_b32 v8, v24, v0
	ds_bpermute_b32 v14, v24, v5
	;; [unrolled: 1-line block ×4, first 2 shown]
	v_xor_b32_e32 v2, 0x80000000, v2
	v_xor_b32_e32 v3, 0x80000000, v3
	ds_bpermute_b32 v17, v25, v0
	ds_bpermute_b32 v20, v24, v15
	v_xor_b32_e32 v4, 0x80000000, v4
	ds_bpermute_b32 v18, v25, v5
	ds_bpermute_b32 v19, v24, v2
	;; [unrolled: 1-line block ×11, first 2 shown]
	s_waitcnt lgkmcnt(16)
	v_cndmask_b32_e64 v8, 0, v8, s0
	s_waitcnt lgkmcnt(15)
	v_cndmask_b32_e64 v14, 0, v14, s0
	ds_bpermute_b32 v43, v26, v7
	ds_bpermute_b32 v7, v27, v7
	;; [unrolled: 1-line block ×3, first 2 shown]
	s_waitcnt lgkmcnt(16)
	v_cndmask_b32_e64 v1, v8, v1, s1
	v_cndmask_b32_e64 v8, v14, v16, s1
	ds_bpermute_b32 v14, v27, v0
	s_waitcnt lgkmcnt(16)
	v_cndmask_b32_e64 v0, 0, v17, s0
	ds_bpermute_b32 v38, v25, v15
	s_waitcnt lgkmcnt(15)
	v_cndmask_b32_e64 v16, 0, v18, s0
	v_cndmask_b32_e64 v8, v8, v20, s2
	s_waitcnt lgkmcnt(14)
	v_cndmask_b32_e64 v1, v1, v19, s2
	s_waitcnt lgkmcnt(12)
	v_cndmask_b32_e64 v17, v0, v35, s1
	ds_bpermute_b32 v18, v26, v2
	ds_bpermute_b32 v19, v26, v15
	v_cndmask_b32_e64 v0, v8, v21, s3
	ds_bpermute_b32 v8, v25, v4
	ds_bpermute_b32 v2, v27, v2
	;; [unrolled: 1-line block ×3, first 2 shown]
	s_waitcnt lgkmcnt(16)
	v_cndmask_b32_e64 v16, v16, v36, s1
	s_waitcnt lgkmcnt(15)
	v_cndmask_b32_e64 v1, v1, v37, s3
	ds_bpermute_b32 v20, v25, v3
	ds_bpermute_b32 v21, v26, v4
	;; [unrolled: 1-line block ×5, first 2 shown]
	s_waitcnt lgkmcnt(19)
	v_cndmask_b32_e64 v3, v17, v39, s2
	s_waitcnt lgkmcnt(17)
	v_cndmask_b32_e64 v4, 0, v41, s0
	v_cndmask_b32_e64 v17, 0, v40, s0
	s_waitcnt lgkmcnt(11)
	v_cndmask_b32_e64 v14, 0, v14, s0
	v_cndmask_b32_e64 v5, 0, v5, s0
	s_waitcnt lgkmcnt(10)
	v_cndmask_b32_e64 v16, v16, v38, s2
	v_cndmask_b32_e64 v4, v4, v43, s1
	v_cndmask_b32_e64 v17, v17, v42, s1
	v_cndmask_b32_e64 v7, v14, v7, s1
	v_cndmask_b32_e64 v5, v5, v6, s1
	s_waitcnt lgkmcnt(7)
	v_cndmask_b32_e64 v3, v3, v8, s3
	v_cndmask_b32_e64 v4, v4, v18, s2
	;; [unrolled: 1-line block ×3, first 2 shown]
	s_waitcnt lgkmcnt(6)
	v_cndmask_b32_e64 v7, v7, v2, s2
	s_waitcnt lgkmcnt(5)
	v_cndmask_b32_e64 v8, v5, v15, s2
	s_waitcnt lgkmcnt(4)
	v_cndmask_b32_e64 v2, v16, v20, s3
	s_waitcnt lgkmcnt(3)
	v_cndmask_b32_e64 v5, v4, v21, s3
	s_waitcnt lgkmcnt(2)
	v_cndmask_b32_e64 v4, v6, v35, s3
	s_waitcnt lgkmcnt(1)
	v_cndmask_b32_e64 v7, v7, v36, s3
	s_waitcnt lgkmcnt(0)
	v_cndmask_b32_e64 v6, v8, v37, s3
	s_mov_b32 s20, 8
	s_mov_b32 s21, 32
	;; [unrolled: 1-line block ×3, first 2 shown]
	s_barrier
	s_branch .LBB364_4
.LBB364_3:                              ;   in Loop: Header=BB364_4 Depth=2
	s_barrier
	buffer_gl0_inv
	ds_store_b64 v35, v[14:15]
	ds_store_b64 v36, v[20:21]
	;; [unrolled: 1-line block ×4, first 2 shown]
	s_waitcnt lgkmcnt(0)
	s_barrier
	buffer_gl0_inv
	ds_load_2addr_b64 v[0:3], v34 offset1:32
	ds_load_2addr_b64 v[4:7], v34 offset0:64 offset1:96
	s_add_i32 s21, s21, -8
	s_add_i32 s20, s20, 8
	s_add_i32 s26, s26, 8
	s_waitcnt lgkmcnt(0)
	s_barrier
	s_cbranch_execz .LBB364_1
.LBB364_4:                              ;   Parent Loop BB364_2 Depth=1
                                        ; =>  This Inner Loop Header: Depth=2
	s_min_i32 s18, s20, 32
	s_cmp_lt_u32 s26, 32
	v_dual_mov_b32 v15, v1 :: v_dual_mov_b32 v14, v0
	s_cselect_b32 vcc_lo, -1, 0
	s_cmp_gt_u32 s26, 24
	buffer_gl0_inv
	s_cselect_b32 s17, -1, 0
	s_sub_i32 s18, s18, 32
	v_lshrrev_b32_e32 v1, s26, v15
	s_add_i32 s19, s18, s21
	ds_store_2addr_b64 v22, v[10:11], v[12:13] offset0:4 offset1:5
	ds_store_2addr_b64 v28, v[10:11], v[12:13] offset0:2 offset1:3
	s_lshl_b32 s19, -1, s19
	s_waitcnt lgkmcnt(0)
	s_not_b32 s19, s19
	s_cmp_lg_u32 s18, s26
	s_barrier
	s_cselect_b32 s28, s19, -1
	s_max_i32 s29, s21, 0
	s_max_i32 s18, s26, 32
	v_and_b32_e32 v1, s28, v1
	s_sub_i32 s19, s18, s29
	s_sub_i32 s30, s18, 32
	;; [unrolled: 1-line block ×3, first 2 shown]
	v_lshrrev_b32_e32 v0, s30, v14
	s_min_i32 s18, s19, 32
	buffer_gl0_inv
	s_sub_i32 s18, s18, s30
	s_delay_alu instid0(SALU_CYCLE_1) | instskip(NEXT) | instid1(SALU_CYCLE_1)
	s_lshl_b32 s19, -1, s18
	; wave barrier
	s_not_b32 s19, s19
	s_cmp_lg_u32 s18, 32
	v_cndmask_b32_e32 v1, 0, v1, vcc_lo
	s_cselect_b32 s31, s19, -1
	s_delay_alu instid0(SALU_CYCLE_1) | instskip(NEXT) | instid1(VALU_DEP_1)
	v_and_b32_e32 v0, s31, v0
	v_lshlrev_b32_e32 v0, s29, v0
	s_delay_alu instid0(VALU_DEP_1) | instskip(NEXT) | instid1(VALU_DEP_1)
	v_cndmask_b32_e64 v0, 0, v0, s17
	v_or_b32_e32 v1, v1, v0
	s_delay_alu instid0(VALU_DEP_1)
	v_and_b32_e32 v0, 1, v1
	v_lshlrev_b32_e32 v8, 30, v1
	v_lshlrev_b32_e32 v16, 29, v1
	;; [unrolled: 1-line block ×4, first 2 shown]
	v_add_co_u32 v0, s18, v0, -1
	s_delay_alu instid0(VALU_DEP_1)
	v_cndmask_b32_e64 v18, 0, 1, s18
	v_not_b32_e32 v35, v8
	v_cmp_gt_i32_e64 s19, 0, v8
	v_not_b32_e32 v8, v16
	v_lshlrev_b32_e32 v20, 26, v1
	v_cmp_ne_u32_e64 s18, 0, v18
	v_ashrrev_i32_e32 v35, 31, v35
	v_lshlrev_b32_e32 v21, 25, v1
	v_ashrrev_i32_e32 v8, 31, v8
	v_lshlrev_b32_e32 v18, 24, v1
	v_xor_b32_e32 v0, s18, v0
	v_cmp_gt_i32_e64 s18, 0, v16
	v_not_b32_e32 v16, v17
	v_xor_b32_e32 v35, s19, v35
	v_cmp_gt_i32_e64 s19, 0, v17
	v_and_b32_e32 v0, exec_lo, v0
	v_not_b32_e32 v17, v19
	v_ashrrev_i32_e32 v16, 31, v16
	v_xor_b32_e32 v8, s18, v8
	v_cmp_gt_i32_e64 s18, 0, v19
	v_and_b32_e32 v0, v0, v35
	v_not_b32_e32 v19, v20
	v_ashrrev_i32_e32 v17, 31, v17
	v_xor_b32_e32 v16, s19, v16
	v_cmp_gt_i32_e64 s19, 0, v20
	v_and_b32_e32 v0, v0, v8
	;; [unrolled: 5-line block ×4, first 2 shown]
	v_ashrrev_i32_e32 v16, 31, v16
	v_xor_b32_e32 v8, s18, v8
	v_lshl_add_u32 v1, v1, 3, v29
	s_delay_alu instid0(VALU_DEP_4) | instskip(NEXT) | instid1(VALU_DEP_4)
	v_dual_mov_b32 v21, v3 :: v_dual_and_b32 v0, v0, v19
	v_xor_b32_e32 v16, s19, v16
	v_dual_mov_b32 v19, v5 :: v_dual_mov_b32 v20, v2
	v_mov_b32_e32 v18, v4
	s_delay_alu instid0(VALU_DEP_4) | instskip(SKIP_1) | instid1(VALU_DEP_2)
	v_and_b32_e32 v0, v0, v8
	v_lshl_add_u32 v35, v1, 2, 32
	v_dual_mov_b32 v17, v7 :: v_dual_and_b32 v0, v0, v16
	v_mov_b32_e32 v16, v6
	s_delay_alu instid0(VALU_DEP_2) | instskip(SKIP_1) | instid1(VALU_DEP_2)
	v_mbcnt_lo_u32_b32 v8, v0, 0
	v_cmp_ne_u32_e64 s19, 0, v0
	v_cmp_eq_u32_e64 s18, 0, v8
	s_delay_alu instid0(VALU_DEP_1) | instskip(NEXT) | instid1(SALU_CYCLE_1)
	s_and_b32 s19, s18, s19
	s_and_saveexec_b32 s18, s19
	s_cbranch_execz .LBB364_6
; %bb.5:                                ;   in Loop: Header=BB364_4 Depth=2
	v_bcnt_u32_b32 v0, v0, 0
	ds_store_b32 v35, v0
.LBB364_6:                              ;   in Loop: Header=BB364_4 Depth=2
	s_or_b32 exec_lo, exec_lo, s18
	v_lshrrev_b32_e32 v0, s30, v20
	v_lshrrev_b32_e32 v1, s26, v21
	; wave barrier
	s_delay_alu instid0(VALU_DEP_1) | instskip(NEXT) | instid1(VALU_DEP_1)
	v_and_b32_e32 v1, s28, v1
	v_dual_cndmask_b32 v1, 0, v1 :: v_dual_and_b32 v0, s31, v0
	s_delay_alu instid0(VALU_DEP_1) | instskip(NEXT) | instid1(VALU_DEP_1)
	v_lshlrev_b32_e32 v0, s29, v0
	v_cndmask_b32_e64 v0, 0, v0, s17
	s_delay_alu instid0(VALU_DEP_1) | instskip(NEXT) | instid1(VALU_DEP_1)
	v_or_b32_e32 v0, v1, v0
	v_and_b32_e32 v1, 1, v0
	v_lshlrev_b32_e32 v2, 30, v0
	v_lshlrev_b32_e32 v3, 29, v0
	v_lshlrev_b32_e32 v4, 28, v0
	v_lshlrev_b32_e32 v6, 27, v0
	v_add_co_u32 v1, s18, v1, -1
	s_delay_alu instid0(VALU_DEP_1)
	v_cndmask_b32_e64 v5, 0, 1, s18
	v_not_b32_e32 v37, v2
	v_cmp_gt_i32_e64 s19, 0, v2
	v_not_b32_e32 v2, v3
	v_lshlrev_b32_e32 v7, 26, v0
	v_cmp_ne_u32_e64 s18, 0, v5
	v_ashrrev_i32_e32 v37, 31, v37
	v_lshlrev_b32_e32 v36, 25, v0
	v_ashrrev_i32_e32 v2, 31, v2
	v_lshlrev_b32_e32 v5, 24, v0
	v_xor_b32_e32 v1, s18, v1
	v_cmp_gt_i32_e64 s18, 0, v3
	v_not_b32_e32 v3, v4
	v_xor_b32_e32 v37, s19, v37
	v_cmp_gt_i32_e64 s19, 0, v4
	v_and_b32_e32 v1, exec_lo, v1
	v_not_b32_e32 v4, v6
	v_ashrrev_i32_e32 v3, 31, v3
	v_xor_b32_e32 v2, s18, v2
	v_cmp_gt_i32_e64 s18, 0, v6
	v_and_b32_e32 v1, v1, v37
	v_not_b32_e32 v6, v7
	v_ashrrev_i32_e32 v4, 31, v4
	v_xor_b32_e32 v3, s19, v3
	v_cmp_gt_i32_e64 s19, 0, v7
	v_and_b32_e32 v1, v1, v2
	;; [unrolled: 5-line block ×3, first 2 shown]
	v_not_b32_e32 v3, v5
	v_ashrrev_i32_e32 v2, 31, v2
	v_xor_b32_e32 v6, s19, v6
	v_lshlrev_b32_e32 v0, 3, v0
	v_and_b32_e32 v1, v1, v4
	v_cmp_gt_i32_e64 s19, 0, v5
	v_ashrrev_i32_e32 v3, 31, v3
	v_xor_b32_e32 v2, s18, v2
	v_add_lshl_u32 v4, v0, v29, 2
	v_and_b32_e32 v1, v1, v6
	s_delay_alu instid0(VALU_DEP_4) | instskip(SKIP_3) | instid1(VALU_DEP_2)
	v_xor_b32_e32 v0, s19, v3
	ds_load_b32 v36, v4 offset:32
	v_and_b32_e32 v1, v1, v2
	v_add_nc_u32_e32 v38, 32, v4
	; wave barrier
	v_and_b32_e32 v0, v1, v0
	s_delay_alu instid0(VALU_DEP_1) | instskip(SKIP_1) | instid1(VALU_DEP_2)
	v_mbcnt_lo_u32_b32 v37, v0, 0
	v_cmp_ne_u32_e64 s19, 0, v0
	v_cmp_eq_u32_e64 s18, 0, v37
	s_delay_alu instid0(VALU_DEP_1) | instskip(NEXT) | instid1(SALU_CYCLE_1)
	s_and_b32 s19, s18, s19
	s_and_saveexec_b32 s18, s19
	s_cbranch_execz .LBB364_8
; %bb.7:                                ;   in Loop: Header=BB364_4 Depth=2
	s_waitcnt lgkmcnt(0)
	v_bcnt_u32_b32 v0, v0, v36
	ds_store_b32 v38, v0
.LBB364_8:                              ;   in Loop: Header=BB364_4 Depth=2
	s_or_b32 exec_lo, exec_lo, s18
	v_lshrrev_b32_e32 v0, s30, v18
	v_lshrrev_b32_e32 v1, s26, v19
	; wave barrier
	s_delay_alu instid0(VALU_DEP_1) | instskip(NEXT) | instid1(VALU_DEP_1)
	v_and_b32_e32 v1, s28, v1
	v_dual_cndmask_b32 v1, 0, v1 :: v_dual_and_b32 v0, s31, v0
	s_delay_alu instid0(VALU_DEP_1) | instskip(NEXT) | instid1(VALU_DEP_1)
	v_lshlrev_b32_e32 v0, s29, v0
	v_cndmask_b32_e64 v0, 0, v0, s17
	s_delay_alu instid0(VALU_DEP_1) | instskip(NEXT) | instid1(VALU_DEP_1)
	v_or_b32_e32 v0, v1, v0
	v_and_b32_e32 v1, 1, v0
	v_lshlrev_b32_e32 v2, 30, v0
	v_lshlrev_b32_e32 v3, 29, v0
	;; [unrolled: 1-line block ×4, first 2 shown]
	v_add_co_u32 v1, s18, v1, -1
	s_delay_alu instid0(VALU_DEP_1)
	v_cndmask_b32_e64 v5, 0, 1, s18
	v_not_b32_e32 v40, v2
	v_cmp_gt_i32_e64 s19, 0, v2
	v_not_b32_e32 v2, v3
	v_lshlrev_b32_e32 v7, 26, v0
	v_cmp_ne_u32_e64 s18, 0, v5
	v_ashrrev_i32_e32 v40, 31, v40
	v_lshlrev_b32_e32 v39, 25, v0
	v_ashrrev_i32_e32 v2, 31, v2
	v_lshlrev_b32_e32 v5, 24, v0
	v_xor_b32_e32 v1, s18, v1
	v_cmp_gt_i32_e64 s18, 0, v3
	v_not_b32_e32 v3, v4
	v_xor_b32_e32 v40, s19, v40
	v_cmp_gt_i32_e64 s19, 0, v4
	v_and_b32_e32 v1, exec_lo, v1
	v_not_b32_e32 v4, v6
	v_ashrrev_i32_e32 v3, 31, v3
	v_xor_b32_e32 v2, s18, v2
	v_cmp_gt_i32_e64 s18, 0, v6
	v_and_b32_e32 v1, v1, v40
	v_not_b32_e32 v6, v7
	v_ashrrev_i32_e32 v4, 31, v4
	v_xor_b32_e32 v3, s19, v3
	v_cmp_gt_i32_e64 s19, 0, v7
	v_and_b32_e32 v1, v1, v2
	;; [unrolled: 5-line block ×3, first 2 shown]
	v_not_b32_e32 v3, v5
	v_ashrrev_i32_e32 v2, 31, v2
	v_xor_b32_e32 v6, s19, v6
	v_lshlrev_b32_e32 v0, 3, v0
	v_and_b32_e32 v1, v1, v4
	v_cmp_gt_i32_e64 s19, 0, v5
	v_ashrrev_i32_e32 v3, 31, v3
	v_xor_b32_e32 v2, s18, v2
	v_add_lshl_u32 v4, v0, v29, 2
	v_and_b32_e32 v1, v1, v6
	s_delay_alu instid0(VALU_DEP_4) | instskip(SKIP_3) | instid1(VALU_DEP_2)
	v_xor_b32_e32 v0, s19, v3
	ds_load_b32 v39, v4 offset:32
	v_and_b32_e32 v1, v1, v2
	v_add_nc_u32_e32 v41, 32, v4
	; wave barrier
	v_and_b32_e32 v0, v1, v0
	s_delay_alu instid0(VALU_DEP_1) | instskip(SKIP_1) | instid1(VALU_DEP_2)
	v_mbcnt_lo_u32_b32 v40, v0, 0
	v_cmp_ne_u32_e64 s19, 0, v0
	v_cmp_eq_u32_e64 s18, 0, v40
	s_delay_alu instid0(VALU_DEP_1) | instskip(NEXT) | instid1(SALU_CYCLE_1)
	s_and_b32 s19, s18, s19
	s_and_saveexec_b32 s18, s19
	s_cbranch_execz .LBB364_10
; %bb.9:                                ;   in Loop: Header=BB364_4 Depth=2
	s_waitcnt lgkmcnt(0)
	v_bcnt_u32_b32 v0, v0, v39
	ds_store_b32 v41, v0
.LBB364_10:                             ;   in Loop: Header=BB364_4 Depth=2
	s_or_b32 exec_lo, exec_lo, s18
	v_lshrrev_b32_e32 v0, s30, v16
	v_lshrrev_b32_e32 v1, s26, v17
	; wave barrier
	s_delay_alu instid0(VALU_DEP_1) | instskip(NEXT) | instid1(VALU_DEP_1)
	v_and_b32_e32 v1, s28, v1
	v_dual_cndmask_b32 v1, 0, v1 :: v_dual_and_b32 v0, s31, v0
	s_delay_alu instid0(VALU_DEP_1) | instskip(NEXT) | instid1(VALU_DEP_1)
	v_lshlrev_b32_e32 v0, s29, v0
	v_cndmask_b32_e64 v0, 0, v0, s17
	s_delay_alu instid0(VALU_DEP_1) | instskip(NEXT) | instid1(VALU_DEP_1)
	v_or_b32_e32 v0, v1, v0
	v_and_b32_e32 v1, 1, v0
	v_lshlrev_b32_e32 v2, 30, v0
	v_lshlrev_b32_e32 v3, 29, v0
	;; [unrolled: 1-line block ×4, first 2 shown]
	v_add_co_u32 v1, s17, v1, -1
	s_delay_alu instid0(VALU_DEP_1)
	v_cndmask_b32_e64 v5, 0, 1, s17
	v_not_b32_e32 v43, v2
	v_cmp_gt_i32_e64 s17, 0, v2
	v_not_b32_e32 v2, v3
	v_lshlrev_b32_e32 v7, 26, v0
	v_cmp_ne_u32_e32 vcc_lo, 0, v5
	v_ashrrev_i32_e32 v43, 31, v43
	v_lshlrev_b32_e32 v42, 25, v0
	v_ashrrev_i32_e32 v2, 31, v2
	v_lshlrev_b32_e32 v5, 24, v0
	v_xor_b32_e32 v1, vcc_lo, v1
	v_cmp_gt_i32_e32 vcc_lo, 0, v3
	v_not_b32_e32 v3, v4
	v_xor_b32_e32 v43, s17, v43
	v_cmp_gt_i32_e64 s17, 0, v4
	v_and_b32_e32 v1, exec_lo, v1
	v_not_b32_e32 v4, v6
	v_ashrrev_i32_e32 v3, 31, v3
	v_xor_b32_e32 v2, vcc_lo, v2
	v_cmp_gt_i32_e32 vcc_lo, 0, v6
	v_and_b32_e32 v1, v1, v43
	v_not_b32_e32 v6, v7
	v_ashrrev_i32_e32 v4, 31, v4
	v_xor_b32_e32 v3, s17, v3
	v_cmp_gt_i32_e64 s17, 0, v7
	v_and_b32_e32 v1, v1, v2
	v_not_b32_e32 v2, v42
	v_ashrrev_i32_e32 v6, 31, v6
	v_xor_b32_e32 v4, vcc_lo, v4
	v_cmp_gt_i32_e32 vcc_lo, 0, v42
	v_and_b32_e32 v1, v1, v3
	v_not_b32_e32 v3, v5
	v_ashrrev_i32_e32 v2, 31, v2
	v_xor_b32_e32 v6, s17, v6
	v_lshlrev_b32_e32 v0, 3, v0
	v_and_b32_e32 v1, v1, v4
	v_cmp_gt_i32_e64 s17, 0, v5
	v_ashrrev_i32_e32 v3, 31, v3
	v_xor_b32_e32 v2, vcc_lo, v2
	v_add_lshl_u32 v4, v0, v29, 2
	v_and_b32_e32 v1, v1, v6
	s_delay_alu instid0(VALU_DEP_4) | instskip(SKIP_3) | instid1(VALU_DEP_2)
	v_xor_b32_e32 v0, s17, v3
	ds_load_b32 v42, v4 offset:32
	v_and_b32_e32 v1, v1, v2
	v_add_nc_u32_e32 v44, 32, v4
	; wave barrier
	v_and_b32_e32 v0, v1, v0
	s_delay_alu instid0(VALU_DEP_1) | instskip(SKIP_1) | instid1(VALU_DEP_2)
	v_mbcnt_lo_u32_b32 v43, v0, 0
	v_cmp_ne_u32_e64 s17, 0, v0
	v_cmp_eq_u32_e32 vcc_lo, 0, v43
	s_delay_alu instid0(VALU_DEP_2) | instskip(NEXT) | instid1(SALU_CYCLE_1)
	s_and_b32 s18, vcc_lo, s17
	s_and_saveexec_b32 s17, s18
	s_cbranch_execz .LBB364_12
; %bb.11:                               ;   in Loop: Header=BB364_4 Depth=2
	s_waitcnt lgkmcnt(0)
	v_bcnt_u32_b32 v0, v0, v42
	ds_store_b32 v44, v0
.LBB364_12:                             ;   in Loop: Header=BB364_4 Depth=2
	s_or_b32 exec_lo, exec_lo, s17
	; wave barrier
	s_waitcnt lgkmcnt(0)
	s_barrier
	buffer_gl0_inv
	ds_load_2addr_b64 v[4:7], v22 offset0:4 offset1:5
	ds_load_2addr_b64 v[0:3], v28 offset0:2 offset1:3
	s_waitcnt lgkmcnt(1)
	v_add_nc_u32_e32 v45, v5, v4
	s_delay_alu instid0(VALU_DEP_1) | instskip(SKIP_1) | instid1(VALU_DEP_1)
	v_add3_u32 v45, v45, v6, v7
	s_waitcnt lgkmcnt(0)
	v_add3_u32 v45, v45, v0, v1
	s_delay_alu instid0(VALU_DEP_1) | instskip(NEXT) | instid1(VALU_DEP_1)
	v_add3_u32 v3, v45, v2, v3
	v_mov_b32_dpp v45, v3 row_shr:1 row_mask:0xf bank_mask:0xf
	s_delay_alu instid0(VALU_DEP_1) | instskip(NEXT) | instid1(VALU_DEP_1)
	v_cndmask_b32_e64 v45, v45, 0, s4
	v_add_nc_u32_e32 v3, v45, v3
	s_delay_alu instid0(VALU_DEP_1) | instskip(NEXT) | instid1(VALU_DEP_1)
	v_mov_b32_dpp v45, v3 row_shr:2 row_mask:0xf bank_mask:0xf
	v_cndmask_b32_e64 v45, 0, v45, s5
	s_delay_alu instid0(VALU_DEP_1) | instskip(NEXT) | instid1(VALU_DEP_1)
	v_add_nc_u32_e32 v3, v3, v45
	v_mov_b32_dpp v45, v3 row_shr:4 row_mask:0xf bank_mask:0xf
	s_delay_alu instid0(VALU_DEP_1) | instskip(NEXT) | instid1(VALU_DEP_1)
	v_cndmask_b32_e64 v45, 0, v45, s6
	v_add_nc_u32_e32 v3, v3, v45
	s_delay_alu instid0(VALU_DEP_1) | instskip(NEXT) | instid1(VALU_DEP_1)
	v_mov_b32_dpp v45, v3 row_shr:8 row_mask:0xf bank_mask:0xf
	v_cndmask_b32_e64 v45, 0, v45, s7
	s_delay_alu instid0(VALU_DEP_1) | instskip(SKIP_3) | instid1(VALU_DEP_1)
	v_add_nc_u32_e32 v3, v3, v45
	ds_swizzle_b32 v45, v3 offset:swizzle(BROADCAST,32,15)
	s_waitcnt lgkmcnt(0)
	v_cndmask_b32_e64 v45, v45, 0, s8
	v_add_nc_u32_e32 v3, v3, v45
	s_and_saveexec_b32 s17, s9
	s_cbranch_execz .LBB364_14
; %bb.13:                               ;   in Loop: Header=BB364_4 Depth=2
	ds_store_b32 v31, v3
.LBB364_14:                             ;   in Loop: Header=BB364_4 Depth=2
	s_or_b32 exec_lo, exec_lo, s17
	s_waitcnt lgkmcnt(0)
	s_barrier
	buffer_gl0_inv
	s_and_saveexec_b32 s17, s10
	s_cbranch_execz .LBB364_16
; %bb.15:                               ;   in Loop: Header=BB364_4 Depth=2
	ds_load_b32 v45, v32
	s_waitcnt lgkmcnt(0)
	v_mov_b32_dpp v46, v45 row_shr:1 row_mask:0xf bank_mask:0xf
	s_delay_alu instid0(VALU_DEP_1) | instskip(NEXT) | instid1(VALU_DEP_1)
	v_cndmask_b32_e64 v46, v46, 0, s14
	v_add_nc_u32_e32 v45, v46, v45
	s_delay_alu instid0(VALU_DEP_1) | instskip(NEXT) | instid1(VALU_DEP_1)
	v_mov_b32_dpp v46, v45 row_shr:2 row_mask:0xf bank_mask:0xf
	v_cndmask_b32_e64 v46, 0, v46, s15
	s_delay_alu instid0(VALU_DEP_1) | instskip(NEXT) | instid1(VALU_DEP_1)
	v_add_nc_u32_e32 v45, v45, v46
	v_mov_b32_dpp v46, v45 row_shr:4 row_mask:0xf bank_mask:0xf
	s_delay_alu instid0(VALU_DEP_1) | instskip(NEXT) | instid1(VALU_DEP_1)
	v_cndmask_b32_e64 v46, 0, v46, s16
	v_add_nc_u32_e32 v45, v45, v46
	ds_store_b32 v32, v45
.LBB364_16:                             ;   in Loop: Header=BB364_4 Depth=2
	s_or_b32 exec_lo, exec_lo, s17
	v_mov_b32_e32 v45, 0
	s_waitcnt lgkmcnt(0)
	s_barrier
	buffer_gl0_inv
	s_and_saveexec_b32 s17, s11
	s_cbranch_execz .LBB364_18
; %bb.17:                               ;   in Loop: Header=BB364_4 Depth=2
	ds_load_b32 v45, v33
.LBB364_18:                             ;   in Loop: Header=BB364_4 Depth=2
	s_or_b32 exec_lo, exec_lo, s17
	s_waitcnt lgkmcnt(0)
	v_add_nc_u32_e32 v3, v45, v3
	s_cmp_gt_u32 s26, 55
	ds_bpermute_b32 v3, v30, v3
	s_waitcnt lgkmcnt(0)
	v_cndmask_b32_e64 v3, v3, v45, s12
	s_delay_alu instid0(VALU_DEP_1) | instskip(NEXT) | instid1(VALU_DEP_1)
	v_cndmask_b32_e64 v3, v3, 0, s13
	v_add_nc_u32_e32 v4, v3, v4
	s_delay_alu instid0(VALU_DEP_1) | instskip(NEXT) | instid1(VALU_DEP_1)
	v_add_nc_u32_e32 v5, v4, v5
	v_add_nc_u32_e32 v6, v5, v6
	s_delay_alu instid0(VALU_DEP_1) | instskip(SKIP_1) | instid1(VALU_DEP_2)
	v_add_nc_u32_e32 v45, v6, v7
	v_lshlrev_b32_e32 v7, 3, v40
	v_add_nc_u32_e32 v46, v45, v0
	s_delay_alu instid0(VALU_DEP_1) | instskip(NEXT) | instid1(VALU_DEP_1)
	v_add_nc_u32_e32 v0, v46, v1
	v_add_nc_u32_e32 v1, v0, v2
	ds_store_2addr_b64 v22, v[3:4], v[5:6] offset0:4 offset1:5
	ds_store_2addr_b64 v28, v[45:46], v[0:1] offset0:2 offset1:3
	s_waitcnt lgkmcnt(0)
	s_barrier
	buffer_gl0_inv
	ds_load_b32 v0, v38
	ds_load_b32 v1, v41
	;; [unrolled: 1-line block ×4, first 2 shown]
	v_lshlrev_b32_e32 v4, 3, v8
	v_lshlrev_b32_e32 v5, 3, v37
	v_lshlrev_b32_e32 v6, 3, v36
	v_lshlrev_b32_e32 v8, 3, v39
	v_lshlrev_b32_e32 v38, 3, v43
	v_lshlrev_b32_e32 v39, 3, v42
	s_waitcnt lgkmcnt(0)
	v_lshlrev_b32_e32 v0, 3, v0
	v_lshlrev_b32_e32 v1, 3, v1
	;; [unrolled: 1-line block ×3, first 2 shown]
	v_lshl_add_u32 v35, v3, 3, v4
	s_delay_alu instid0(VALU_DEP_4) | instskip(NEXT) | instid1(VALU_DEP_4)
	v_add3_u32 v36, v5, v6, v0
	v_add3_u32 v37, v7, v8, v1
	s_delay_alu instid0(VALU_DEP_4)
	v_add3_u32 v8, v38, v39, v2
	s_cbranch_scc0 .LBB364_3
; %bb.19:                               ;   in Loop: Header=BB364_2 Depth=1
                                        ; implicit-def: $sgpr26
                                        ; implicit-def: $vgpr0_vgpr1
                                        ; implicit-def: $vgpr4_vgpr5
                                        ; implicit-def: $sgpr21
                                        ; implicit-def: $sgpr20
	s_branch .LBB364_1
.LBB364_20:
	v_lshlrev_b32_e32 v0, 3, v9
	s_add_u32 s0, s22, s24
	s_addc_u32 s1, s23, s25
	s_delay_alu instid0(VALU_DEP_1) | instskip(NEXT) | instid1(VALU_DEP_1)
	v_add_co_u32 v9, s2, s0, v0
	v_add_co_ci_u32_e64 v10, null, s1, 0, s2
	s_delay_alu instid0(VALU_DEP_2) | instskip(NEXT) | instid1(VALU_DEP_2)
	v_add_co_u32 v9, vcc_lo, 0x1000, v9
	v_add_co_ci_u32_e32 v10, vcc_lo, 0, v10, vcc_lo
	s_clause 0x3
	global_store_b64 v0, v[5:6], s[0:1]
	global_store_b64 v0, v[7:8], s[0:1] offset:2048
	global_store_b64 v[9:10], v[1:2], off
	global_store_b64 v[9:10], v[3:4], off offset:2048
	s_nop 0
	s_sendmsg sendmsg(MSG_DEALLOC_VGPRS)
	s_endpgm
	.section	.rodata,"a",@progbits
	.p2align	6, 0x0
	.amdhsa_kernel _Z16sort_keys_kernelI22helper_blocked_stripedN15benchmark_utils11custom_typeIiiEELj256ELj4ELj10EEvPKT0_PS4_
		.amdhsa_group_segment_fixed_size 8224
		.amdhsa_private_segment_fixed_size 0
		.amdhsa_kernarg_size 272
		.amdhsa_user_sgpr_count 15
		.amdhsa_user_sgpr_dispatch_ptr 0
		.amdhsa_user_sgpr_queue_ptr 0
		.amdhsa_user_sgpr_kernarg_segment_ptr 1
		.amdhsa_user_sgpr_dispatch_id 0
		.amdhsa_user_sgpr_private_segment_size 0
		.amdhsa_wavefront_size32 1
		.amdhsa_uses_dynamic_stack 0
		.amdhsa_enable_private_segment 0
		.amdhsa_system_sgpr_workgroup_id_x 1
		.amdhsa_system_sgpr_workgroup_id_y 0
		.amdhsa_system_sgpr_workgroup_id_z 0
		.amdhsa_system_sgpr_workgroup_info 0
		.amdhsa_system_vgpr_workitem_id 2
		.amdhsa_next_free_vgpr 47
		.amdhsa_next_free_sgpr 32
		.amdhsa_reserve_vcc 1
		.amdhsa_float_round_mode_32 0
		.amdhsa_float_round_mode_16_64 0
		.amdhsa_float_denorm_mode_32 3
		.amdhsa_float_denorm_mode_16_64 3
		.amdhsa_dx10_clamp 1
		.amdhsa_ieee_mode 1
		.amdhsa_fp16_overflow 0
		.amdhsa_workgroup_processor_mode 1
		.amdhsa_memory_ordered 1
		.amdhsa_forward_progress 0
		.amdhsa_shared_vgpr_count 0
		.amdhsa_exception_fp_ieee_invalid_op 0
		.amdhsa_exception_fp_denorm_src 0
		.amdhsa_exception_fp_ieee_div_zero 0
		.amdhsa_exception_fp_ieee_overflow 0
		.amdhsa_exception_fp_ieee_underflow 0
		.amdhsa_exception_fp_ieee_inexact 0
		.amdhsa_exception_int_div_zero 0
	.end_amdhsa_kernel
	.section	.text._Z16sort_keys_kernelI22helper_blocked_stripedN15benchmark_utils11custom_typeIiiEELj256ELj4ELj10EEvPKT0_PS4_,"axG",@progbits,_Z16sort_keys_kernelI22helper_blocked_stripedN15benchmark_utils11custom_typeIiiEELj256ELj4ELj10EEvPKT0_PS4_,comdat
.Lfunc_end364:
	.size	_Z16sort_keys_kernelI22helper_blocked_stripedN15benchmark_utils11custom_typeIiiEELj256ELj4ELj10EEvPKT0_PS4_, .Lfunc_end364-_Z16sort_keys_kernelI22helper_blocked_stripedN15benchmark_utils11custom_typeIiiEELj256ELj4ELj10EEvPKT0_PS4_
                                        ; -- End function
	.section	.AMDGPU.csdata,"",@progbits
; Kernel info:
; codeLenInByte = 3764
; NumSgprs: 34
; NumVgprs: 47
; ScratchSize: 0
; MemoryBound: 0
; FloatMode: 240
; IeeeMode: 1
; LDSByteSize: 8224 bytes/workgroup (compile time only)
; SGPRBlocks: 4
; VGPRBlocks: 5
; NumSGPRsForWavesPerEU: 34
; NumVGPRsForWavesPerEU: 47
; Occupancy: 16
; WaveLimiterHint : 1
; COMPUTE_PGM_RSRC2:SCRATCH_EN: 0
; COMPUTE_PGM_RSRC2:USER_SGPR: 15
; COMPUTE_PGM_RSRC2:TRAP_HANDLER: 0
; COMPUTE_PGM_RSRC2:TGID_X_EN: 1
; COMPUTE_PGM_RSRC2:TGID_Y_EN: 0
; COMPUTE_PGM_RSRC2:TGID_Z_EN: 0
; COMPUTE_PGM_RSRC2:TIDIG_COMP_CNT: 2
	.section	.text._Z17sort_pairs_kernelI22helper_blocked_stripedN15benchmark_utils11custom_typeIiiEELj256ELj4ELj10EEvPKT0_PS4_,"axG",@progbits,_Z17sort_pairs_kernelI22helper_blocked_stripedN15benchmark_utils11custom_typeIiiEELj256ELj4ELj10EEvPKT0_PS4_,comdat
	.protected	_Z17sort_pairs_kernelI22helper_blocked_stripedN15benchmark_utils11custom_typeIiiEELj256ELj4ELj10EEvPKT0_PS4_ ; -- Begin function _Z17sort_pairs_kernelI22helper_blocked_stripedN15benchmark_utils11custom_typeIiiEELj256ELj4ELj10EEvPKT0_PS4_
	.globl	_Z17sort_pairs_kernelI22helper_blocked_stripedN15benchmark_utils11custom_typeIiiEELj256ELj4ELj10EEvPKT0_PS4_
	.p2align	8
	.type	_Z17sort_pairs_kernelI22helper_blocked_stripedN15benchmark_utils11custom_typeIiiEELj256ELj4ELj10EEvPKT0_PS4_,@function
_Z17sort_pairs_kernelI22helper_blocked_stripedN15benchmark_utils11custom_typeIiiEELj256ELj4ELj10EEvPKT0_PS4_: ; @_Z17sort_pairs_kernelI22helper_blocked_stripedN15benchmark_utils11custom_typeIiiEELj256ELj4ELj10EEvPKT0_PS4_
; %bb.0:
	s_clause 0x1
	s_load_b128 s[20:23], s[0:1], 0x0
	s_load_b32 s16, s[0:1], 0x1c
	v_mbcnt_lo_u32_b32 v7, -1, 0
	s_mov_b32 s27, 0
	s_lshl_b32 s26, s15, 10
	v_bfe_u32 v6, v0, 10, 10
	s_lshl_b64 s[24:25], s[26:27], 3
	v_add_nc_u32_e32 v10, -1, v7
	v_and_b32_e32 v9, 16, v7
	v_and_b32_e32 v5, 3, v7
	;; [unrolled: 1-line block ×4, first 2 shown]
	v_cmp_gt_i32_e32 vcc_lo, 0, v10
	v_and_b32_e32 v22, 0x3ff, v0
	v_cmp_eq_u32_e64 s9, 0, v9
	v_bfe_u32 v0, v0, 20, 10
	v_cmp_eq_u32_e64 s2, 1, v5
	v_cndmask_b32_e32 v9, v10, v7, vcc_lo
	v_lshlrev_b32_e32 v33, 5, v22
	v_lshlrev_b32_e32 v35, 2, v22
	s_waitcnt lgkmcnt(0)
	s_add_u32 s0, s20, s24
	s_addc_u32 s1, s21, s25
	s_lshr_b32 s15, s16, 16
	s_clause 0x1
	global_load_b128 v[18:21], v33, s[0:1]
	global_load_b128 v[1:4], v33, s[0:1] offset:16
	v_mad_u32_u24 v0, v0, s15, v6
	v_lshrrev_b32_e32 v10, 3, v22
	s_and_b32 s16, s16, 0xffff
	v_cmp_eq_u32_e64 s1, 0, v5
	v_cmp_eq_u32_e64 s3, 2, v5
	;; [unrolled: 1-line block ×3, first 2 shown]
	v_mad_u64_u32 v[5:6], null, v0, s16, v[22:23]
	v_and_b32_e32 v11, 7, v7
	v_cmp_eq_u32_e64 s5, 0, v8
	v_cmp_lt_u32_e64 s6, 1, v8
	v_cmp_lt_u32_e64 s7, 3, v8
	;; [unrolled: 1-line block ×3, first 2 shown]
	v_or_b32_e32 v8, 31, v22
	v_and_b32_e32 v40, 28, v10
	v_and_or_b32 v0, 0x380, v35, v7
	v_cmp_eq_u32_e64 s0, 0, v7
	v_or_b32_e32 v36, 32, v34
	v_or_b32_e32 v37, 64, v34
	;; [unrolled: 1-line block ×3, first 2 shown]
	v_cmp_gt_u32_e64 s10, 8, v22
	v_cmp_lt_u32_e64 s11, 31, v22
	v_cmp_eq_u32_e64 s12, 0, v22
	v_cmp_eq_u32_e64 s13, 0, v11
	v_cmp_lt_u32_e64 s14, 1, v11
	v_cmp_lt_u32_e64 s15, 3, v11
	v_add_nc_u32_e32 v39, 32, v33
	v_cmp_eq_u32_e64 s16, v8, v22
	v_lshlrev_b32_e32 v41, 2, v9
	v_mad_i32_i24 v42, 0xffffffe4, v22, v33
	v_add_nc_u32_e32 v43, -4, v40
	v_lshlrev_b32_e32 v44, 3, v0
	v_lshrrev_b32_e32 v45, 5, v5
	s_mov_b32 s26, s27
	s_mov_b32 s20, s27
	;; [unrolled: 1-line block ×4, first 2 shown]
	s_waitcnt vmcnt(1)
	v_add_nc_u32_e32 v15, 1, v19
	v_add_nc_u32_e32 v14, 1, v18
	;; [unrolled: 1-line block ×4, first 2 shown]
	s_waitcnt vmcnt(0)
	v_add_nc_u32_e32 v9, 1, v2
	v_add_nc_u32_e32 v8, 1, v1
	v_add_nc_u32_e32 v11, 1, v4
	v_add_nc_u32_e32 v10, 1, v3
	s_branch .LBB365_2
.LBB365_1:                              ;   in Loop: Header=BB365_2 Depth=1
	v_add_nc_u32_e32 v8, v42, v35
	s_barrier
	buffer_gl0_inv
	ds_store_b64 v46, v[16:17]
	ds_store_b64 v47, v[29:30]
	;; [unrolled: 1-line block ×4, first 2 shown]
	s_waitcnt lgkmcnt(0)
	s_barrier
	buffer_gl0_inv
	ds_load_2addr_stride64_b64 v[0:3], v8 offset1:4
	ds_load_2addr_stride64_b64 v[4:7], v8 offset0:8 offset1:12
	s_waitcnt lgkmcnt(0)
	s_barrier
	buffer_gl0_inv
	ds_store_b64 v46, v[20:21]
	ds_store_b64 v47, v[18:19]
	;; [unrolled: 1-line block ×4, first 2 shown]
	s_waitcnt lgkmcnt(0)
	s_barrier
	buffer_gl0_inv
	ds_load_2addr_stride64_b64 v[14:17], v8 offset1:4
	ds_load_2addr_stride64_b64 v[8:11], v8 offset0:8 offset1:12
	s_add_i32 s28, s28, 1
	s_delay_alu instid0(SALU_CYCLE_1)
	s_cmp_lg_u32 s28, 10
	v_xor_b32_e32 v18, 0x80000000, v0
	v_xor_b32_e32 v19, 0x80000000, v1
	;; [unrolled: 1-line block ×8, first 2 shown]
	s_cbranch_scc0 .LBB365_20
.LBB365_2:                              ; =>This Loop Header: Depth=1
                                        ;     Child Loop BB365_4 Depth 2
	v_xor_b32_e32 v0, 0x80000000, v19
	v_xor_b32_e32 v5, 0x80000000, v18
	;; [unrolled: 1-line block ×5, first 2 shown]
	ds_bpermute_b32 v1, v34, v0
	v_xor_b32_e32 v13, 0x80000000, v2
	ds_bpermute_b32 v2, v34, v5
	v_xor_b32_e32 v18, 0x80000000, v3
	ds_bpermute_b32 v3, v34, v7
	ds_bpermute_b32 v19, v34, v6
	;; [unrolled: 1-line block ×6, first 2 shown]
	v_xor_b32_e32 v4, 0x80000000, v4
	ds_bpermute_b32 v20, v34, v12
	ds_bpermute_b32 v23, v34, v13
	;; [unrolled: 1-line block ×9, first 2 shown]
	s_waitcnt lgkmcnt(16)
	v_cndmask_b32_e64 v1, 0, v1, s1
	ds_bpermute_b32 v47, v36, v4
	s_waitcnt lgkmcnt(16)
	v_cndmask_b32_e64 v2, 0, v2, s1
	ds_bpermute_b32 v48, v37, v7
	ds_bpermute_b32 v49, v37, v6
	s_waitcnt lgkmcnt(17)
	v_cndmask_b32_e64 v1, v1, v3, s2
	s_waitcnt lgkmcnt(15)
	v_cndmask_b32_e64 v3, 0, v21, s1
	v_cndmask_b32_e64 v2, v2, v19, s2
	s_waitcnt lgkmcnt(14)
	v_cndmask_b32_e64 v19, 0, v25, s1
	ds_bpermute_b32 v21, v38, v0
	ds_bpermute_b32 v50, v37, v12
	s_waitcnt lgkmcnt(15)
	v_cndmask_b32_e64 v0, v3, v27, s2
	ds_bpermute_b32 v51, v37, v13
	s_waitcnt lgkmcnt(15)
	v_cndmask_b32_e64 v3, v19, v28, s2
	s_waitcnt lgkmcnt(13)
	v_cndmask_b32_e64 v1, v1, v23, s3
	v_cndmask_b32_e64 v2, v2, v20, s3
	ds_bpermute_b32 v5, v38, v5
	s_waitcnt lgkmcnt(10)
	v_cndmask_b32_e64 v23, v0, v30, s3
	v_cndmask_b32_e64 v25, v3, v29, s3
	;; [unrolled: 1-line block ×4, first 2 shown]
	ds_bpermute_b32 v7, v38, v7
	ds_bpermute_b32 v26, v34, v14
	s_waitcnt lgkmcnt(11)
	v_cndmask_b32_e64 v2, v25, v46, s4
	ds_bpermute_b32 v25, v34, v15
	s_waitcnt lgkmcnt(11)
	v_cndmask_b32_e64 v19, 0, v31, s1
	s_waitcnt lgkmcnt(10)
	v_cndmask_b32_e64 v20, 0, v32, s1
	ds_bpermute_b32 v24, v37, v4
	ds_bpermute_b32 v6, v38, v6
	ds_bpermute_b32 v27, v34, v17
	ds_bpermute_b32 v28, v34, v16
	s_waitcnt lgkmcnt(12)
	v_cndmask_b32_e64 v19, v19, v48, s2
	s_waitcnt lgkmcnt(11)
	v_cndmask_b32_e64 v20, v20, v49, s2
	v_cndmask_b32_e64 v3, v23, v47, s4
	ds_bpermute_b32 v23, v37, v18
	ds_bpermute_b32 v13, v38, v13
	ds_bpermute_b32 v12, v38, v12
	ds_bpermute_b32 v31, v34, v9
	ds_bpermute_b32 v32, v34, v8
	ds_bpermute_b32 v46, v36, v15
	ds_bpermute_b32 v47, v36, v14
	s_waitcnt lgkmcnt(15)
	v_cndmask_b32_e64 v19, v19, v51, s3
	v_cndmask_b32_e64 v20, v20, v50, s3
	;; [unrolled: 1-line block ×3, first 2 shown]
	ds_bpermute_b32 v30, v38, v4
	ds_bpermute_b32 v18, v38, v18
	ds_bpermute_b32 v48, v34, v11
	ds_bpermute_b32 v49, v34, v10
	ds_bpermute_b32 v50, v36, v17
	ds_bpermute_b32 v51, v36, v16
	s_waitcnt lgkmcnt(20)
	v_cndmask_b32_e64 v29, 0, v5, s1
	s_waitcnt lgkmcnt(19)
	v_cndmask_b32_e64 v4, v21, v7, s2
	s_waitcnt lgkmcnt(17)
	v_cndmask_b32_e64 v7, 0, v25, s1
	v_cndmask_b32_e64 v21, 0, v26, s1
	s_waitcnt lgkmcnt(16)
	v_cndmask_b32_e64 v5, v19, v24, s4
	s_waitcnt lgkmcnt(15)
	;; [unrolled: 2-line block ×3, first 2 shown]
	v_cndmask_b32_e64 v13, v4, v13, s3
	v_cndmask_b32_e64 v19, v7, v27, s2
	;; [unrolled: 1-line block ×4, first 2 shown]
	s_waitcnt lgkmcnt(10)
	v_cndmask_b32_e64 v6, v6, v12, s3
	s_waitcnt lgkmcnt(7)
	v_cndmask_b32_e64 v20, 0, v46, s1
	v_cndmask_b32_e64 v12, v19, v31, s3
	;; [unrolled: 1-line block ×3, first 2 shown]
	s_waitcnt lgkmcnt(6)
	v_cndmask_b32_e64 v21, 0, v47, s1
	s_waitcnt lgkmcnt(5)
	v_cndmask_b32_e64 v7, v13, v30, s4
	;; [unrolled: 2-line block ×7, first 2 shown]
	ds_bpermute_b32 v20, v36, v9
	ds_bpermute_b32 v21, v37, v15
	;; [unrolled: 1-line block ×20, first 2 shown]
	s_waitcnt lgkmcnt(19)
	v_cndmask_b32_e64 v18, v18, v20, s3
	s_waitcnt lgkmcnt(18)
	v_cndmask_b32_e64 v20, 0, v21, s1
	;; [unrolled: 2-line block ×5, first 2 shown]
	s_mov_b32 s29, 8
	s_waitcnt lgkmcnt(14)
	v_cndmask_b32_e64 v20, v20, v25, s2
	s_waitcnt lgkmcnt(13)
	v_cndmask_b32_e64 v21, v21, v26, s2
	;; [unrolled: 2-line block ×15, first 2 shown]
	s_mov_b32 s30, 32
	s_mov_b32 s31, 0
	s_barrier
	s_branch .LBB365_4
.LBB365_3:                              ;   in Loop: Header=BB365_4 Depth=2
	s_barrier
	buffer_gl0_inv
	ds_store_b64 v46, v[16:17]
	ds_store_b64 v47, v[29:30]
	;; [unrolled: 1-line block ×4, first 2 shown]
	s_waitcnt lgkmcnt(0)
	s_barrier
	buffer_gl0_inv
	ds_load_2addr_b64 v[0:3], v44 offset1:32
	ds_load_2addr_b64 v[4:7], v44 offset0:64 offset1:96
	s_waitcnt lgkmcnt(0)
	s_barrier
	buffer_gl0_inv
	ds_store_b64 v46, v[20:21]
	ds_store_b64 v47, v[18:19]
	;; [unrolled: 1-line block ×4, first 2 shown]
	s_waitcnt lgkmcnt(0)
	s_barrier
	buffer_gl0_inv
	ds_load_2addr_b64 v[12:15], v44 offset1:32
	ds_load_2addr_b64 v[8:11], v44 offset0:64 offset1:96
	s_add_i32 s30, s30, -8
	s_add_i32 s29, s29, 8
	s_add_i32 s31, s31, 8
	s_waitcnt lgkmcnt(0)
	s_barrier
	s_cbranch_execz .LBB365_1
.LBB365_4:                              ;   Parent Loop BB365_2 Depth=1
                                        ; =>  This Inner Loop Header: Depth=2
	s_min_i32 s18, s29, 32
	s_cmp_lt_u32 s31, 32
	v_dual_mov_b32 v17, v1 :: v_dual_mov_b32 v16, v0
	s_cselect_b32 vcc_lo, -1, 0
	s_cmp_gt_u32 s31, 24
	v_mov_b32_e32 v28, v7
	s_cselect_b32 s17, -1, 0
	s_sub_i32 s18, s18, 32
	v_lshrrev_b32_e32 v1, s31, v17
	s_add_i32 s19, s18, s30
	v_mov_b32_e32 v32, v5
	s_lshl_b32 s19, -1, s19
	buffer_gl0_inv
	s_not_b32 s19, s19
	s_cmp_lg_u32 s18, s31
	v_mov_b32_e32 v30, v3
	s_cselect_b32 s33, s19, -1
	s_max_i32 s34, s30, 0
	s_max_i32 s18, s31, 32
	v_and_b32_e32 v1, s33, v1
	s_sub_i32 s19, s18, s34
	s_sub_i32 s35, s18, 32
	;; [unrolled: 1-line block ×3, first 2 shown]
	v_lshrrev_b32_e32 v0, s35, v16
	s_min_i32 s18, s19, 32
	v_cndmask_b32_e32 v1, 0, v1, vcc_lo
	s_sub_i32 s18, s18, s35
	v_mov_b32_e32 v29, v2
	s_lshl_b32 s19, -1, s18
	v_mov_b32_e32 v27, v6
	s_not_b32 s19, s19
	s_cmp_lg_u32 s18, 32
	v_mov_b32_e32 v31, v4
	s_cselect_b32 s36, s19, -1
	s_delay_alu instid0(SALU_CYCLE_1) | instskip(NEXT) | instid1(VALU_DEP_1)
	v_and_b32_e32 v0, s36, v0
	v_lshlrev_b32_e32 v0, s34, v0
	s_delay_alu instid0(VALU_DEP_1) | instskip(NEXT) | instid1(VALU_DEP_1)
	v_cndmask_b32_e64 v0, 0, v0, s17
	v_or_b32_e32 v46, v1, v0
	s_delay_alu instid0(VALU_DEP_1)
	v_and_b32_e32 v0, 1, v46
	v_lshlrev_b32_e32 v1, 30, v46
	v_lshlrev_b32_e32 v18, 29, v46
	;; [unrolled: 1-line block ×4, first 2 shown]
	v_add_co_u32 v0, s18, v0, -1
	s_delay_alu instid0(VALU_DEP_1)
	v_cndmask_b32_e64 v20, 0, 1, s18
	v_not_b32_e32 v25, v1
	v_cmp_gt_i32_e64 s19, 0, v1
	v_lshlrev_b32_e32 v23, 26, v46
	v_lshlrev_b32_e32 v24, 25, v46
	v_cmp_ne_u32_e64 s18, 0, v20
	v_ashrrev_i32_e32 v25, 31, v25
	v_lshlrev_b32_e32 v20, 24, v46
	s_delay_alu instid0(VALU_DEP_3) | instskip(NEXT) | instid1(VALU_DEP_3)
	v_xor_b32_e32 v0, s18, v0
	v_xor_b32_e32 v25, s19, v25
	s_delay_alu instid0(VALU_DEP_2) | instskip(NEXT) | instid1(VALU_DEP_1)
	v_and_b32_e32 v0, exec_lo, v0
	v_and_b32_e32 v0, v0, v25
	v_dual_mov_b32 v26, v9 :: v_dual_mov_b32 v25, v8
	v_not_b32_e32 v1, v18
	v_cmp_gt_i32_e64 s18, 0, v18
	v_not_b32_e32 v18, v19
	v_cmp_gt_i32_e64 s19, 0, v19
	v_not_b32_e32 v19, v21
	v_ashrrev_i32_e32 v1, 31, v1
	s_delay_alu instid0(VALU_DEP_4) | instskip(NEXT) | instid1(VALU_DEP_3)
	v_ashrrev_i32_e32 v18, 31, v18
	v_ashrrev_i32_e32 v19, 31, v19
	s_delay_alu instid0(VALU_DEP_3)
	v_xor_b32_e32 v1, s18, v1
	v_cmp_gt_i32_e64 s18, 0, v21
	v_not_b32_e32 v21, v23
	v_xor_b32_e32 v18, s19, v18
	v_cmp_gt_i32_e64 s19, 0, v23
	v_and_b32_e32 v0, v0, v1
	v_not_b32_e32 v1, v24
	v_ashrrev_i32_e32 v21, 31, v21
	v_xor_b32_e32 v19, s18, v19
	v_cmp_gt_i32_e64 s18, 0, v24
	v_and_b32_e32 v0, v0, v18
	v_not_b32_e32 v18, v20
	v_ashrrev_i32_e32 v1, 31, v1
	v_xor_b32_e32 v21, s19, v21
	v_cmp_gt_i32_e64 s19, 0, v20
	v_and_b32_e32 v0, v0, v19
	v_ashrrev_i32_e32 v23, 31, v18
	v_xor_b32_e32 v1, s18, v1
	v_dual_mov_b32 v19, v15 :: v_dual_mov_b32 v18, v14
	s_delay_alu instid0(VALU_DEP_4) | instskip(SKIP_3) | instid1(VALU_DEP_4)
	v_dual_mov_b32 v21, v13 :: v_dual_and_b32 v0, v0, v21
	v_mov_b32_e32 v20, v12
	v_xor_b32_e32 v12, s19, v23
	v_mov_b32_e32 v24, v11
	v_dual_mov_b32 v23, v10 :: v_dual_and_b32 v0, v0, v1
	v_mov_b32_e32 v1, s26
	v_dual_mov_b32 v9, s20 :: v_dual_mov_b32 v2, s27
	s_delay_alu instid0(VALU_DEP_3)
	v_and_b32_e32 v0, v0, v12
	v_mov_b32_e32 v10, s21
	ds_store_2addr_b64 v33, v[1:2], v[9:10] offset0:4 offset1:5
	ds_store_2addr_b64 v39, v[1:2], v[9:10] offset0:2 offset1:3
	v_mbcnt_lo_u32_b32 v8, v0, 0
	v_lshl_add_u32 v1, v46, 3, v45
	v_cmp_ne_u32_e64 s19, 0, v0
	s_waitcnt lgkmcnt(0)
	s_barrier
	v_cmp_eq_u32_e64 s18, 0, v8
	v_lshl_add_u32 v9, v1, 2, 32
	buffer_gl0_inv
	; wave barrier
	s_and_b32 s19, s18, s19
	s_delay_alu instid0(SALU_CYCLE_1)
	s_and_saveexec_b32 s18, s19
	s_cbranch_execz .LBB365_6
; %bb.5:                                ;   in Loop: Header=BB365_4 Depth=2
	v_bcnt_u32_b32 v0, v0, 0
	ds_store_b32 v9, v0
.LBB365_6:                              ;   in Loop: Header=BB365_4 Depth=2
	s_or_b32 exec_lo, exec_lo, s18
	v_lshrrev_b32_e32 v0, s35, v29
	v_lshrrev_b32_e32 v1, s31, v30
	; wave barrier
	s_delay_alu instid0(VALU_DEP_1) | instskip(NEXT) | instid1(VALU_DEP_1)
	v_and_b32_e32 v1, s33, v1
	v_dual_cndmask_b32 v1, 0, v1 :: v_dual_and_b32 v0, s36, v0
	s_delay_alu instid0(VALU_DEP_1) | instskip(NEXT) | instid1(VALU_DEP_1)
	v_lshlrev_b32_e32 v0, s34, v0
	v_cndmask_b32_e64 v0, 0, v0, s17
	s_delay_alu instid0(VALU_DEP_1) | instskip(NEXT) | instid1(VALU_DEP_1)
	v_or_b32_e32 v0, v1, v0
	v_and_b32_e32 v1, 1, v0
	v_lshlrev_b32_e32 v2, 30, v0
	v_lshlrev_b32_e32 v3, 29, v0
	;; [unrolled: 1-line block ×4, first 2 shown]
	v_add_co_u32 v1, s18, v1, -1
	s_delay_alu instid0(VALU_DEP_1)
	v_cndmask_b32_e64 v5, 0, 1, s18
	v_not_b32_e32 v11, v2
	v_cmp_gt_i32_e64 s19, 0, v2
	v_not_b32_e32 v2, v3
	v_lshlrev_b32_e32 v7, 26, v0
	v_cmp_ne_u32_e64 s18, 0, v5
	v_ashrrev_i32_e32 v11, 31, v11
	v_lshlrev_b32_e32 v10, 25, v0
	v_ashrrev_i32_e32 v2, 31, v2
	v_lshlrev_b32_e32 v5, 24, v0
	v_xor_b32_e32 v1, s18, v1
	v_cmp_gt_i32_e64 s18, 0, v3
	v_not_b32_e32 v3, v4
	v_xor_b32_e32 v11, s19, v11
	v_cmp_gt_i32_e64 s19, 0, v4
	v_and_b32_e32 v1, exec_lo, v1
	v_not_b32_e32 v4, v6
	v_ashrrev_i32_e32 v3, 31, v3
	v_xor_b32_e32 v2, s18, v2
	v_cmp_gt_i32_e64 s18, 0, v6
	v_and_b32_e32 v1, v1, v11
	v_not_b32_e32 v6, v7
	v_ashrrev_i32_e32 v4, 31, v4
	v_xor_b32_e32 v3, s19, v3
	v_cmp_gt_i32_e64 s19, 0, v7
	v_and_b32_e32 v1, v1, v2
	;; [unrolled: 5-line block ×3, first 2 shown]
	v_not_b32_e32 v3, v5
	v_ashrrev_i32_e32 v2, 31, v2
	v_xor_b32_e32 v6, s19, v6
	v_lshlrev_b32_e32 v0, 3, v0
	v_and_b32_e32 v1, v1, v4
	v_cmp_gt_i32_e64 s19, 0, v5
	v_ashrrev_i32_e32 v3, 31, v3
	v_xor_b32_e32 v2, s18, v2
	v_add_lshl_u32 v4, v0, v45, 2
	v_and_b32_e32 v1, v1, v6
	s_delay_alu instid0(VALU_DEP_4) | instskip(SKIP_3) | instid1(VALU_DEP_2)
	v_xor_b32_e32 v0, s19, v3
	ds_load_b32 v10, v4 offset:32
	v_and_b32_e32 v1, v1, v2
	v_add_nc_u32_e32 v12, 32, v4
	; wave barrier
	v_and_b32_e32 v0, v1, v0
	s_delay_alu instid0(VALU_DEP_1) | instskip(SKIP_1) | instid1(VALU_DEP_2)
	v_mbcnt_lo_u32_b32 v11, v0, 0
	v_cmp_ne_u32_e64 s19, 0, v0
	v_cmp_eq_u32_e64 s18, 0, v11
	s_delay_alu instid0(VALU_DEP_1) | instskip(NEXT) | instid1(SALU_CYCLE_1)
	s_and_b32 s19, s18, s19
	s_and_saveexec_b32 s18, s19
	s_cbranch_execz .LBB365_8
; %bb.7:                                ;   in Loop: Header=BB365_4 Depth=2
	s_waitcnt lgkmcnt(0)
	v_bcnt_u32_b32 v0, v0, v10
	ds_store_b32 v12, v0
.LBB365_8:                              ;   in Loop: Header=BB365_4 Depth=2
	s_or_b32 exec_lo, exec_lo, s18
	v_lshrrev_b32_e32 v0, s35, v31
	v_lshrrev_b32_e32 v1, s31, v32
	; wave barrier
	s_delay_alu instid0(VALU_DEP_1) | instskip(NEXT) | instid1(VALU_DEP_1)
	v_and_b32_e32 v1, s33, v1
	v_dual_cndmask_b32 v1, 0, v1 :: v_dual_and_b32 v0, s36, v0
	s_delay_alu instid0(VALU_DEP_1) | instskip(NEXT) | instid1(VALU_DEP_1)
	v_lshlrev_b32_e32 v0, s34, v0
	v_cndmask_b32_e64 v0, 0, v0, s17
	s_delay_alu instid0(VALU_DEP_1) | instskip(NEXT) | instid1(VALU_DEP_1)
	v_or_b32_e32 v0, v1, v0
	v_and_b32_e32 v1, 1, v0
	v_lshlrev_b32_e32 v2, 30, v0
	v_lshlrev_b32_e32 v3, 29, v0
	;; [unrolled: 1-line block ×4, first 2 shown]
	v_add_co_u32 v1, s18, v1, -1
	s_delay_alu instid0(VALU_DEP_1)
	v_cndmask_b32_e64 v5, 0, 1, s18
	v_not_b32_e32 v14, v2
	v_cmp_gt_i32_e64 s19, 0, v2
	v_not_b32_e32 v2, v3
	v_lshlrev_b32_e32 v7, 26, v0
	v_cmp_ne_u32_e64 s18, 0, v5
	v_ashrrev_i32_e32 v14, 31, v14
	v_lshlrev_b32_e32 v13, 25, v0
	v_ashrrev_i32_e32 v2, 31, v2
	v_lshlrev_b32_e32 v5, 24, v0
	v_xor_b32_e32 v1, s18, v1
	v_cmp_gt_i32_e64 s18, 0, v3
	v_not_b32_e32 v3, v4
	v_xor_b32_e32 v14, s19, v14
	v_cmp_gt_i32_e64 s19, 0, v4
	v_and_b32_e32 v1, exec_lo, v1
	v_not_b32_e32 v4, v6
	v_ashrrev_i32_e32 v3, 31, v3
	v_xor_b32_e32 v2, s18, v2
	v_cmp_gt_i32_e64 s18, 0, v6
	v_and_b32_e32 v1, v1, v14
	v_not_b32_e32 v6, v7
	v_ashrrev_i32_e32 v4, 31, v4
	v_xor_b32_e32 v3, s19, v3
	v_cmp_gt_i32_e64 s19, 0, v7
	v_and_b32_e32 v1, v1, v2
	;; [unrolled: 5-line block ×3, first 2 shown]
	v_not_b32_e32 v3, v5
	v_ashrrev_i32_e32 v2, 31, v2
	v_xor_b32_e32 v6, s19, v6
	v_lshlrev_b32_e32 v0, 3, v0
	v_and_b32_e32 v1, v1, v4
	v_cmp_gt_i32_e64 s19, 0, v5
	v_ashrrev_i32_e32 v3, 31, v3
	v_xor_b32_e32 v2, s18, v2
	v_add_lshl_u32 v4, v0, v45, 2
	v_and_b32_e32 v1, v1, v6
	s_delay_alu instid0(VALU_DEP_4) | instskip(SKIP_3) | instid1(VALU_DEP_2)
	v_xor_b32_e32 v0, s19, v3
	ds_load_b32 v13, v4 offset:32
	v_and_b32_e32 v1, v1, v2
	v_add_nc_u32_e32 v15, 32, v4
	; wave barrier
	v_and_b32_e32 v0, v1, v0
	s_delay_alu instid0(VALU_DEP_1) | instskip(SKIP_1) | instid1(VALU_DEP_2)
	v_mbcnt_lo_u32_b32 v14, v0, 0
	v_cmp_ne_u32_e64 s19, 0, v0
	v_cmp_eq_u32_e64 s18, 0, v14
	s_delay_alu instid0(VALU_DEP_1) | instskip(NEXT) | instid1(SALU_CYCLE_1)
	s_and_b32 s19, s18, s19
	s_and_saveexec_b32 s18, s19
	s_cbranch_execz .LBB365_10
; %bb.9:                                ;   in Loop: Header=BB365_4 Depth=2
	s_waitcnt lgkmcnt(0)
	v_bcnt_u32_b32 v0, v0, v13
	ds_store_b32 v15, v0
.LBB365_10:                             ;   in Loop: Header=BB365_4 Depth=2
	s_or_b32 exec_lo, exec_lo, s18
	v_lshrrev_b32_e32 v0, s35, v27
	v_lshrrev_b32_e32 v1, s31, v28
	; wave barrier
	s_delay_alu instid0(VALU_DEP_1) | instskip(NEXT) | instid1(VALU_DEP_1)
	v_and_b32_e32 v1, s33, v1
	v_dual_cndmask_b32 v1, 0, v1 :: v_dual_and_b32 v0, s36, v0
	s_delay_alu instid0(VALU_DEP_1) | instskip(NEXT) | instid1(VALU_DEP_1)
	v_lshlrev_b32_e32 v0, s34, v0
	v_cndmask_b32_e64 v0, 0, v0, s17
	s_delay_alu instid0(VALU_DEP_1) | instskip(NEXT) | instid1(VALU_DEP_1)
	v_or_b32_e32 v0, v1, v0
	v_and_b32_e32 v1, 1, v0
	v_lshlrev_b32_e32 v2, 30, v0
	v_lshlrev_b32_e32 v3, 29, v0
	;; [unrolled: 1-line block ×4, first 2 shown]
	v_add_co_u32 v1, s17, v1, -1
	s_delay_alu instid0(VALU_DEP_1)
	v_cndmask_b32_e64 v5, 0, 1, s17
	v_not_b32_e32 v47, v2
	v_cmp_gt_i32_e64 s17, 0, v2
	v_not_b32_e32 v2, v3
	v_lshlrev_b32_e32 v7, 26, v0
	v_cmp_ne_u32_e32 vcc_lo, 0, v5
	v_ashrrev_i32_e32 v47, 31, v47
	v_lshlrev_b32_e32 v46, 25, v0
	v_ashrrev_i32_e32 v2, 31, v2
	v_lshlrev_b32_e32 v5, 24, v0
	v_xor_b32_e32 v1, vcc_lo, v1
	v_cmp_gt_i32_e32 vcc_lo, 0, v3
	v_not_b32_e32 v3, v4
	v_xor_b32_e32 v47, s17, v47
	v_cmp_gt_i32_e64 s17, 0, v4
	v_and_b32_e32 v1, exec_lo, v1
	v_not_b32_e32 v4, v6
	v_ashrrev_i32_e32 v3, 31, v3
	v_xor_b32_e32 v2, vcc_lo, v2
	v_cmp_gt_i32_e32 vcc_lo, 0, v6
	v_and_b32_e32 v1, v1, v47
	v_not_b32_e32 v6, v7
	v_ashrrev_i32_e32 v4, 31, v4
	v_xor_b32_e32 v3, s17, v3
	v_cmp_gt_i32_e64 s17, 0, v7
	v_and_b32_e32 v1, v1, v2
	v_not_b32_e32 v2, v46
	v_ashrrev_i32_e32 v6, 31, v6
	v_xor_b32_e32 v4, vcc_lo, v4
	v_cmp_gt_i32_e32 vcc_lo, 0, v46
	v_and_b32_e32 v1, v1, v3
	v_not_b32_e32 v3, v5
	v_ashrrev_i32_e32 v2, 31, v2
	v_xor_b32_e32 v6, s17, v6
	v_lshlrev_b32_e32 v0, 3, v0
	v_and_b32_e32 v1, v1, v4
	v_cmp_gt_i32_e64 s17, 0, v5
	v_ashrrev_i32_e32 v3, 31, v3
	v_xor_b32_e32 v2, vcc_lo, v2
	v_add_lshl_u32 v4, v0, v45, 2
	v_and_b32_e32 v1, v1, v6
	s_delay_alu instid0(VALU_DEP_4) | instskip(SKIP_3) | instid1(VALU_DEP_2)
	v_xor_b32_e32 v0, s17, v3
	ds_load_b32 v46, v4 offset:32
	v_and_b32_e32 v1, v1, v2
	v_add_nc_u32_e32 v48, 32, v4
	; wave barrier
	v_and_b32_e32 v0, v1, v0
	s_delay_alu instid0(VALU_DEP_1) | instskip(SKIP_1) | instid1(VALU_DEP_2)
	v_mbcnt_lo_u32_b32 v47, v0, 0
	v_cmp_ne_u32_e64 s17, 0, v0
	v_cmp_eq_u32_e32 vcc_lo, 0, v47
	s_delay_alu instid0(VALU_DEP_2) | instskip(NEXT) | instid1(SALU_CYCLE_1)
	s_and_b32 s18, vcc_lo, s17
	s_and_saveexec_b32 s17, s18
	s_cbranch_execz .LBB365_12
; %bb.11:                               ;   in Loop: Header=BB365_4 Depth=2
	s_waitcnt lgkmcnt(0)
	v_bcnt_u32_b32 v0, v0, v46
	ds_store_b32 v48, v0
.LBB365_12:                             ;   in Loop: Header=BB365_4 Depth=2
	s_or_b32 exec_lo, exec_lo, s17
	; wave barrier
	s_waitcnt lgkmcnt(0)
	s_barrier
	buffer_gl0_inv
	ds_load_2addr_b64 v[4:7], v33 offset0:4 offset1:5
	ds_load_2addr_b64 v[0:3], v39 offset0:2 offset1:3
	s_waitcnt lgkmcnt(1)
	v_add_nc_u32_e32 v49, v5, v4
	s_delay_alu instid0(VALU_DEP_1) | instskip(SKIP_1) | instid1(VALU_DEP_1)
	v_add3_u32 v49, v49, v6, v7
	s_waitcnt lgkmcnt(0)
	v_add3_u32 v49, v49, v0, v1
	s_delay_alu instid0(VALU_DEP_1) | instskip(NEXT) | instid1(VALU_DEP_1)
	v_add3_u32 v3, v49, v2, v3
	v_mov_b32_dpp v49, v3 row_shr:1 row_mask:0xf bank_mask:0xf
	s_delay_alu instid0(VALU_DEP_1) | instskip(NEXT) | instid1(VALU_DEP_1)
	v_cndmask_b32_e64 v49, v49, 0, s5
	v_add_nc_u32_e32 v3, v49, v3
	s_delay_alu instid0(VALU_DEP_1) | instskip(NEXT) | instid1(VALU_DEP_1)
	v_mov_b32_dpp v49, v3 row_shr:2 row_mask:0xf bank_mask:0xf
	v_cndmask_b32_e64 v49, 0, v49, s6
	s_delay_alu instid0(VALU_DEP_1) | instskip(NEXT) | instid1(VALU_DEP_1)
	v_add_nc_u32_e32 v3, v3, v49
	v_mov_b32_dpp v49, v3 row_shr:4 row_mask:0xf bank_mask:0xf
	s_delay_alu instid0(VALU_DEP_1) | instskip(NEXT) | instid1(VALU_DEP_1)
	v_cndmask_b32_e64 v49, 0, v49, s7
	v_add_nc_u32_e32 v3, v3, v49
	s_delay_alu instid0(VALU_DEP_1) | instskip(NEXT) | instid1(VALU_DEP_1)
	v_mov_b32_dpp v49, v3 row_shr:8 row_mask:0xf bank_mask:0xf
	v_cndmask_b32_e64 v49, 0, v49, s8
	s_delay_alu instid0(VALU_DEP_1) | instskip(SKIP_3) | instid1(VALU_DEP_1)
	v_add_nc_u32_e32 v3, v3, v49
	ds_swizzle_b32 v49, v3 offset:swizzle(BROADCAST,32,15)
	s_waitcnt lgkmcnt(0)
	v_cndmask_b32_e64 v49, v49, 0, s9
	v_add_nc_u32_e32 v3, v3, v49
	s_and_saveexec_b32 s17, s16
	s_cbranch_execz .LBB365_14
; %bb.13:                               ;   in Loop: Header=BB365_4 Depth=2
	ds_store_b32 v40, v3
.LBB365_14:                             ;   in Loop: Header=BB365_4 Depth=2
	s_or_b32 exec_lo, exec_lo, s17
	s_waitcnt lgkmcnt(0)
	s_barrier
	buffer_gl0_inv
	s_and_saveexec_b32 s17, s10
	s_cbranch_execz .LBB365_16
; %bb.15:                               ;   in Loop: Header=BB365_4 Depth=2
	ds_load_b32 v49, v42
	s_waitcnt lgkmcnt(0)
	v_mov_b32_dpp v50, v49 row_shr:1 row_mask:0xf bank_mask:0xf
	s_delay_alu instid0(VALU_DEP_1) | instskip(NEXT) | instid1(VALU_DEP_1)
	v_cndmask_b32_e64 v50, v50, 0, s13
	v_add_nc_u32_e32 v49, v50, v49
	s_delay_alu instid0(VALU_DEP_1) | instskip(NEXT) | instid1(VALU_DEP_1)
	v_mov_b32_dpp v50, v49 row_shr:2 row_mask:0xf bank_mask:0xf
	v_cndmask_b32_e64 v50, 0, v50, s14
	s_delay_alu instid0(VALU_DEP_1) | instskip(NEXT) | instid1(VALU_DEP_1)
	v_add_nc_u32_e32 v49, v49, v50
	v_mov_b32_dpp v50, v49 row_shr:4 row_mask:0xf bank_mask:0xf
	s_delay_alu instid0(VALU_DEP_1) | instskip(NEXT) | instid1(VALU_DEP_1)
	v_cndmask_b32_e64 v50, 0, v50, s15
	v_add_nc_u32_e32 v49, v49, v50
	ds_store_b32 v42, v49
.LBB365_16:                             ;   in Loop: Header=BB365_4 Depth=2
	s_or_b32 exec_lo, exec_lo, s17
	v_mov_b32_e32 v49, 0
	s_waitcnt lgkmcnt(0)
	s_barrier
	buffer_gl0_inv
	s_and_saveexec_b32 s17, s11
	s_cbranch_execz .LBB365_18
; %bb.17:                               ;   in Loop: Header=BB365_4 Depth=2
	ds_load_b32 v49, v43
.LBB365_18:                             ;   in Loop: Header=BB365_4 Depth=2
	s_or_b32 exec_lo, exec_lo, s17
	s_waitcnt lgkmcnt(0)
	v_add_nc_u32_e32 v3, v49, v3
	s_cmp_gt_u32 s31, 55
	ds_bpermute_b32 v3, v41, v3
	s_waitcnt lgkmcnt(0)
	v_cndmask_b32_e64 v3, v3, v49, s0
	s_delay_alu instid0(VALU_DEP_1) | instskip(NEXT) | instid1(VALU_DEP_1)
	v_cndmask_b32_e64 v3, v3, 0, s12
	v_add_nc_u32_e32 v4, v3, v4
	s_delay_alu instid0(VALU_DEP_1) | instskip(NEXT) | instid1(VALU_DEP_1)
	v_add_nc_u32_e32 v5, v4, v5
	v_add_nc_u32_e32 v6, v5, v6
	s_delay_alu instid0(VALU_DEP_1) | instskip(SKIP_1) | instid1(VALU_DEP_2)
	v_add_nc_u32_e32 v49, v6, v7
	v_lshlrev_b32_e32 v7, 3, v14
	v_add_nc_u32_e32 v50, v49, v0
	s_delay_alu instid0(VALU_DEP_1) | instskip(NEXT) | instid1(VALU_DEP_1)
	v_add_nc_u32_e32 v0, v50, v1
	v_add_nc_u32_e32 v1, v0, v2
	ds_store_2addr_b64 v33, v[3:4], v[5:6] offset0:4 offset1:5
	ds_store_2addr_b64 v39, v[49:50], v[0:1] offset0:2 offset1:3
	s_waitcnt lgkmcnt(0)
	s_barrier
	buffer_gl0_inv
	ds_load_b32 v0, v12
	ds_load_b32 v1, v15
	;; [unrolled: 1-line block ×4, first 2 shown]
	v_lshlrev_b32_e32 v4, 3, v8
	v_lshlrev_b32_e32 v5, 3, v11
	v_lshlrev_b32_e32 v6, 3, v10
	v_lshlrev_b32_e32 v8, 3, v13
	v_lshlrev_b32_e32 v9, 3, v47
	v_lshlrev_b32_e32 v10, 3, v46
	s_waitcnt lgkmcnt(0)
	v_lshlrev_b32_e32 v0, 3, v0
	v_lshlrev_b32_e32 v1, 3, v1
	;; [unrolled: 1-line block ×3, first 2 shown]
	v_lshl_add_u32 v46, v3, 3, v4
	s_delay_alu instid0(VALU_DEP_4) | instskip(NEXT) | instid1(VALU_DEP_4)
	v_add3_u32 v47, v5, v6, v0
	v_add3_u32 v48, v7, v8, v1
	s_delay_alu instid0(VALU_DEP_4)
	v_add3_u32 v49, v9, v10, v2
	s_cbranch_scc0 .LBB365_3
; %bb.19:                               ;   in Loop: Header=BB365_2 Depth=1
                                        ; implicit-def: $sgpr31
                                        ; implicit-def: $vgpr12_vgpr13
                                        ; implicit-def: $vgpr8_vgpr9
                                        ; implicit-def: $vgpr0_vgpr1
                                        ; implicit-def: $vgpr4_vgpr5
                                        ; implicit-def: $sgpr30
                                        ; implicit-def: $sgpr29
	s_branch .LBB365_1
.LBB365_20:
	s_waitcnt lgkmcnt(1)
	v_add_nc_u32_e32 v5, v18, v14
	v_lshlrev_b32_e32 v14, 3, v22
	s_add_u32 s0, s22, s24
	s_addc_u32 s1, s23, s25
	s_waitcnt lgkmcnt(0)
	v_add_nc_u32_e32 v0, v1, v8
	v_add_nc_u32_e32 v6, v19, v15
	v_add_co_u32 v7, s2, s0, v14
	s_delay_alu instid0(VALU_DEP_1) | instskip(SKIP_1) | instid1(VALU_DEP_3)
	v_add_co_ci_u32_e64 v8, null, s1, 0, s2
	v_add_nc_u32_e32 v12, v20, v16
	v_add_co_u32 v7, vcc_lo, 0x1000, v7
	v_add_nc_u32_e32 v13, v21, v17
	v_add_nc_u32_e32 v1, v2, v9
	v_add_co_ci_u32_e32 v8, vcc_lo, 0, v8, vcc_lo
	v_add_nc_u32_e32 v2, v3, v10
	v_add_nc_u32_e32 v3, v4, v11
	s_clause 0x3
	global_store_b64 v14, v[5:6], s[0:1]
	global_store_b64 v14, v[12:13], s[0:1] offset:2048
	global_store_b64 v[7:8], v[0:1], off
	global_store_b64 v[7:8], v[2:3], off offset:2048
	s_nop 0
	s_sendmsg sendmsg(MSG_DEALLOC_VGPRS)
	s_endpgm
	.section	.rodata,"a",@progbits
	.p2align	6, 0x0
	.amdhsa_kernel _Z17sort_pairs_kernelI22helper_blocked_stripedN15benchmark_utils11custom_typeIiiEELj256ELj4ELj10EEvPKT0_PS4_
		.amdhsa_group_segment_fixed_size 8224
		.amdhsa_private_segment_fixed_size 0
		.amdhsa_kernarg_size 272
		.amdhsa_user_sgpr_count 15
		.amdhsa_user_sgpr_dispatch_ptr 0
		.amdhsa_user_sgpr_queue_ptr 0
		.amdhsa_user_sgpr_kernarg_segment_ptr 1
		.amdhsa_user_sgpr_dispatch_id 0
		.amdhsa_user_sgpr_private_segment_size 0
		.amdhsa_wavefront_size32 1
		.amdhsa_uses_dynamic_stack 0
		.amdhsa_enable_private_segment 0
		.amdhsa_system_sgpr_workgroup_id_x 1
		.amdhsa_system_sgpr_workgroup_id_y 0
		.amdhsa_system_sgpr_workgroup_id_z 0
		.amdhsa_system_sgpr_workgroup_info 0
		.amdhsa_system_vgpr_workitem_id 2
		.amdhsa_next_free_vgpr 52
		.amdhsa_next_free_sgpr 37
		.amdhsa_reserve_vcc 1
		.amdhsa_float_round_mode_32 0
		.amdhsa_float_round_mode_16_64 0
		.amdhsa_float_denorm_mode_32 3
		.amdhsa_float_denorm_mode_16_64 3
		.amdhsa_dx10_clamp 1
		.amdhsa_ieee_mode 1
		.amdhsa_fp16_overflow 0
		.amdhsa_workgroup_processor_mode 1
		.amdhsa_memory_ordered 1
		.amdhsa_forward_progress 0
		.amdhsa_shared_vgpr_count 0
		.amdhsa_exception_fp_ieee_invalid_op 0
		.amdhsa_exception_fp_denorm_src 0
		.amdhsa_exception_fp_ieee_div_zero 0
		.amdhsa_exception_fp_ieee_overflow 0
		.amdhsa_exception_fp_ieee_underflow 0
		.amdhsa_exception_fp_ieee_inexact 0
		.amdhsa_exception_int_div_zero 0
	.end_amdhsa_kernel
	.section	.text._Z17sort_pairs_kernelI22helper_blocked_stripedN15benchmark_utils11custom_typeIiiEELj256ELj4ELj10EEvPKT0_PS4_,"axG",@progbits,_Z17sort_pairs_kernelI22helper_blocked_stripedN15benchmark_utils11custom_typeIiiEELj256ELj4ELj10EEvPKT0_PS4_,comdat
.Lfunc_end365:
	.size	_Z17sort_pairs_kernelI22helper_blocked_stripedN15benchmark_utils11custom_typeIiiEELj256ELj4ELj10EEvPKT0_PS4_, .Lfunc_end365-_Z17sort_pairs_kernelI22helper_blocked_stripedN15benchmark_utils11custom_typeIiiEELj256ELj4ELj10EEvPKT0_PS4_
                                        ; -- End function
	.section	.AMDGPU.csdata,"",@progbits
; Kernel info:
; codeLenInByte = 4636
; NumSgprs: 39
; NumVgprs: 52
; ScratchSize: 0
; MemoryBound: 0
; FloatMode: 240
; IeeeMode: 1
; LDSByteSize: 8224 bytes/workgroup (compile time only)
; SGPRBlocks: 4
; VGPRBlocks: 6
; NumSGPRsForWavesPerEU: 39
; NumVGPRsForWavesPerEU: 52
; Occupancy: 16
; WaveLimiterHint : 1
; COMPUTE_PGM_RSRC2:SCRATCH_EN: 0
; COMPUTE_PGM_RSRC2:USER_SGPR: 15
; COMPUTE_PGM_RSRC2:TRAP_HANDLER: 0
; COMPUTE_PGM_RSRC2:TGID_X_EN: 1
; COMPUTE_PGM_RSRC2:TGID_Y_EN: 0
; COMPUTE_PGM_RSRC2:TGID_Z_EN: 0
; COMPUTE_PGM_RSRC2:TIDIG_COMP_CNT: 2
	.section	.text._Z16sort_keys_kernelI22helper_blocked_stripedN15benchmark_utils11custom_typeIiiEELj256ELj8ELj10EEvPKT0_PS4_,"axG",@progbits,_Z16sort_keys_kernelI22helper_blocked_stripedN15benchmark_utils11custom_typeIiiEELj256ELj8ELj10EEvPKT0_PS4_,comdat
	.protected	_Z16sort_keys_kernelI22helper_blocked_stripedN15benchmark_utils11custom_typeIiiEELj256ELj8ELj10EEvPKT0_PS4_ ; -- Begin function _Z16sort_keys_kernelI22helper_blocked_stripedN15benchmark_utils11custom_typeIiiEELj256ELj8ELj10EEvPKT0_PS4_
	.globl	_Z16sort_keys_kernelI22helper_blocked_stripedN15benchmark_utils11custom_typeIiiEELj256ELj8ELj10EEvPKT0_PS4_
	.p2align	8
	.type	_Z16sort_keys_kernelI22helper_blocked_stripedN15benchmark_utils11custom_typeIiiEELj256ELj8ELj10EEvPKT0_PS4_,@function
_Z16sort_keys_kernelI22helper_blocked_stripedN15benchmark_utils11custom_typeIiiEELj256ELj8ELj10EEvPKT0_PS4_: ; @_Z16sort_keys_kernelI22helper_blocked_stripedN15benchmark_utils11custom_typeIiiEELj256ELj8ELj10EEvPKT0_PS4_
; %bb.0:
	s_clause 0x1
	s_load_b128 s[16:19], s[0:1], 0x0
	s_load_b32 s2, s[0:1], 0x1c
	v_and_b32_e32 v17, 0x3ff, v0
	s_mov_b32 s21, 0
	s_lshl_b32 s20, s15, 11
	v_mbcnt_lo_u32_b32 v20, -1, 0
	s_lshl_b64 s[22:23], s[20:21], 3
	v_lshlrev_b32_e32 v18, 6, v17
	v_lshlrev_b32_e32 v32, 3, v17
	;; [unrolled: 1-line block ×3, first 2 shown]
	v_cmp_gt_u32_e64 s6, 8, v17
	v_cmp_lt_u32_e64 s7, 31, v17
	v_cmp_eq_u32_e64 s9, 0, v17
	v_cmp_eq_u32_e64 s8, 0, v20
	v_mad_i32_i24 v40, 0xffffffe4, v17, v33
	v_add_nc_u32_e32 v36, 32, v33
	s_mov_b32 s20, s21
	s_mov_b32 s24, s21
	s_waitcnt lgkmcnt(0)
	s_add_u32 s0, s16, s22
	s_addc_u32 s1, s17, s23
	s_mov_b32 s16, s21
	s_clause 0x4
	global_load_b128 v[5:8], v18, s[0:1] offset:48
	global_load_b128 v[9:12], v18, s[0:1] offset:32
	;; [unrolled: 1-line block ×3, first 2 shown]
	global_load_b128 v[13:16], v18, s[0:1]
	global_load_b64 v[13:14], v18, s[0:1]
	v_bfe_u32 v18, v0, 10, 10
	v_bfe_u32 v0, v0, 20, 10
	s_lshr_b32 s0, s2, 16
	s_mov_b32 s17, s21
	s_delay_alu instid0(VALU_DEP_1)
	v_mad_u32_u24 v0, v0, s0, v18
	s_and_b32 s0, s2, 0xffff
	s_delay_alu instid0(VALU_DEP_1) | instid1(SALU_CYCLE_1)
	v_mad_u64_u32 v[18:19], null, v0, s0, v[17:18]
	v_and_or_b32 v0, 0x700, v32, v20
	v_and_b32_e32 v19, 15, v20
	s_delay_alu instid0(VALU_DEP_2) | instskip(NEXT) | instid1(VALU_DEP_4)
	v_lshlrev_b32_e32 v35, 3, v0
	v_lshrrev_b32_e32 v37, 5, v18
	v_add_nc_u32_e32 v18, -1, v20
	v_and_b32_e32 v0, 16, v20
	v_cmp_eq_u32_e64 s0, 0, v19
	v_cmp_lt_u32_e64 s1, 1, v19
	v_cmp_lt_u32_e64 s2, 3, v19
	v_cmp_gt_i32_e32 vcc_lo, 0, v18
	v_and_b32_e32 v21, 0xe0, v17
	v_cmp_eq_u32_e64 s4, 0, v0
	v_cmp_lt_u32_e64 s3, 7, v19
	v_cndmask_b32_e32 v0, v18, v20, vcc_lo
	s_delay_alu instid0(VALU_DEP_4) | instskip(SKIP_2) | instid1(VALU_DEP_4)
	v_or_b32_e32 v22, v20, v21
	v_or_b32_e32 v21, 31, v21
	v_lshrrev_b32_e32 v18, 3, v17
	v_lshlrev_b32_e32 v38, 2, v0
	v_and_b32_e32 v0, 7, v20
	s_delay_alu instid0(VALU_DEP_4) | instskip(NEXT) | instid1(VALU_DEP_4)
	v_cmp_eq_u32_e64 s5, v21, v17
	v_and_b32_e32 v39, 28, v18
	v_lshlrev_b32_e32 v17, 2, v17
	v_lshlrev_b32_e32 v34, 6, v22
	v_cmp_eq_u32_e64 s10, 0, v0
	v_cmp_lt_u32_e64 s11, 1, v0
	v_cmp_lt_u32_e64 s12, 3, v0
	v_add_nc_u32_e32 v41, -4, v39
	v_add_nc_u32_e32 v42, v40, v17
	s_branch .LBB366_2
.LBB366_1:                              ;   in Loop: Header=BB366_2 Depth=1
	s_barrier
	buffer_gl0_inv
	ds_store_b64 v43, v[16:17]
	ds_store_b64 v44, v[20:21]
	;; [unrolled: 1-line block ×8, first 2 shown]
	s_waitcnt lgkmcnt(0)
	s_barrier
	buffer_gl0_inv
	ds_load_2addr_stride64_b64 v[0:3], v42 offset1:4
	ds_load_2addr_stride64_b64 v[4:7], v42 offset0:8 offset1:12
	ds_load_2addr_stride64_b64 v[9:12], v42 offset0:16 offset1:20
	;; [unrolled: 1-line block ×3, first 2 shown]
	s_add_i32 s24, s24, 1
	s_delay_alu instid0(SALU_CYCLE_1)
	s_cmp_eq_u32 s24, 10
	s_waitcnt lgkmcnt(3)
	v_xor_b32_e32 v13, 0x80000000, v0
	v_xor_b32_e32 v14, 0x80000000, v1
	v_xor_b32_e32 v15, 0x80000000, v2
	v_xor_b32_e32 v16, 0x80000000, v3
	s_waitcnt lgkmcnt(2)
	v_xor_b32_e32 v1, 0x80000000, v4
	v_xor_b32_e32 v2, 0x80000000, v5
	v_xor_b32_e32 v3, 0x80000000, v6
	v_xor_b32_e32 v4, 0x80000000, v7
	;; [unrolled: 5-line block ×4, first 2 shown]
	s_cbranch_scc1 .LBB366_28
.LBB366_2:                              ; =>This Loop Header: Depth=1
                                        ;     Child Loop BB366_4 Depth 2
	s_waitcnt vmcnt(0)
	v_xor_b32_e32 v14, 0x80000000, v14
	v_xor_b32_e32 v13, 0x80000000, v13
	v_xor_b32_e32 v16, 0x80000000, v16
	v_xor_b32_e32 v15, 0x80000000, v15
	v_xor_b32_e32 v2, 0x80000000, v2
	v_xor_b32_e32 v1, 0x80000000, v1
	v_xor_b32_e32 v4, 0x80000000, v4
	v_xor_b32_e32 v3, 0x80000000, v3
	v_xor_b32_e32 v10, 0x80000000, v10
	v_xor_b32_e32 v9, 0x80000000, v9
	v_xor_b32_e32 v12, 0x80000000, v12
	v_xor_b32_e32 v11, 0x80000000, v11
	v_xor_b32_e32 v6, 0x80000000, v6
	v_xor_b32_e32 v5, 0x80000000, v5
	v_xor_b32_e32 v8, 0x80000000, v8
	v_xor_b32_e32 v7, 0x80000000, v7
	ds_store_2addr_b64 v34, v[13:14], v[15:16] offset1:1
	ds_store_2addr_b64 v34, v[1:2], v[3:4] offset0:2 offset1:3
	ds_store_2addr_b64 v34, v[9:10], v[11:12] offset0:4 offset1:5
	;; [unrolled: 1-line block ×3, first 2 shown]
	; wave barrier
	ds_load_2addr_b64 v[0:3], v35 offset1:32
	ds_load_2addr_b64 v[4:7], v35 offset0:64 offset1:96
	ds_load_2addr_b64 v[8:11], v35 offset0:128 offset1:160
	;; [unrolled: 1-line block ×3, first 2 shown]
	s_mov_b32 s25, 8
	s_mov_b32 s26, 32
	;; [unrolled: 1-line block ×3, first 2 shown]
	s_waitcnt lgkmcnt(0)
	s_barrier
	buffer_gl0_inv
	; wave barrier
	s_barrier
	s_branch .LBB366_4
.LBB366_3:                              ;   in Loop: Header=BB366_4 Depth=2
	s_barrier
	buffer_gl0_inv
	ds_store_b64 v43, v[16:17]
	ds_store_b64 v44, v[20:21]
	;; [unrolled: 1-line block ×8, first 2 shown]
	s_waitcnt lgkmcnt(0)
	s_barrier
	buffer_gl0_inv
	ds_load_2addr_b64 v[0:3], v35 offset1:32
	ds_load_2addr_b64 v[4:7], v35 offset0:64 offset1:96
	ds_load_2addr_b64 v[8:11], v35 offset0:128 offset1:160
	;; [unrolled: 1-line block ×3, first 2 shown]
	s_add_i32 s26, s26, -8
	s_add_i32 s25, s25, 8
	s_add_i32 s27, s27, 8
	s_waitcnt lgkmcnt(0)
	s_barrier
	s_cbranch_execz .LBB366_1
.LBB366_4:                              ;   Parent Loop BB366_2 Depth=1
                                        ; =>  This Inner Loop Header: Depth=2
	s_min_i32 s14, s25, 32
	s_cmp_lt_u32 s27, 32
	v_dual_mov_b32 v17, v1 :: v_dual_mov_b32 v16, v0
	s_cselect_b32 vcc_lo, -1, 0
	s_cmp_gt_u32 s27, 24
	buffer_gl0_inv
	s_cselect_b32 s13, -1, 0
	s_sub_i32 s14, s14, 32
	v_lshrrev_b32_e32 v1, s27, v17
	s_add_i32 s15, s14, s26
	v_mov_b32_e32 v27, v7
	s_lshl_b32 s15, -1, s15
	v_mov_b32_e32 v26, v6
	s_not_b32 s15, s15
	s_cmp_lg_u32 s14, s27
	v_mov_b32_e32 v31, v13
	s_cselect_b32 s28, s15, -1
	s_max_i32 s29, s26, 0
	s_max_i32 s14, s27, 32
	v_and_b32_e32 v1, s28, v1
	s_sub_i32 s15, s14, s29
	s_sub_i32 s30, s14, 32
	;; [unrolled: 1-line block ×3, first 2 shown]
	v_lshrrev_b32_e32 v0, s30, v16
	s_min_i32 s14, s15, 32
	v_cndmask_b32_e32 v1, 0, v1, vcc_lo
	s_sub_i32 s14, s14, s30
	v_mov_b32_e32 v30, v12
	s_lshl_b32 s15, -1, s14
	v_mov_b32_e32 v29, v15
	s_not_b32 s15, s15
	s_cmp_lg_u32 s14, 32
	v_mov_b32_e32 v28, v14
	s_cselect_b32 s31, s15, -1
	s_delay_alu instid0(SALU_CYCLE_1) | instskip(NEXT) | instid1(VALU_DEP_1)
	v_and_b32_e32 v0, s31, v0
	v_lshlrev_b32_e32 v0, s29, v0
	s_delay_alu instid0(VALU_DEP_1) | instskip(NEXT) | instid1(VALU_DEP_1)
	v_cndmask_b32_e64 v0, 0, v0, s13
	v_or_b32_e32 v43, v1, v0
	s_delay_alu instid0(VALU_DEP_1)
	v_and_b32_e32 v0, 1, v43
	v_lshlrev_b32_e32 v1, 30, v43
	v_lshlrev_b32_e32 v18, 29, v43
	;; [unrolled: 1-line block ×4, first 2 shown]
	v_add_co_u32 v0, s14, v0, -1
	s_delay_alu instid0(VALU_DEP_1)
	v_cndmask_b32_e64 v20, 0, 1, s14
	v_not_b32_e32 v24, v1
	v_cmp_gt_i32_e64 s15, 0, v1
	v_not_b32_e32 v1, v18
	v_lshlrev_b32_e32 v22, 26, v43
	v_cmp_ne_u32_e64 s14, 0, v20
	v_ashrrev_i32_e32 v24, 31, v24
	v_lshlrev_b32_e32 v23, 25, v43
	v_ashrrev_i32_e32 v1, 31, v1
	v_lshlrev_b32_e32 v20, 24, v43
	v_xor_b32_e32 v0, s14, v0
	v_xor_b32_e32 v24, s15, v24
	v_cmp_gt_i32_e64 s14, 0, v18
	v_not_b32_e32 v18, v19
	v_cmp_gt_i32_e64 s15, 0, v19
	v_and_b32_e32 v0, exec_lo, v0
	s_delay_alu instid0(VALU_DEP_4) | instskip(NEXT) | instid1(VALU_DEP_4)
	v_xor_b32_e32 v1, s14, v1
	v_ashrrev_i32_e32 v18, 31, v18
	s_delay_alu instid0(VALU_DEP_3)
	v_dual_mov_b32 v25, v9 :: v_dual_and_b32 v0, v0, v24
	v_mov_b32_e32 v24, v8
	v_not_b32_e32 v19, v21
	v_cmp_gt_i32_e64 s14, 0, v21
	v_not_b32_e32 v21, v22
	v_xor_b32_e32 v18, s15, v18
	v_and_b32_e32 v0, v0, v1
	v_ashrrev_i32_e32 v19, 31, v19
	v_cmp_gt_i32_e64 s15, 0, v22
	v_not_b32_e32 v1, v23
	v_ashrrev_i32_e32 v21, 31, v21
	v_and_b32_e32 v0, v0, v18
	v_xor_b32_e32 v19, s14, v19
	v_cmp_gt_i32_e64 s14, 0, v23
	v_not_b32_e32 v18, v20
	v_ashrrev_i32_e32 v1, 31, v1
	v_xor_b32_e32 v21, s15, v21
	v_and_b32_e32 v0, v0, v19
	v_cmp_gt_i32_e64 s15, 0, v20
	v_ashrrev_i32_e32 v22, 31, v18
	v_xor_b32_e32 v1, s14, v1
	s_delay_alu instid0(VALU_DEP_4) | instskip(SKIP_1) | instid1(VALU_DEP_4)
	v_dual_mov_b32 v19, v5 :: v_dual_and_b32 v0, v0, v21
	v_dual_mov_b32 v21, v3 :: v_dual_mov_b32 v20, v2
	v_xor_b32_e32 v3, s15, v22
	v_mov_b32_e32 v18, v4
	s_delay_alu instid0(VALU_DEP_4) | instskip(SKIP_2) | instid1(VALU_DEP_3)
	v_dual_mov_b32 v1, s20 :: v_dual_and_b32 v0, v0, v1
	v_dual_mov_b32 v2, s21 :: v_dual_mov_b32 v23, v11
	v_mov_b32_e32 v22, v10
	v_dual_mov_b32 v3, s16 :: v_dual_and_b32 v0, v0, v3
	v_mov_b32_e32 v4, s17
	ds_store_2addr_b64 v33, v[1:2], v[3:4] offset0:4 offset1:5
	ds_store_2addr_b64 v36, v[1:2], v[3:4] offset0:2 offset1:3
	v_mbcnt_lo_u32_b32 v9, v0, 0
	v_lshl_add_u32 v1, v43, 3, v37
	v_cmp_ne_u32_e64 s15, 0, v0
	s_waitcnt lgkmcnt(0)
	s_barrier
	v_cmp_eq_u32_e64 s14, 0, v9
	v_lshl_add_u32 v8, v1, 2, 32
	buffer_gl0_inv
	; wave barrier
	s_and_b32 s15, s14, s15
	s_delay_alu instid0(SALU_CYCLE_1)
	s_and_saveexec_b32 s14, s15
	s_cbranch_execz .LBB366_6
; %bb.5:                                ;   in Loop: Header=BB366_4 Depth=2
	v_bcnt_u32_b32 v0, v0, 0
	ds_store_b32 v8, v0
.LBB366_6:                              ;   in Loop: Header=BB366_4 Depth=2
	s_or_b32 exec_lo, exec_lo, s14
	v_lshrrev_b32_e32 v0, s30, v20
	v_lshrrev_b32_e32 v1, s27, v21
	; wave barrier
	s_delay_alu instid0(VALU_DEP_1) | instskip(NEXT) | instid1(VALU_DEP_1)
	v_and_b32_e32 v1, s28, v1
	v_dual_cndmask_b32 v1, 0, v1 :: v_dual_and_b32 v0, s31, v0
	s_delay_alu instid0(VALU_DEP_1) | instskip(NEXT) | instid1(VALU_DEP_1)
	v_lshlrev_b32_e32 v0, s29, v0
	v_cndmask_b32_e64 v0, 0, v0, s13
	s_delay_alu instid0(VALU_DEP_1) | instskip(NEXT) | instid1(VALU_DEP_1)
	v_or_b32_e32 v0, v1, v0
	v_and_b32_e32 v1, 1, v0
	v_lshlrev_b32_e32 v2, 30, v0
	v_lshlrev_b32_e32 v3, 29, v0
	;; [unrolled: 1-line block ×4, first 2 shown]
	v_add_co_u32 v1, s14, v1, -1
	s_delay_alu instid0(VALU_DEP_1)
	v_cndmask_b32_e64 v5, 0, 1, s14
	v_not_b32_e32 v11, v2
	v_cmp_gt_i32_e64 s15, 0, v2
	v_not_b32_e32 v2, v3
	v_lshlrev_b32_e32 v7, 26, v0
	v_cmp_ne_u32_e64 s14, 0, v5
	v_ashrrev_i32_e32 v11, 31, v11
	v_lshlrev_b32_e32 v10, 25, v0
	v_ashrrev_i32_e32 v2, 31, v2
	v_lshlrev_b32_e32 v5, 24, v0
	v_xor_b32_e32 v1, s14, v1
	v_cmp_gt_i32_e64 s14, 0, v3
	v_not_b32_e32 v3, v4
	v_xor_b32_e32 v11, s15, v11
	v_cmp_gt_i32_e64 s15, 0, v4
	v_and_b32_e32 v1, exec_lo, v1
	v_not_b32_e32 v4, v6
	v_ashrrev_i32_e32 v3, 31, v3
	v_xor_b32_e32 v2, s14, v2
	v_cmp_gt_i32_e64 s14, 0, v6
	v_and_b32_e32 v1, v1, v11
	v_not_b32_e32 v6, v7
	v_ashrrev_i32_e32 v4, 31, v4
	v_xor_b32_e32 v3, s15, v3
	v_cmp_gt_i32_e64 s15, 0, v7
	v_and_b32_e32 v1, v1, v2
	;; [unrolled: 5-line block ×3, first 2 shown]
	v_not_b32_e32 v3, v5
	v_ashrrev_i32_e32 v2, 31, v2
	v_xor_b32_e32 v6, s15, v6
	v_lshlrev_b32_e32 v0, 3, v0
	v_and_b32_e32 v1, v1, v4
	v_cmp_gt_i32_e64 s15, 0, v5
	v_ashrrev_i32_e32 v3, 31, v3
	v_xor_b32_e32 v2, s14, v2
	v_add_lshl_u32 v4, v0, v37, 2
	v_and_b32_e32 v1, v1, v6
	s_delay_alu instid0(VALU_DEP_4) | instskip(SKIP_3) | instid1(VALU_DEP_2)
	v_xor_b32_e32 v0, s15, v3
	ds_load_b32 v10, v4 offset:32
	v_and_b32_e32 v1, v1, v2
	v_add_nc_u32_e32 v11, 32, v4
	; wave barrier
	v_and_b32_e32 v0, v1, v0
	s_delay_alu instid0(VALU_DEP_1) | instskip(SKIP_1) | instid1(VALU_DEP_2)
	v_mbcnt_lo_u32_b32 v12, v0, 0
	v_cmp_ne_u32_e64 s15, 0, v0
	v_cmp_eq_u32_e64 s14, 0, v12
	s_delay_alu instid0(VALU_DEP_1) | instskip(NEXT) | instid1(SALU_CYCLE_1)
	s_and_b32 s15, s14, s15
	s_and_saveexec_b32 s14, s15
	s_cbranch_execz .LBB366_8
; %bb.7:                                ;   in Loop: Header=BB366_4 Depth=2
	s_waitcnt lgkmcnt(0)
	v_bcnt_u32_b32 v0, v0, v10
	ds_store_b32 v11, v0
.LBB366_8:                              ;   in Loop: Header=BB366_4 Depth=2
	s_or_b32 exec_lo, exec_lo, s14
	v_lshrrev_b32_e32 v0, s30, v18
	v_lshrrev_b32_e32 v1, s27, v19
	; wave barrier
	s_delay_alu instid0(VALU_DEP_1) | instskip(NEXT) | instid1(VALU_DEP_1)
	v_and_b32_e32 v1, s28, v1
	v_dual_cndmask_b32 v1, 0, v1 :: v_dual_and_b32 v0, s31, v0
	s_delay_alu instid0(VALU_DEP_1) | instskip(NEXT) | instid1(VALU_DEP_1)
	v_lshlrev_b32_e32 v0, s29, v0
	v_cndmask_b32_e64 v0, 0, v0, s13
	s_delay_alu instid0(VALU_DEP_1) | instskip(NEXT) | instid1(VALU_DEP_1)
	v_or_b32_e32 v0, v1, v0
	v_and_b32_e32 v1, 1, v0
	v_lshlrev_b32_e32 v2, 30, v0
	v_lshlrev_b32_e32 v3, 29, v0
	;; [unrolled: 1-line block ×4, first 2 shown]
	v_add_co_u32 v1, s14, v1, -1
	s_delay_alu instid0(VALU_DEP_1)
	v_cndmask_b32_e64 v5, 0, 1, s14
	v_not_b32_e32 v14, v2
	v_cmp_gt_i32_e64 s15, 0, v2
	v_not_b32_e32 v2, v3
	v_lshlrev_b32_e32 v7, 26, v0
	v_cmp_ne_u32_e64 s14, 0, v5
	v_ashrrev_i32_e32 v14, 31, v14
	v_lshlrev_b32_e32 v13, 25, v0
	v_ashrrev_i32_e32 v2, 31, v2
	v_lshlrev_b32_e32 v5, 24, v0
	v_xor_b32_e32 v1, s14, v1
	v_cmp_gt_i32_e64 s14, 0, v3
	v_not_b32_e32 v3, v4
	v_xor_b32_e32 v14, s15, v14
	v_cmp_gt_i32_e64 s15, 0, v4
	v_and_b32_e32 v1, exec_lo, v1
	v_not_b32_e32 v4, v6
	v_ashrrev_i32_e32 v3, 31, v3
	v_xor_b32_e32 v2, s14, v2
	v_cmp_gt_i32_e64 s14, 0, v6
	v_and_b32_e32 v1, v1, v14
	v_not_b32_e32 v6, v7
	v_ashrrev_i32_e32 v4, 31, v4
	v_xor_b32_e32 v3, s15, v3
	v_cmp_gt_i32_e64 s15, 0, v7
	v_and_b32_e32 v1, v1, v2
	;; [unrolled: 5-line block ×3, first 2 shown]
	v_not_b32_e32 v3, v5
	v_ashrrev_i32_e32 v2, 31, v2
	v_xor_b32_e32 v6, s15, v6
	v_lshlrev_b32_e32 v0, 3, v0
	v_and_b32_e32 v1, v1, v4
	v_cmp_gt_i32_e64 s15, 0, v5
	v_ashrrev_i32_e32 v3, 31, v3
	v_xor_b32_e32 v2, s14, v2
	v_add_lshl_u32 v4, v0, v37, 2
	v_and_b32_e32 v1, v1, v6
	s_delay_alu instid0(VALU_DEP_4) | instskip(SKIP_3) | instid1(VALU_DEP_2)
	v_xor_b32_e32 v0, s15, v3
	ds_load_b32 v13, v4 offset:32
	v_and_b32_e32 v1, v1, v2
	v_add_nc_u32_e32 v15, 32, v4
	; wave barrier
	v_and_b32_e32 v0, v1, v0
	s_delay_alu instid0(VALU_DEP_1) | instskip(SKIP_1) | instid1(VALU_DEP_2)
	v_mbcnt_lo_u32_b32 v14, v0, 0
	v_cmp_ne_u32_e64 s15, 0, v0
	v_cmp_eq_u32_e64 s14, 0, v14
	s_delay_alu instid0(VALU_DEP_1) | instskip(NEXT) | instid1(SALU_CYCLE_1)
	s_and_b32 s15, s14, s15
	s_and_saveexec_b32 s14, s15
	s_cbranch_execz .LBB366_10
; %bb.9:                                ;   in Loop: Header=BB366_4 Depth=2
	s_waitcnt lgkmcnt(0)
	v_bcnt_u32_b32 v0, v0, v13
	ds_store_b32 v15, v0
.LBB366_10:                             ;   in Loop: Header=BB366_4 Depth=2
	s_or_b32 exec_lo, exec_lo, s14
	v_lshrrev_b32_e32 v0, s30, v26
	v_lshrrev_b32_e32 v1, s27, v27
	; wave barrier
	s_delay_alu instid0(VALU_DEP_1) | instskip(NEXT) | instid1(VALU_DEP_1)
	v_and_b32_e32 v1, s28, v1
	v_dual_cndmask_b32 v1, 0, v1 :: v_dual_and_b32 v0, s31, v0
	s_delay_alu instid0(VALU_DEP_1) | instskip(NEXT) | instid1(VALU_DEP_1)
	v_lshlrev_b32_e32 v0, s29, v0
	v_cndmask_b32_e64 v0, 0, v0, s13
	s_delay_alu instid0(VALU_DEP_1) | instskip(NEXT) | instid1(VALU_DEP_1)
	v_or_b32_e32 v0, v1, v0
	v_and_b32_e32 v1, 1, v0
	v_lshlrev_b32_e32 v2, 30, v0
	v_lshlrev_b32_e32 v3, 29, v0
	;; [unrolled: 1-line block ×4, first 2 shown]
	v_add_co_u32 v1, s14, v1, -1
	s_delay_alu instid0(VALU_DEP_1)
	v_cndmask_b32_e64 v5, 0, 1, s14
	v_not_b32_e32 v44, v2
	v_cmp_gt_i32_e64 s15, 0, v2
	v_not_b32_e32 v2, v3
	v_lshlrev_b32_e32 v7, 26, v0
	v_cmp_ne_u32_e64 s14, 0, v5
	v_ashrrev_i32_e32 v44, 31, v44
	v_lshlrev_b32_e32 v43, 25, v0
	v_ashrrev_i32_e32 v2, 31, v2
	v_lshlrev_b32_e32 v5, 24, v0
	v_xor_b32_e32 v1, s14, v1
	v_cmp_gt_i32_e64 s14, 0, v3
	v_not_b32_e32 v3, v4
	v_xor_b32_e32 v44, s15, v44
	v_cmp_gt_i32_e64 s15, 0, v4
	v_and_b32_e32 v1, exec_lo, v1
	v_not_b32_e32 v4, v6
	v_ashrrev_i32_e32 v3, 31, v3
	v_xor_b32_e32 v2, s14, v2
	v_cmp_gt_i32_e64 s14, 0, v6
	v_and_b32_e32 v1, v1, v44
	v_not_b32_e32 v6, v7
	v_ashrrev_i32_e32 v4, 31, v4
	v_xor_b32_e32 v3, s15, v3
	v_cmp_gt_i32_e64 s15, 0, v7
	v_and_b32_e32 v1, v1, v2
	;; [unrolled: 5-line block ×3, first 2 shown]
	v_not_b32_e32 v3, v5
	v_ashrrev_i32_e32 v2, 31, v2
	v_xor_b32_e32 v6, s15, v6
	v_lshlrev_b32_e32 v0, 3, v0
	v_and_b32_e32 v1, v1, v4
	v_cmp_gt_i32_e64 s15, 0, v5
	v_ashrrev_i32_e32 v3, 31, v3
	v_xor_b32_e32 v2, s14, v2
	v_add_lshl_u32 v4, v0, v37, 2
	v_and_b32_e32 v1, v1, v6
	s_delay_alu instid0(VALU_DEP_4) | instskip(SKIP_3) | instid1(VALU_DEP_2)
	v_xor_b32_e32 v0, s15, v3
	ds_load_b32 v43, v4 offset:32
	v_and_b32_e32 v1, v1, v2
	v_add_nc_u32_e32 v45, 32, v4
	; wave barrier
	v_and_b32_e32 v0, v1, v0
	s_delay_alu instid0(VALU_DEP_1) | instskip(SKIP_1) | instid1(VALU_DEP_2)
	v_mbcnt_lo_u32_b32 v44, v0, 0
	v_cmp_ne_u32_e64 s15, 0, v0
	v_cmp_eq_u32_e64 s14, 0, v44
	s_delay_alu instid0(VALU_DEP_1) | instskip(NEXT) | instid1(SALU_CYCLE_1)
	s_and_b32 s15, s14, s15
	s_and_saveexec_b32 s14, s15
	s_cbranch_execz .LBB366_12
; %bb.11:                               ;   in Loop: Header=BB366_4 Depth=2
	s_waitcnt lgkmcnt(0)
	v_bcnt_u32_b32 v0, v0, v43
	ds_store_b32 v45, v0
.LBB366_12:                             ;   in Loop: Header=BB366_4 Depth=2
	s_or_b32 exec_lo, exec_lo, s14
	v_lshrrev_b32_e32 v0, s30, v24
	v_lshrrev_b32_e32 v1, s27, v25
	; wave barrier
	s_delay_alu instid0(VALU_DEP_1) | instskip(NEXT) | instid1(VALU_DEP_1)
	v_and_b32_e32 v1, s28, v1
	v_dual_cndmask_b32 v1, 0, v1 :: v_dual_and_b32 v0, s31, v0
	s_delay_alu instid0(VALU_DEP_1) | instskip(NEXT) | instid1(VALU_DEP_1)
	v_lshlrev_b32_e32 v0, s29, v0
	v_cndmask_b32_e64 v0, 0, v0, s13
	s_delay_alu instid0(VALU_DEP_1) | instskip(NEXT) | instid1(VALU_DEP_1)
	v_or_b32_e32 v0, v1, v0
	v_and_b32_e32 v1, 1, v0
	v_lshlrev_b32_e32 v2, 30, v0
	v_lshlrev_b32_e32 v3, 29, v0
	;; [unrolled: 1-line block ×4, first 2 shown]
	v_add_co_u32 v1, s14, v1, -1
	s_delay_alu instid0(VALU_DEP_1)
	v_cndmask_b32_e64 v5, 0, 1, s14
	v_not_b32_e32 v47, v2
	v_cmp_gt_i32_e64 s15, 0, v2
	v_not_b32_e32 v2, v3
	v_lshlrev_b32_e32 v7, 26, v0
	v_cmp_ne_u32_e64 s14, 0, v5
	v_ashrrev_i32_e32 v47, 31, v47
	v_lshlrev_b32_e32 v46, 25, v0
	v_ashrrev_i32_e32 v2, 31, v2
	v_lshlrev_b32_e32 v5, 24, v0
	v_xor_b32_e32 v1, s14, v1
	v_cmp_gt_i32_e64 s14, 0, v3
	v_not_b32_e32 v3, v4
	v_xor_b32_e32 v47, s15, v47
	v_cmp_gt_i32_e64 s15, 0, v4
	v_and_b32_e32 v1, exec_lo, v1
	v_not_b32_e32 v4, v6
	v_ashrrev_i32_e32 v3, 31, v3
	v_xor_b32_e32 v2, s14, v2
	v_cmp_gt_i32_e64 s14, 0, v6
	v_and_b32_e32 v1, v1, v47
	v_not_b32_e32 v6, v7
	v_ashrrev_i32_e32 v4, 31, v4
	v_xor_b32_e32 v3, s15, v3
	v_cmp_gt_i32_e64 s15, 0, v7
	v_and_b32_e32 v1, v1, v2
	;; [unrolled: 5-line block ×3, first 2 shown]
	v_not_b32_e32 v3, v5
	v_ashrrev_i32_e32 v2, 31, v2
	v_xor_b32_e32 v6, s15, v6
	v_lshlrev_b32_e32 v0, 3, v0
	v_and_b32_e32 v1, v1, v4
	v_cmp_gt_i32_e64 s15, 0, v5
	v_ashrrev_i32_e32 v3, 31, v3
	v_xor_b32_e32 v2, s14, v2
	v_add_lshl_u32 v4, v0, v37, 2
	v_and_b32_e32 v1, v1, v6
	s_delay_alu instid0(VALU_DEP_4) | instskip(SKIP_3) | instid1(VALU_DEP_2)
	v_xor_b32_e32 v0, s15, v3
	ds_load_b32 v46, v4 offset:32
	v_and_b32_e32 v1, v1, v2
	v_add_nc_u32_e32 v48, 32, v4
	; wave barrier
	v_and_b32_e32 v0, v1, v0
	s_delay_alu instid0(VALU_DEP_1) | instskip(SKIP_1) | instid1(VALU_DEP_2)
	v_mbcnt_lo_u32_b32 v47, v0, 0
	v_cmp_ne_u32_e64 s15, 0, v0
	v_cmp_eq_u32_e64 s14, 0, v47
	s_delay_alu instid0(VALU_DEP_1) | instskip(NEXT) | instid1(SALU_CYCLE_1)
	s_and_b32 s15, s14, s15
	s_and_saveexec_b32 s14, s15
	s_cbranch_execz .LBB366_14
; %bb.13:                               ;   in Loop: Header=BB366_4 Depth=2
	s_waitcnt lgkmcnt(0)
	v_bcnt_u32_b32 v0, v0, v46
	ds_store_b32 v48, v0
.LBB366_14:                             ;   in Loop: Header=BB366_4 Depth=2
	s_or_b32 exec_lo, exec_lo, s14
	v_lshrrev_b32_e32 v0, s30, v22
	v_lshrrev_b32_e32 v1, s27, v23
	; wave barrier
	s_delay_alu instid0(VALU_DEP_1) | instskip(NEXT) | instid1(VALU_DEP_1)
	v_and_b32_e32 v1, s28, v1
	v_dual_cndmask_b32 v1, 0, v1 :: v_dual_and_b32 v0, s31, v0
	s_delay_alu instid0(VALU_DEP_1) | instskip(NEXT) | instid1(VALU_DEP_1)
	v_lshlrev_b32_e32 v0, s29, v0
	v_cndmask_b32_e64 v0, 0, v0, s13
	s_delay_alu instid0(VALU_DEP_1) | instskip(NEXT) | instid1(VALU_DEP_1)
	v_or_b32_e32 v0, v1, v0
	v_and_b32_e32 v1, 1, v0
	v_lshlrev_b32_e32 v2, 30, v0
	v_lshlrev_b32_e32 v3, 29, v0
	;; [unrolled: 1-line block ×4, first 2 shown]
	v_add_co_u32 v1, s14, v1, -1
	s_delay_alu instid0(VALU_DEP_1)
	v_cndmask_b32_e64 v5, 0, 1, s14
	v_not_b32_e32 v50, v2
	v_cmp_gt_i32_e64 s15, 0, v2
	v_not_b32_e32 v2, v3
	v_lshlrev_b32_e32 v7, 26, v0
	v_cmp_ne_u32_e64 s14, 0, v5
	v_ashrrev_i32_e32 v50, 31, v50
	v_lshlrev_b32_e32 v49, 25, v0
	v_ashrrev_i32_e32 v2, 31, v2
	v_lshlrev_b32_e32 v5, 24, v0
	v_xor_b32_e32 v1, s14, v1
	v_cmp_gt_i32_e64 s14, 0, v3
	v_not_b32_e32 v3, v4
	v_xor_b32_e32 v50, s15, v50
	v_cmp_gt_i32_e64 s15, 0, v4
	v_and_b32_e32 v1, exec_lo, v1
	v_not_b32_e32 v4, v6
	v_ashrrev_i32_e32 v3, 31, v3
	v_xor_b32_e32 v2, s14, v2
	v_cmp_gt_i32_e64 s14, 0, v6
	v_and_b32_e32 v1, v1, v50
	v_not_b32_e32 v6, v7
	v_ashrrev_i32_e32 v4, 31, v4
	v_xor_b32_e32 v3, s15, v3
	v_cmp_gt_i32_e64 s15, 0, v7
	v_and_b32_e32 v1, v1, v2
	;; [unrolled: 5-line block ×3, first 2 shown]
	v_not_b32_e32 v3, v5
	v_ashrrev_i32_e32 v2, 31, v2
	v_xor_b32_e32 v6, s15, v6
	v_lshlrev_b32_e32 v0, 3, v0
	v_and_b32_e32 v1, v1, v4
	v_cmp_gt_i32_e64 s15, 0, v5
	v_ashrrev_i32_e32 v3, 31, v3
	v_xor_b32_e32 v2, s14, v2
	v_add_lshl_u32 v4, v0, v37, 2
	v_and_b32_e32 v1, v1, v6
	s_delay_alu instid0(VALU_DEP_4) | instskip(SKIP_3) | instid1(VALU_DEP_2)
	v_xor_b32_e32 v0, s15, v3
	ds_load_b32 v49, v4 offset:32
	v_and_b32_e32 v1, v1, v2
	v_add_nc_u32_e32 v51, 32, v4
	; wave barrier
	v_and_b32_e32 v0, v1, v0
	s_delay_alu instid0(VALU_DEP_1) | instskip(SKIP_1) | instid1(VALU_DEP_2)
	v_mbcnt_lo_u32_b32 v50, v0, 0
	v_cmp_ne_u32_e64 s15, 0, v0
	v_cmp_eq_u32_e64 s14, 0, v50
	s_delay_alu instid0(VALU_DEP_1) | instskip(NEXT) | instid1(SALU_CYCLE_1)
	s_and_b32 s15, s14, s15
	s_and_saveexec_b32 s14, s15
	s_cbranch_execz .LBB366_16
; %bb.15:                               ;   in Loop: Header=BB366_4 Depth=2
	s_waitcnt lgkmcnt(0)
	v_bcnt_u32_b32 v0, v0, v49
	ds_store_b32 v51, v0
.LBB366_16:                             ;   in Loop: Header=BB366_4 Depth=2
	s_or_b32 exec_lo, exec_lo, s14
	v_lshrrev_b32_e32 v0, s30, v30
	v_lshrrev_b32_e32 v1, s27, v31
	; wave barrier
	s_delay_alu instid0(VALU_DEP_1) | instskip(NEXT) | instid1(VALU_DEP_1)
	v_and_b32_e32 v1, s28, v1
	v_dual_cndmask_b32 v1, 0, v1 :: v_dual_and_b32 v0, s31, v0
	s_delay_alu instid0(VALU_DEP_1) | instskip(NEXT) | instid1(VALU_DEP_1)
	v_lshlrev_b32_e32 v0, s29, v0
	v_cndmask_b32_e64 v0, 0, v0, s13
	s_delay_alu instid0(VALU_DEP_1) | instskip(NEXT) | instid1(VALU_DEP_1)
	v_or_b32_e32 v0, v1, v0
	v_and_b32_e32 v1, 1, v0
	v_lshlrev_b32_e32 v2, 30, v0
	v_lshlrev_b32_e32 v3, 29, v0
	;; [unrolled: 1-line block ×4, first 2 shown]
	v_add_co_u32 v1, s14, v1, -1
	s_delay_alu instid0(VALU_DEP_1)
	v_cndmask_b32_e64 v5, 0, 1, s14
	v_not_b32_e32 v53, v2
	v_cmp_gt_i32_e64 s15, 0, v2
	v_not_b32_e32 v2, v3
	v_lshlrev_b32_e32 v7, 26, v0
	v_cmp_ne_u32_e64 s14, 0, v5
	v_ashrrev_i32_e32 v53, 31, v53
	v_lshlrev_b32_e32 v52, 25, v0
	v_ashrrev_i32_e32 v2, 31, v2
	v_lshlrev_b32_e32 v5, 24, v0
	v_xor_b32_e32 v1, s14, v1
	v_cmp_gt_i32_e64 s14, 0, v3
	v_not_b32_e32 v3, v4
	v_xor_b32_e32 v53, s15, v53
	v_cmp_gt_i32_e64 s15, 0, v4
	v_and_b32_e32 v1, exec_lo, v1
	v_not_b32_e32 v4, v6
	v_ashrrev_i32_e32 v3, 31, v3
	v_xor_b32_e32 v2, s14, v2
	v_cmp_gt_i32_e64 s14, 0, v6
	v_and_b32_e32 v1, v1, v53
	v_not_b32_e32 v6, v7
	v_ashrrev_i32_e32 v4, 31, v4
	v_xor_b32_e32 v3, s15, v3
	v_cmp_gt_i32_e64 s15, 0, v7
	v_and_b32_e32 v1, v1, v2
	v_not_b32_e32 v2, v52
	v_ashrrev_i32_e32 v6, 31, v6
	v_xor_b32_e32 v4, s14, v4
	v_cmp_gt_i32_e64 s14, 0, v52
	v_and_b32_e32 v1, v1, v3
	v_not_b32_e32 v3, v5
	v_ashrrev_i32_e32 v2, 31, v2
	v_xor_b32_e32 v6, s15, v6
	v_lshlrev_b32_e32 v0, 3, v0
	v_and_b32_e32 v1, v1, v4
	v_cmp_gt_i32_e64 s15, 0, v5
	v_ashrrev_i32_e32 v3, 31, v3
	v_xor_b32_e32 v2, s14, v2
	v_add_lshl_u32 v4, v0, v37, 2
	v_and_b32_e32 v1, v1, v6
	s_delay_alu instid0(VALU_DEP_4) | instskip(SKIP_3) | instid1(VALU_DEP_2)
	v_xor_b32_e32 v0, s15, v3
	ds_load_b32 v52, v4 offset:32
	v_and_b32_e32 v1, v1, v2
	v_add_nc_u32_e32 v54, 32, v4
	; wave barrier
	v_and_b32_e32 v0, v1, v0
	s_delay_alu instid0(VALU_DEP_1) | instskip(SKIP_1) | instid1(VALU_DEP_2)
	v_mbcnt_lo_u32_b32 v53, v0, 0
	v_cmp_ne_u32_e64 s15, 0, v0
	v_cmp_eq_u32_e64 s14, 0, v53
	s_delay_alu instid0(VALU_DEP_1) | instskip(NEXT) | instid1(SALU_CYCLE_1)
	s_and_b32 s15, s14, s15
	s_and_saveexec_b32 s14, s15
	s_cbranch_execz .LBB366_18
; %bb.17:                               ;   in Loop: Header=BB366_4 Depth=2
	s_waitcnt lgkmcnt(0)
	v_bcnt_u32_b32 v0, v0, v52
	ds_store_b32 v54, v0
.LBB366_18:                             ;   in Loop: Header=BB366_4 Depth=2
	s_or_b32 exec_lo, exec_lo, s14
	v_lshrrev_b32_e32 v0, s30, v28
	v_lshrrev_b32_e32 v1, s27, v29
	; wave barrier
	s_delay_alu instid0(VALU_DEP_1) | instskip(NEXT) | instid1(VALU_DEP_1)
	v_and_b32_e32 v1, s28, v1
	v_dual_cndmask_b32 v1, 0, v1 :: v_dual_and_b32 v0, s31, v0
	s_delay_alu instid0(VALU_DEP_1) | instskip(NEXT) | instid1(VALU_DEP_1)
	v_lshlrev_b32_e32 v0, s29, v0
	v_cndmask_b32_e64 v0, 0, v0, s13
	s_delay_alu instid0(VALU_DEP_1) | instskip(NEXT) | instid1(VALU_DEP_1)
	v_or_b32_e32 v0, v1, v0
	v_and_b32_e32 v1, 1, v0
	v_lshlrev_b32_e32 v2, 30, v0
	v_lshlrev_b32_e32 v3, 29, v0
	;; [unrolled: 1-line block ×4, first 2 shown]
	v_add_co_u32 v1, s13, v1, -1
	s_delay_alu instid0(VALU_DEP_1)
	v_cndmask_b32_e64 v5, 0, 1, s13
	v_not_b32_e32 v56, v2
	v_cmp_gt_i32_e64 s13, 0, v2
	v_not_b32_e32 v2, v3
	v_lshlrev_b32_e32 v7, 26, v0
	v_cmp_ne_u32_e32 vcc_lo, 0, v5
	v_ashrrev_i32_e32 v56, 31, v56
	v_lshlrev_b32_e32 v55, 25, v0
	v_ashrrev_i32_e32 v2, 31, v2
	v_lshlrev_b32_e32 v5, 24, v0
	v_xor_b32_e32 v1, vcc_lo, v1
	v_cmp_gt_i32_e32 vcc_lo, 0, v3
	v_not_b32_e32 v3, v4
	v_xor_b32_e32 v56, s13, v56
	v_cmp_gt_i32_e64 s13, 0, v4
	v_and_b32_e32 v1, exec_lo, v1
	v_not_b32_e32 v4, v6
	v_ashrrev_i32_e32 v3, 31, v3
	v_xor_b32_e32 v2, vcc_lo, v2
	v_cmp_gt_i32_e32 vcc_lo, 0, v6
	v_and_b32_e32 v1, v1, v56
	v_not_b32_e32 v6, v7
	v_ashrrev_i32_e32 v4, 31, v4
	v_xor_b32_e32 v3, s13, v3
	v_cmp_gt_i32_e64 s13, 0, v7
	v_and_b32_e32 v1, v1, v2
	v_not_b32_e32 v2, v55
	v_ashrrev_i32_e32 v6, 31, v6
	v_xor_b32_e32 v4, vcc_lo, v4
	v_cmp_gt_i32_e32 vcc_lo, 0, v55
	v_and_b32_e32 v1, v1, v3
	v_not_b32_e32 v3, v5
	v_ashrrev_i32_e32 v2, 31, v2
	v_xor_b32_e32 v6, s13, v6
	v_lshlrev_b32_e32 v0, 3, v0
	v_and_b32_e32 v1, v1, v4
	v_cmp_gt_i32_e64 s13, 0, v5
	v_ashrrev_i32_e32 v3, 31, v3
	v_xor_b32_e32 v2, vcc_lo, v2
	v_add_lshl_u32 v4, v0, v37, 2
	v_and_b32_e32 v1, v1, v6
	s_delay_alu instid0(VALU_DEP_4) | instskip(SKIP_3) | instid1(VALU_DEP_2)
	v_xor_b32_e32 v0, s13, v3
	ds_load_b32 v55, v4 offset:32
	v_and_b32_e32 v1, v1, v2
	v_add_nc_u32_e32 v57, 32, v4
	; wave barrier
	v_and_b32_e32 v0, v1, v0
	s_delay_alu instid0(VALU_DEP_1) | instskip(SKIP_1) | instid1(VALU_DEP_2)
	v_mbcnt_lo_u32_b32 v56, v0, 0
	v_cmp_ne_u32_e64 s13, 0, v0
	v_cmp_eq_u32_e32 vcc_lo, 0, v56
	s_delay_alu instid0(VALU_DEP_2) | instskip(NEXT) | instid1(SALU_CYCLE_1)
	s_and_b32 s14, vcc_lo, s13
	s_and_saveexec_b32 s13, s14
	s_cbranch_execz .LBB366_20
; %bb.19:                               ;   in Loop: Header=BB366_4 Depth=2
	s_waitcnt lgkmcnt(0)
	v_bcnt_u32_b32 v0, v0, v55
	ds_store_b32 v57, v0
.LBB366_20:                             ;   in Loop: Header=BB366_4 Depth=2
	s_or_b32 exec_lo, exec_lo, s13
	; wave barrier
	s_waitcnt lgkmcnt(0)
	s_barrier
	buffer_gl0_inv
	ds_load_2addr_b64 v[4:7], v33 offset0:4 offset1:5
	ds_load_2addr_b64 v[0:3], v36 offset0:2 offset1:3
	s_waitcnt lgkmcnt(1)
	v_add_nc_u32_e32 v58, v5, v4
	s_delay_alu instid0(VALU_DEP_1) | instskip(SKIP_1) | instid1(VALU_DEP_1)
	v_add3_u32 v58, v58, v6, v7
	s_waitcnt lgkmcnt(0)
	v_add3_u32 v58, v58, v0, v1
	s_delay_alu instid0(VALU_DEP_1) | instskip(NEXT) | instid1(VALU_DEP_1)
	v_add3_u32 v3, v58, v2, v3
	v_mov_b32_dpp v58, v3 row_shr:1 row_mask:0xf bank_mask:0xf
	s_delay_alu instid0(VALU_DEP_1) | instskip(NEXT) | instid1(VALU_DEP_1)
	v_cndmask_b32_e64 v58, v58, 0, s0
	v_add_nc_u32_e32 v3, v58, v3
	s_delay_alu instid0(VALU_DEP_1) | instskip(NEXT) | instid1(VALU_DEP_1)
	v_mov_b32_dpp v58, v3 row_shr:2 row_mask:0xf bank_mask:0xf
	v_cndmask_b32_e64 v58, 0, v58, s1
	s_delay_alu instid0(VALU_DEP_1) | instskip(NEXT) | instid1(VALU_DEP_1)
	v_add_nc_u32_e32 v3, v3, v58
	v_mov_b32_dpp v58, v3 row_shr:4 row_mask:0xf bank_mask:0xf
	s_delay_alu instid0(VALU_DEP_1) | instskip(NEXT) | instid1(VALU_DEP_1)
	v_cndmask_b32_e64 v58, 0, v58, s2
	v_add_nc_u32_e32 v3, v3, v58
	s_delay_alu instid0(VALU_DEP_1) | instskip(NEXT) | instid1(VALU_DEP_1)
	v_mov_b32_dpp v58, v3 row_shr:8 row_mask:0xf bank_mask:0xf
	v_cndmask_b32_e64 v58, 0, v58, s3
	s_delay_alu instid0(VALU_DEP_1) | instskip(SKIP_3) | instid1(VALU_DEP_1)
	v_add_nc_u32_e32 v3, v3, v58
	ds_swizzle_b32 v58, v3 offset:swizzle(BROADCAST,32,15)
	s_waitcnt lgkmcnt(0)
	v_cndmask_b32_e64 v58, v58, 0, s4
	v_add_nc_u32_e32 v3, v3, v58
	s_and_saveexec_b32 s13, s5
	s_cbranch_execz .LBB366_22
; %bb.21:                               ;   in Loop: Header=BB366_4 Depth=2
	ds_store_b32 v39, v3
.LBB366_22:                             ;   in Loop: Header=BB366_4 Depth=2
	s_or_b32 exec_lo, exec_lo, s13
	s_waitcnt lgkmcnt(0)
	s_barrier
	buffer_gl0_inv
	s_and_saveexec_b32 s13, s6
	s_cbranch_execz .LBB366_24
; %bb.23:                               ;   in Loop: Header=BB366_4 Depth=2
	ds_load_b32 v58, v40
	s_waitcnt lgkmcnt(0)
	v_mov_b32_dpp v59, v58 row_shr:1 row_mask:0xf bank_mask:0xf
	s_delay_alu instid0(VALU_DEP_1) | instskip(NEXT) | instid1(VALU_DEP_1)
	v_cndmask_b32_e64 v59, v59, 0, s10
	v_add_nc_u32_e32 v58, v59, v58
	s_delay_alu instid0(VALU_DEP_1) | instskip(NEXT) | instid1(VALU_DEP_1)
	v_mov_b32_dpp v59, v58 row_shr:2 row_mask:0xf bank_mask:0xf
	v_cndmask_b32_e64 v59, 0, v59, s11
	s_delay_alu instid0(VALU_DEP_1) | instskip(NEXT) | instid1(VALU_DEP_1)
	v_add_nc_u32_e32 v58, v58, v59
	v_mov_b32_dpp v59, v58 row_shr:4 row_mask:0xf bank_mask:0xf
	s_delay_alu instid0(VALU_DEP_1) | instskip(NEXT) | instid1(VALU_DEP_1)
	v_cndmask_b32_e64 v59, 0, v59, s12
	v_add_nc_u32_e32 v58, v58, v59
	ds_store_b32 v40, v58
.LBB366_24:                             ;   in Loop: Header=BB366_4 Depth=2
	s_or_b32 exec_lo, exec_lo, s13
	v_mov_b32_e32 v58, 0
	s_waitcnt lgkmcnt(0)
	s_barrier
	buffer_gl0_inv
	s_and_saveexec_b32 s13, s7
	s_cbranch_execz .LBB366_26
; %bb.25:                               ;   in Loop: Header=BB366_4 Depth=2
	ds_load_b32 v58, v41
.LBB366_26:                             ;   in Loop: Header=BB366_4 Depth=2
	s_or_b32 exec_lo, exec_lo, s13
	s_waitcnt lgkmcnt(0)
	v_add_nc_u32_e32 v3, v58, v3
	v_lshlrev_b32_e32 v49, 3, v49
	s_cmp_gt_u32 s27, 55
	ds_bpermute_b32 v3, v38, v3
	s_waitcnt lgkmcnt(0)
	v_cndmask_b32_e64 v3, v3, v58, s8
	s_delay_alu instid0(VALU_DEP_1) | instskip(NEXT) | instid1(VALU_DEP_1)
	v_cndmask_b32_e64 v3, v3, 0, s9
	v_add_nc_u32_e32 v4, v3, v4
	s_delay_alu instid0(VALU_DEP_1) | instskip(NEXT) | instid1(VALU_DEP_1)
	v_add_nc_u32_e32 v5, v4, v5
	v_add_nc_u32_e32 v6, v5, v6
	s_delay_alu instid0(VALU_DEP_1) | instskip(SKIP_3) | instid1(VALU_DEP_4)
	v_add_nc_u32_e32 v58, v6, v7
	v_lshlrev_b32_e32 v7, 3, v12
	v_lshlrev_b32_e32 v12, 3, v13
	v_lshlrev_b32_e32 v13, 3, v44
	v_add_nc_u32_e32 v59, v58, v0
	s_delay_alu instid0(VALU_DEP_1) | instskip(NEXT) | instid1(VALU_DEP_1)
	v_add_nc_u32_e32 v0, v59, v1
	v_add_nc_u32_e32 v1, v0, v2
	v_lshlrev_b32_e32 v2, 3, v9
	v_lshlrev_b32_e32 v9, 3, v10
	ds_store_2addr_b64 v33, v[3:4], v[5:6] offset0:4 offset1:5
	ds_store_2addr_b64 v36, v[58:59], v[0:1] offset0:2 offset1:3
	s_waitcnt lgkmcnt(0)
	s_barrier
	buffer_gl0_inv
	ds_load_b32 v0, v8
	ds_load_b32 v1, v11
	;; [unrolled: 1-line block ×8, first 2 shown]
	v_lshlrev_b32_e32 v11, 3, v14
	v_lshlrev_b32_e32 v14, 3, v43
	;; [unrolled: 1-line block ×9, first 2 shown]
	s_waitcnt lgkmcnt(0)
	v_lshl_add_u32 v43, v0, 3, v2
	v_lshlrev_b32_e32 v0, 3, v1
	v_lshlrev_b32_e32 v1, 3, v3
	;; [unrolled: 1-line block ×7, first 2 shown]
	v_add3_u32 v44, v7, v9, v0
	v_add3_u32 v45, v11, v12, v1
	;; [unrolled: 1-line block ×7, first 2 shown]
	s_cbranch_scc0 .LBB366_3
; %bb.27:                               ;   in Loop: Header=BB366_2 Depth=1
                                        ; implicit-def: $sgpr27
                                        ; implicit-def: $vgpr0_vgpr1
                                        ; implicit-def: $vgpr4_vgpr5
                                        ; implicit-def: $vgpr8_vgpr9
                                        ; implicit-def: $vgpr12_vgpr13
                                        ; implicit-def: $sgpr26
                                        ; implicit-def: $sgpr25
	s_branch .LBB366_1
.LBB366_28:
	s_add_u32 s0, s18, s22
	s_addc_u32 s1, s19, s23
	v_add_co_u32 v0, s2, s0, v32
	s_delay_alu instid0(VALU_DEP_1) | instskip(NEXT) | instid1(VALU_DEP_2)
	v_add_co_ci_u32_e64 v23, null, s1, 0, s2
	v_add_co_u32 v17, vcc_lo, 0x1000, v0
	s_delay_alu instid0(VALU_DEP_2)
	v_add_co_ci_u32_e32 v18, vcc_lo, 0, v23, vcc_lo
	v_add_co_u32 v19, vcc_lo, v0, 0x2000
	v_add_co_ci_u32_e32 v20, vcc_lo, 0, v23, vcc_lo
	v_add_co_u32 v21, vcc_lo, 0x2000, v0
	v_add_co_ci_u32_e32 v22, vcc_lo, 0, v23, vcc_lo
	global_store_b64 v[19:20], v[9:10], off
	v_add_co_u32 v9, vcc_lo, 0x3000, v0
	v_add_co_ci_u32_e32 v10, vcc_lo, 0, v23, vcc_lo
	s_clause 0x6
	global_store_b64 v32, v[13:14], s[0:1]
	global_store_b64 v32, v[15:16], s[0:1] offset:2048
	global_store_b64 v[17:18], v[3:4], off offset:2048
	global_store_b64 v[21:22], v[11:12], off offset:2048
	global_store_b64 v[9:10], v[5:6], off
	global_store_b64 v[19:20], v[1:2], off offset:-4096
	global_store_b64 v[9:10], v[7:8], off offset:2048
	s_nop 0
	s_sendmsg sendmsg(MSG_DEALLOC_VGPRS)
	s_endpgm
	.section	.rodata,"a",@progbits
	.p2align	6, 0x0
	.amdhsa_kernel _Z16sort_keys_kernelI22helper_blocked_stripedN15benchmark_utils11custom_typeIiiEELj256ELj8ELj10EEvPKT0_PS4_
		.amdhsa_group_segment_fixed_size 16384
		.amdhsa_private_segment_fixed_size 0
		.amdhsa_kernarg_size 272
		.amdhsa_user_sgpr_count 15
		.amdhsa_user_sgpr_dispatch_ptr 0
		.amdhsa_user_sgpr_queue_ptr 0
		.amdhsa_user_sgpr_kernarg_segment_ptr 1
		.amdhsa_user_sgpr_dispatch_id 0
		.amdhsa_user_sgpr_private_segment_size 0
		.amdhsa_wavefront_size32 1
		.amdhsa_uses_dynamic_stack 0
		.amdhsa_enable_private_segment 0
		.amdhsa_system_sgpr_workgroup_id_x 1
		.amdhsa_system_sgpr_workgroup_id_y 0
		.amdhsa_system_sgpr_workgroup_id_z 0
		.amdhsa_system_sgpr_workgroup_info 0
		.amdhsa_system_vgpr_workitem_id 2
		.amdhsa_next_free_vgpr 60
		.amdhsa_next_free_sgpr 32
		.amdhsa_reserve_vcc 1
		.amdhsa_float_round_mode_32 0
		.amdhsa_float_round_mode_16_64 0
		.amdhsa_float_denorm_mode_32 3
		.amdhsa_float_denorm_mode_16_64 3
		.amdhsa_dx10_clamp 1
		.amdhsa_ieee_mode 1
		.amdhsa_fp16_overflow 0
		.amdhsa_workgroup_processor_mode 1
		.amdhsa_memory_ordered 1
		.amdhsa_forward_progress 0
		.amdhsa_shared_vgpr_count 0
		.amdhsa_exception_fp_ieee_invalid_op 0
		.amdhsa_exception_fp_denorm_src 0
		.amdhsa_exception_fp_ieee_div_zero 0
		.amdhsa_exception_fp_ieee_overflow 0
		.amdhsa_exception_fp_ieee_underflow 0
		.amdhsa_exception_fp_ieee_inexact 0
		.amdhsa_exception_int_div_zero 0
	.end_amdhsa_kernel
	.section	.text._Z16sort_keys_kernelI22helper_blocked_stripedN15benchmark_utils11custom_typeIiiEELj256ELj8ELj10EEvPKT0_PS4_,"axG",@progbits,_Z16sort_keys_kernelI22helper_blocked_stripedN15benchmark_utils11custom_typeIiiEELj256ELj8ELj10EEvPKT0_PS4_,comdat
.Lfunc_end366:
	.size	_Z16sort_keys_kernelI22helper_blocked_stripedN15benchmark_utils11custom_typeIiiEELj256ELj8ELj10EEvPKT0_PS4_, .Lfunc_end366-_Z16sort_keys_kernelI22helper_blocked_stripedN15benchmark_utils11custom_typeIiiEELj256ELj8ELj10EEvPKT0_PS4_
                                        ; -- End function
	.section	.AMDGPU.csdata,"",@progbits
; Kernel info:
; codeLenInByte = 5204
; NumSgprs: 34
; NumVgprs: 60
; ScratchSize: 0
; MemoryBound: 0
; FloatMode: 240
; IeeeMode: 1
; LDSByteSize: 16384 bytes/workgroup (compile time only)
; SGPRBlocks: 4
; VGPRBlocks: 7
; NumSGPRsForWavesPerEU: 34
; NumVGPRsForWavesPerEU: 60
; Occupancy: 16
; WaveLimiterHint : 1
; COMPUTE_PGM_RSRC2:SCRATCH_EN: 0
; COMPUTE_PGM_RSRC2:USER_SGPR: 15
; COMPUTE_PGM_RSRC2:TRAP_HANDLER: 0
; COMPUTE_PGM_RSRC2:TGID_X_EN: 1
; COMPUTE_PGM_RSRC2:TGID_Y_EN: 0
; COMPUTE_PGM_RSRC2:TGID_Z_EN: 0
; COMPUTE_PGM_RSRC2:TIDIG_COMP_CNT: 2
	.section	.text._Z17sort_pairs_kernelI22helper_blocked_stripedN15benchmark_utils11custom_typeIiiEELj256ELj8ELj10EEvPKT0_PS4_,"axG",@progbits,_Z17sort_pairs_kernelI22helper_blocked_stripedN15benchmark_utils11custom_typeIiiEELj256ELj8ELj10EEvPKT0_PS4_,comdat
	.protected	_Z17sort_pairs_kernelI22helper_blocked_stripedN15benchmark_utils11custom_typeIiiEELj256ELj8ELj10EEvPKT0_PS4_ ; -- Begin function _Z17sort_pairs_kernelI22helper_blocked_stripedN15benchmark_utils11custom_typeIiiEELj256ELj8ELj10EEvPKT0_PS4_
	.globl	_Z17sort_pairs_kernelI22helper_blocked_stripedN15benchmark_utils11custom_typeIiiEELj256ELj8ELj10EEvPKT0_PS4_
	.p2align	8
	.type	_Z17sort_pairs_kernelI22helper_blocked_stripedN15benchmark_utils11custom_typeIiiEELj256ELj8ELj10EEvPKT0_PS4_,@function
_Z17sort_pairs_kernelI22helper_blocked_stripedN15benchmark_utils11custom_typeIiiEELj256ELj8ELj10EEvPKT0_PS4_: ; @_Z17sort_pairs_kernelI22helper_blocked_stripedN15benchmark_utils11custom_typeIiiEELj256ELj8ELj10EEvPKT0_PS4_
; %bb.0:
	s_clause 0x1
	s_load_b128 s[16:19], s[0:1], 0x0
	s_load_b32 s12, s[0:1], 0x1c
	v_mbcnt_lo_u32_b32 v18, -1, 0
	s_mov_b32 s23, 0
	s_lshl_b32 s22, s15, 11
	v_bfe_u32 v19, v0, 10, 10
	s_lshl_b64 s[20:21], s[22:23], 3
	v_add_nc_u32_e32 v22, -1, v18
	v_and_b32_e32 v20, 15, v18
	v_and_b32_e32 v21, 16, v18
	;; [unrolled: 1-line block ×3, first 2 shown]
	s_mov_b32 s22, s23
	v_cmp_gt_i32_e32 vcc_lo, 0, v22
	v_and_b32_e32 v17, 0x3ff, v0
	v_bfe_u32 v0, v0, 20, 10
	v_cmp_lt_u32_e64 s2, 1, v20
	v_cmp_lt_u32_e64 s3, 3, v20
	;; [unrolled: 1-line block ×3, first 2 shown]
	v_lshlrev_b32_e32 v1, 6, v17
	v_cmp_eq_u32_e64 s5, 0, v21
	s_waitcnt lgkmcnt(0)
	s_add_u32 s0, s16, s20
	s_addc_u32 s1, s17, s21
	s_lshr_b32 s13, s12, 16
	s_clause 0x3
	global_load_b128 v[5:8], v1, s[0:1]
	global_load_b128 v[9:12], v1, s[0:1] offset:16
	global_load_b128 v[13:16], v1, s[0:1] offset:32
	global_load_b128 v[1:4], v1, s[0:1] offset:48
	v_cmp_eq_u32_e64 s1, 0, v20
	v_cndmask_b32_e32 v20, v22, v18, vcc_lo
	v_lshlrev_b32_e32 v64, 3, v17
	v_and_b32_e32 v24, 0xe0, v17
	v_mad_u32_u24 v0, v0, s13, v19
	v_lshlrev_b32_e32 v65, 5, v17
	v_lshrrev_b32_e32 v21, 3, v17
	s_and_b32 s12, s12, 0xffff
	v_cmp_eq_u32_e64 s0, 0, v18
	v_cmp_eq_u32_e64 s9, 0, v23
	v_cmp_lt_u32_e64 s10, 1, v23
	v_cmp_lt_u32_e64 s11, 3, v23
	v_or_b32_e32 v22, v18, v24
	v_and_or_b32 v23, 0x700, v64, v18
	v_mad_u64_u32 v[18:19], null, v0, s12, v[17:18]
	v_lshlrev_b32_e32 v33, 2, v17
	v_or_b32_e32 v24, 31, v24
	v_and_b32_e32 v68, 28, v21
	v_mad_i32_i24 v69, 0xffffffe4, v17, v65
	v_cmp_gt_u32_e64 s6, 8, v17
	v_cmp_lt_u32_e64 s7, 31, v17
	v_cmp_eq_u32_e64 s8, 0, v17
	v_add_nc_u32_e32 v66, 32, v65
	v_lshlrev_b32_e32 v67, 2, v20
	v_lshlrev_b32_e32 v70, 6, v22
	;; [unrolled: 1-line block ×3, first 2 shown]
	v_cmp_eq_u32_e64 s12, v24, v17
	v_add_nc_u32_e32 v72, -4, v68
	v_lshrrev_b32_e32 v73, 5, v18
	v_add_nc_u32_e32 v74, v69, v33
	s_mov_b32 s16, s23
	s_mov_b32 s17, s23
	;; [unrolled: 1-line block ×3, first 2 shown]
	s_waitcnt vmcnt(3)
	v_add_nc_u32_e32 v30, 1, v6
	v_add_nc_u32_e32 v29, 1, v5
	v_add_nc_u32_e32 v32, 1, v8
	v_add_nc_u32_e32 v31, 1, v7
	s_waitcnt vmcnt(2)
	v_add_nc_u32_e32 v26, 1, v10
	v_add_nc_u32_e32 v25, 1, v9
	v_add_nc_u32_e32 v28, 1, v12
	v_add_nc_u32_e32 v27, 1, v11
	s_waitcnt vmcnt(1)
	v_add_nc_u32_e32 v22, 1, v14
	v_add_nc_u32_e32 v21, 1, v13
	v_add_nc_u32_e32 v24, 1, v16
	v_add_nc_u32_e32 v23, 1, v15
	s_waitcnt vmcnt(0)
	v_add_nc_u32_e32 v18, 1, v2
	v_add_nc_u32_e32 v17, 1, v1
	v_add_nc_u32_e32 v20, 1, v4
	v_add_nc_u32_e32 v19, 1, v3
	s_branch .LBB367_2
.LBB367_1:                              ;   in Loop: Header=BB367_2 Depth=1
	s_barrier
	buffer_gl0_inv
	ds_store_b64 v75, v[44:45]
	ds_store_b64 v76, v[52:53]
	;; [unrolled: 1-line block ×8, first 2 shown]
	s_waitcnt lgkmcnt(0)
	s_barrier
	buffer_gl0_inv
	ds_load_2addr_stride64_b64 v[0:3], v74 offset1:4
	ds_load_2addr_stride64_b64 v[9:12], v74 offset0:8 offset1:12
	ds_load_2addr_stride64_b64 v[13:16], v74 offset0:16 offset1:20
	;; [unrolled: 1-line block ×3, first 2 shown]
	s_waitcnt lgkmcnt(0)
	s_barrier
	buffer_gl0_inv
	ds_store_b64 v75, v[34:35]
	ds_store_b64 v76, v[32:33]
	;; [unrolled: 1-line block ×8, first 2 shown]
	s_waitcnt lgkmcnt(0)
	s_barrier
	buffer_gl0_inv
	ds_load_2addr_stride64_b64 v[29:32], v74 offset1:4
	ds_load_2addr_stride64_b64 v[25:28], v74 offset0:8 offset1:12
	ds_load_2addr_stride64_b64 v[21:24], v74 offset0:16 offset1:20
	;; [unrolled: 1-line block ×3, first 2 shown]
	s_add_i32 s24, s24, 1
	s_delay_alu instid0(SALU_CYCLE_1)
	s_cmp_lg_u32 s24, 10
	v_xor_b32_e32 v5, 0x80000000, v0
	v_xor_b32_e32 v6, 0x80000000, v1
	;; [unrolled: 1-line block ×16, first 2 shown]
	s_cbranch_scc0 .LBB367_28
.LBB367_2:                              ; =>This Loop Header: Depth=1
                                        ;     Child Loop BB367_4 Depth 2
	v_xor_b32_e32 v6, 0x80000000, v6
	v_xor_b32_e32 v5, 0x80000000, v5
	;; [unrolled: 1-line block ×16, first 2 shown]
	ds_store_2addr_b64 v70, v[5:6], v[7:8] offset1:1
	ds_store_2addr_b64 v70, v[9:10], v[11:12] offset0:2 offset1:3
	ds_store_2addr_b64 v70, v[13:14], v[15:16] offset0:4 offset1:5
	;; [unrolled: 1-line block ×3, first 2 shown]
	; wave barrier
	ds_load_2addr_b64 v[0:3], v71 offset1:32
	ds_load_2addr_b64 v[4:7], v71 offset0:64 offset1:96
	ds_load_2addr_b64 v[8:11], v71 offset0:128 offset1:160
	;; [unrolled: 1-line block ×3, first 2 shown]
	; wave barrier
	s_waitcnt lgkmcnt(11)
	ds_store_2addr_b64 v70, v[29:30], v[31:32] offset1:1
	s_waitcnt lgkmcnt(11)
	ds_store_2addr_b64 v70, v[25:26], v[27:28] offset0:2 offset1:3
	s_waitcnt lgkmcnt(11)
	ds_store_2addr_b64 v70, v[21:22], v[23:24] offset0:4 offset1:5
	;; [unrolled: 2-line block ×3, first 2 shown]
	; wave barrier
	ds_load_2addr_b64 v[20:23], v71 offset1:32
	ds_load_2addr_b64 v[24:27], v71 offset0:64 offset1:96
	ds_load_2addr_b64 v[28:31], v71 offset0:128 offset1:160
	;; [unrolled: 1-line block ×3, first 2 shown]
	s_mov_b32 s25, 8
	s_mov_b32 s26, 32
	;; [unrolled: 1-line block ×3, first 2 shown]
	s_waitcnt lgkmcnt(0)
	s_barrier
	s_branch .LBB367_4
.LBB367_3:                              ;   in Loop: Header=BB367_4 Depth=2
	s_barrier
	buffer_gl0_inv
	ds_store_b64 v75, v[44:45]
	ds_store_b64 v76, v[52:53]
	;; [unrolled: 1-line block ×8, first 2 shown]
	s_waitcnt lgkmcnt(0)
	s_barrier
	buffer_gl0_inv
	ds_load_2addr_b64 v[0:3], v71 offset1:32
	ds_load_2addr_b64 v[4:7], v71 offset0:64 offset1:96
	ds_load_2addr_b64 v[8:11], v71 offset0:128 offset1:160
	;; [unrolled: 1-line block ×3, first 2 shown]
	s_waitcnt lgkmcnt(0)
	s_barrier
	buffer_gl0_inv
	ds_store_b64 v75, v[34:35]
	ds_store_b64 v76, v[32:33]
	;; [unrolled: 1-line block ×8, first 2 shown]
	s_waitcnt lgkmcnt(0)
	s_barrier
	buffer_gl0_inv
	ds_load_2addr_b64 v[20:23], v71 offset1:32
	ds_load_2addr_b64 v[24:27], v71 offset0:64 offset1:96
	ds_load_2addr_b64 v[28:31], v71 offset0:128 offset1:160
	;; [unrolled: 1-line block ×3, first 2 shown]
	s_add_i32 s26, s26, -8
	s_add_i32 s25, s25, 8
	s_add_i32 s27, s27, 8
	s_waitcnt lgkmcnt(0)
	s_barrier
	s_cbranch_execz .LBB367_1
.LBB367_4:                              ;   Parent Loop BB367_2 Depth=1
                                        ; =>  This Inner Loop Header: Depth=2
	s_min_i32 s14, s25, 32
	s_cmp_lt_u32 s27, 32
	v_dual_mov_b32 v45, v1 :: v_dual_mov_b32 v44, v0
	s_cselect_b32 vcc_lo, -1, 0
	s_cmp_gt_u32 s27, 24
	v_mov_b32_e32 v35, v21
	s_cselect_b32 s13, -1, 0
	s_sub_i32 s14, s14, 32
	v_lshrrev_b32_e32 v1, s27, v45
	s_add_i32 s15, s14, s26
	v_dual_mov_b32 v41, v27 :: v_dual_mov_b32 v40, v26
	s_lshl_b32 s15, -1, s15
	v_dual_mov_b32 v43, v25 :: v_dual_mov_b32 v42, v24
	s_not_b32 s15, s15
	s_cmp_lg_u32 s14, s27
	v_mov_b32_e32 v34, v20
	s_cselect_b32 s28, s15, -1
	s_max_i32 s29, s26, 0
	s_max_i32 s14, s27, 32
	v_and_b32_e32 v1, s28, v1
	s_sub_i32 s15, s14, s29
	s_sub_i32 s30, s14, 32
	;; [unrolled: 1-line block ×3, first 2 shown]
	v_lshrrev_b32_e32 v0, s30, v44
	s_min_i32 s14, s15, 32
	buffer_gl0_inv
	s_sub_i32 s14, s14, s30
	v_dual_mov_b32 v39, v29 :: v_dual_mov_b32 v38, v28
	s_lshl_b32 s15, -1, s14
	v_cndmask_b32_e32 v1, 0, v1, vcc_lo
	s_not_b32 s15, s15
	s_cmp_lg_u32 s14, 32
	v_mov_b32_e32 v33, v23
	s_cselect_b32 s31, s15, -1
	v_mov_b32_e32 v32, v22
	v_dual_mov_b32 v37, v31 :: v_dual_and_b32 v0, s31, v0
	v_dual_mov_b32 v36, v30 :: v_dual_mov_b32 v47, v17
	s_delay_alu instid0(VALU_DEP_2) | instskip(SKIP_3) | instid1(VALU_DEP_4)
	v_dual_mov_b32 v49, v19 :: v_dual_lshlrev_b32 v0, s29, v0
	v_mov_b32_e32 v53, v3
	v_dual_mov_b32 v51, v5 :: v_dual_mov_b32 v46, v16
	v_mov_b32_e32 v48, v18
	v_cndmask_b32_e64 v0, 0, v0, s13
	v_mov_b32_e32 v52, v2
	v_dual_mov_b32 v50, v4 :: v_dual_mov_b32 v59, v7
	v_mov_b32_e32 v58, v6
	s_delay_alu instid0(VALU_DEP_4) | instskip(SKIP_2) | instid1(VALU_DEP_3)
	v_or_b32_e32 v20, v1, v0
	v_dual_mov_b32 v57, v9 :: v_dual_mov_b32 v56, v8
	v_dual_mov_b32 v55, v11 :: v_dual_mov_b32 v54, v10
	v_and_b32_e32 v0, 1, v20
	v_lshlrev_b32_e32 v1, 30, v20
	v_lshlrev_b32_e32 v21, 29, v20
	;; [unrolled: 1-line block ×4, first 2 shown]
	v_add_co_u32 v0, s14, v0, -1
	s_delay_alu instid0(VALU_DEP_1)
	v_cndmask_b32_e64 v23, 0, 1, s14
	v_not_b32_e32 v27, v1
	v_cmp_gt_i32_e64 s15, 0, v1
	v_not_b32_e32 v1, v21
	v_lshlrev_b32_e32 v25, 26, v20
	v_cmp_ne_u32_e64 s14, 0, v23
	v_ashrrev_i32_e32 v27, 31, v27
	v_lshlrev_b32_e32 v26, 25, v20
	v_ashrrev_i32_e32 v1, 31, v1
	v_lshlrev_b32_e32 v23, 24, v20
	v_xor_b32_e32 v0, s14, v0
	v_cmp_gt_i32_e64 s14, 0, v21
	v_not_b32_e32 v21, v22
	v_xor_b32_e32 v27, s15, v27
	v_cmp_gt_i32_e64 s15, 0, v22
	v_and_b32_e32 v0, exec_lo, v0
	v_not_b32_e32 v22, v24
	v_ashrrev_i32_e32 v21, 31, v21
	v_xor_b32_e32 v1, s14, v1
	v_cmp_gt_i32_e64 s14, 0, v24
	v_and_b32_e32 v0, v0, v27
	v_not_b32_e32 v24, v25
	v_ashrrev_i32_e32 v22, 31, v22
	v_xor_b32_e32 v21, s15, v21
	v_cmp_gt_i32_e64 s15, 0, v25
	v_and_b32_e32 v0, v0, v1
	v_not_b32_e32 v1, v26
	v_ashrrev_i32_e32 v24, 31, v24
	v_xor_b32_e32 v22, s14, v22
	v_cmp_gt_i32_e64 s14, 0, v26
	v_and_b32_e32 v0, v0, v21
	v_not_b32_e32 v21, v23
	v_ashrrev_i32_e32 v1, 31, v1
	v_xor_b32_e32 v24, s15, v24
	v_cmp_gt_i32_e64 s15, 0, v23
	v_and_b32_e32 v0, v0, v22
	v_ashrrev_i32_e32 v16, 31, v21
	v_xor_b32_e32 v1, s14, v1
	v_mov_b32_e32 v63, v13
	s_delay_alu instid0(VALU_DEP_4) | instskip(NEXT) | instid1(VALU_DEP_4)
	v_dual_mov_b32 v61, v15 :: v_dual_and_b32 v0, v0, v24
	v_xor_b32_e32 v3, s15, v16
	v_mov_b32_e32 v62, v12
	v_mov_b32_e32 v60, v14
	s_delay_alu instid0(VALU_DEP_4) | instskip(SKIP_1) | instid1(VALU_DEP_2)
	v_dual_mov_b32 v1, s22 :: v_dual_and_b32 v0, v0, v1
	v_mov_b32_e32 v2, s23
	v_dual_mov_b32 v3, s16 :: v_dual_and_b32 v0, v0, v3
	v_mov_b32_e32 v4, s17
	ds_store_2addr_b64 v65, v[1:2], v[3:4] offset0:4 offset1:5
	ds_store_2addr_b64 v66, v[1:2], v[3:4] offset0:2 offset1:3
	v_mbcnt_lo_u32_b32 v9, v0, 0
	v_lshl_add_u32 v1, v20, 3, v73
	v_cmp_ne_u32_e64 s15, 0, v0
	s_waitcnt lgkmcnt(0)
	s_barrier
	v_cmp_eq_u32_e64 s14, 0, v9
	v_lshl_add_u32 v8, v1, 2, 32
	buffer_gl0_inv
	; wave barrier
	s_and_b32 s15, s14, s15
	s_delay_alu instid0(SALU_CYCLE_1)
	s_and_saveexec_b32 s14, s15
	s_cbranch_execz .LBB367_6
; %bb.5:                                ;   in Loop: Header=BB367_4 Depth=2
	v_bcnt_u32_b32 v0, v0, 0
	ds_store_b32 v8, v0
.LBB367_6:                              ;   in Loop: Header=BB367_4 Depth=2
	s_or_b32 exec_lo, exec_lo, s14
	v_lshrrev_b32_e32 v0, s30, v52
	v_lshrrev_b32_e32 v1, s27, v53
	; wave barrier
	s_delay_alu instid0(VALU_DEP_1) | instskip(NEXT) | instid1(VALU_DEP_1)
	v_and_b32_e32 v1, s28, v1
	v_dual_cndmask_b32 v1, 0, v1 :: v_dual_and_b32 v0, s31, v0
	s_delay_alu instid0(VALU_DEP_1) | instskip(NEXT) | instid1(VALU_DEP_1)
	v_lshlrev_b32_e32 v0, s29, v0
	v_cndmask_b32_e64 v0, 0, v0, s13
	s_delay_alu instid0(VALU_DEP_1) | instskip(NEXT) | instid1(VALU_DEP_1)
	v_or_b32_e32 v0, v1, v0
	v_and_b32_e32 v1, 1, v0
	v_lshlrev_b32_e32 v2, 30, v0
	v_lshlrev_b32_e32 v3, 29, v0
	;; [unrolled: 1-line block ×4, first 2 shown]
	v_add_co_u32 v1, s14, v1, -1
	s_delay_alu instid0(VALU_DEP_1)
	v_cndmask_b32_e64 v5, 0, 1, s14
	v_not_b32_e32 v11, v2
	v_cmp_gt_i32_e64 s15, 0, v2
	v_not_b32_e32 v2, v3
	v_lshlrev_b32_e32 v7, 26, v0
	v_cmp_ne_u32_e64 s14, 0, v5
	v_ashrrev_i32_e32 v11, 31, v11
	v_lshlrev_b32_e32 v10, 25, v0
	v_ashrrev_i32_e32 v2, 31, v2
	v_lshlrev_b32_e32 v5, 24, v0
	v_xor_b32_e32 v1, s14, v1
	v_cmp_gt_i32_e64 s14, 0, v3
	v_not_b32_e32 v3, v4
	v_xor_b32_e32 v11, s15, v11
	v_cmp_gt_i32_e64 s15, 0, v4
	v_and_b32_e32 v1, exec_lo, v1
	v_not_b32_e32 v4, v6
	v_ashrrev_i32_e32 v3, 31, v3
	v_xor_b32_e32 v2, s14, v2
	v_cmp_gt_i32_e64 s14, 0, v6
	v_and_b32_e32 v1, v1, v11
	v_not_b32_e32 v6, v7
	v_ashrrev_i32_e32 v4, 31, v4
	v_xor_b32_e32 v3, s15, v3
	v_cmp_gt_i32_e64 s15, 0, v7
	v_and_b32_e32 v1, v1, v2
	;; [unrolled: 5-line block ×3, first 2 shown]
	v_not_b32_e32 v3, v5
	v_ashrrev_i32_e32 v2, 31, v2
	v_xor_b32_e32 v6, s15, v6
	v_lshlrev_b32_e32 v0, 3, v0
	v_and_b32_e32 v1, v1, v4
	v_cmp_gt_i32_e64 s15, 0, v5
	v_ashrrev_i32_e32 v3, 31, v3
	v_xor_b32_e32 v2, s14, v2
	v_add_lshl_u32 v4, v0, v73, 2
	v_and_b32_e32 v1, v1, v6
	s_delay_alu instid0(VALU_DEP_4) | instskip(SKIP_3) | instid1(VALU_DEP_2)
	v_xor_b32_e32 v0, s15, v3
	ds_load_b32 v10, v4 offset:32
	v_and_b32_e32 v1, v1, v2
	v_add_nc_u32_e32 v11, 32, v4
	; wave barrier
	v_and_b32_e32 v0, v1, v0
	s_delay_alu instid0(VALU_DEP_1) | instskip(SKIP_1) | instid1(VALU_DEP_2)
	v_mbcnt_lo_u32_b32 v12, v0, 0
	v_cmp_ne_u32_e64 s15, 0, v0
	v_cmp_eq_u32_e64 s14, 0, v12
	s_delay_alu instid0(VALU_DEP_1) | instskip(NEXT) | instid1(SALU_CYCLE_1)
	s_and_b32 s15, s14, s15
	s_and_saveexec_b32 s14, s15
	s_cbranch_execz .LBB367_8
; %bb.7:                                ;   in Loop: Header=BB367_4 Depth=2
	s_waitcnt lgkmcnt(0)
	v_bcnt_u32_b32 v0, v0, v10
	ds_store_b32 v11, v0
.LBB367_8:                              ;   in Loop: Header=BB367_4 Depth=2
	s_or_b32 exec_lo, exec_lo, s14
	v_lshrrev_b32_e32 v0, s30, v50
	v_lshrrev_b32_e32 v1, s27, v51
	; wave barrier
	s_delay_alu instid0(VALU_DEP_1) | instskip(NEXT) | instid1(VALU_DEP_1)
	v_and_b32_e32 v1, s28, v1
	v_dual_cndmask_b32 v1, 0, v1 :: v_dual_and_b32 v0, s31, v0
	s_delay_alu instid0(VALU_DEP_1) | instskip(NEXT) | instid1(VALU_DEP_1)
	v_lshlrev_b32_e32 v0, s29, v0
	v_cndmask_b32_e64 v0, 0, v0, s13
	s_delay_alu instid0(VALU_DEP_1) | instskip(NEXT) | instid1(VALU_DEP_1)
	v_or_b32_e32 v0, v1, v0
	v_and_b32_e32 v1, 1, v0
	v_lshlrev_b32_e32 v2, 30, v0
	v_lshlrev_b32_e32 v3, 29, v0
	;; [unrolled: 1-line block ×4, first 2 shown]
	v_add_co_u32 v1, s14, v1, -1
	s_delay_alu instid0(VALU_DEP_1)
	v_cndmask_b32_e64 v5, 0, 1, s14
	v_not_b32_e32 v14, v2
	v_cmp_gt_i32_e64 s15, 0, v2
	v_not_b32_e32 v2, v3
	v_lshlrev_b32_e32 v7, 26, v0
	v_cmp_ne_u32_e64 s14, 0, v5
	v_ashrrev_i32_e32 v14, 31, v14
	v_lshlrev_b32_e32 v13, 25, v0
	v_ashrrev_i32_e32 v2, 31, v2
	v_lshlrev_b32_e32 v5, 24, v0
	v_xor_b32_e32 v1, s14, v1
	v_cmp_gt_i32_e64 s14, 0, v3
	v_not_b32_e32 v3, v4
	v_xor_b32_e32 v14, s15, v14
	v_cmp_gt_i32_e64 s15, 0, v4
	v_and_b32_e32 v1, exec_lo, v1
	v_not_b32_e32 v4, v6
	v_ashrrev_i32_e32 v3, 31, v3
	v_xor_b32_e32 v2, s14, v2
	v_cmp_gt_i32_e64 s14, 0, v6
	v_and_b32_e32 v1, v1, v14
	v_not_b32_e32 v6, v7
	v_ashrrev_i32_e32 v4, 31, v4
	v_xor_b32_e32 v3, s15, v3
	v_cmp_gt_i32_e64 s15, 0, v7
	v_and_b32_e32 v1, v1, v2
	v_not_b32_e32 v2, v13
	v_ashrrev_i32_e32 v6, 31, v6
	v_xor_b32_e32 v4, s14, v4
	v_cmp_gt_i32_e64 s14, 0, v13
	v_and_b32_e32 v1, v1, v3
	v_not_b32_e32 v3, v5
	v_ashrrev_i32_e32 v2, 31, v2
	v_xor_b32_e32 v6, s15, v6
	v_lshlrev_b32_e32 v0, 3, v0
	v_and_b32_e32 v1, v1, v4
	v_cmp_gt_i32_e64 s15, 0, v5
	v_ashrrev_i32_e32 v3, 31, v3
	v_xor_b32_e32 v2, s14, v2
	v_add_lshl_u32 v4, v0, v73, 2
	v_and_b32_e32 v1, v1, v6
	s_delay_alu instid0(VALU_DEP_4) | instskip(SKIP_3) | instid1(VALU_DEP_2)
	v_xor_b32_e32 v0, s15, v3
	ds_load_b32 v13, v4 offset:32
	v_and_b32_e32 v1, v1, v2
	v_add_nc_u32_e32 v15, 32, v4
	; wave barrier
	v_and_b32_e32 v0, v1, v0
	s_delay_alu instid0(VALU_DEP_1) | instskip(SKIP_1) | instid1(VALU_DEP_2)
	v_mbcnt_lo_u32_b32 v14, v0, 0
	v_cmp_ne_u32_e64 s15, 0, v0
	v_cmp_eq_u32_e64 s14, 0, v14
	s_delay_alu instid0(VALU_DEP_1) | instskip(NEXT) | instid1(SALU_CYCLE_1)
	s_and_b32 s15, s14, s15
	s_and_saveexec_b32 s14, s15
	s_cbranch_execz .LBB367_10
; %bb.9:                                ;   in Loop: Header=BB367_4 Depth=2
	s_waitcnt lgkmcnt(0)
	v_bcnt_u32_b32 v0, v0, v13
	ds_store_b32 v15, v0
.LBB367_10:                             ;   in Loop: Header=BB367_4 Depth=2
	s_or_b32 exec_lo, exec_lo, s14
	v_lshrrev_b32_e32 v0, s30, v58
	v_lshrrev_b32_e32 v1, s27, v59
	; wave barrier
	s_delay_alu instid0(VALU_DEP_1) | instskip(NEXT) | instid1(VALU_DEP_1)
	v_and_b32_e32 v1, s28, v1
	v_dual_cndmask_b32 v1, 0, v1 :: v_dual_and_b32 v0, s31, v0
	s_delay_alu instid0(VALU_DEP_1) | instskip(NEXT) | instid1(VALU_DEP_1)
	v_lshlrev_b32_e32 v0, s29, v0
	v_cndmask_b32_e64 v0, 0, v0, s13
	s_delay_alu instid0(VALU_DEP_1) | instskip(NEXT) | instid1(VALU_DEP_1)
	v_or_b32_e32 v0, v1, v0
	v_and_b32_e32 v1, 1, v0
	v_lshlrev_b32_e32 v2, 30, v0
	v_lshlrev_b32_e32 v3, 29, v0
	;; [unrolled: 1-line block ×4, first 2 shown]
	v_add_co_u32 v1, s14, v1, -1
	s_delay_alu instid0(VALU_DEP_1)
	v_cndmask_b32_e64 v5, 0, 1, s14
	v_not_b32_e32 v17, v2
	v_cmp_gt_i32_e64 s15, 0, v2
	v_not_b32_e32 v2, v3
	v_lshlrev_b32_e32 v7, 26, v0
	v_cmp_ne_u32_e64 s14, 0, v5
	v_ashrrev_i32_e32 v17, 31, v17
	v_lshlrev_b32_e32 v16, 25, v0
	v_ashrrev_i32_e32 v2, 31, v2
	v_lshlrev_b32_e32 v5, 24, v0
	v_xor_b32_e32 v1, s14, v1
	v_cmp_gt_i32_e64 s14, 0, v3
	v_not_b32_e32 v3, v4
	v_xor_b32_e32 v17, s15, v17
	v_cmp_gt_i32_e64 s15, 0, v4
	v_and_b32_e32 v1, exec_lo, v1
	v_not_b32_e32 v4, v6
	v_ashrrev_i32_e32 v3, 31, v3
	v_xor_b32_e32 v2, s14, v2
	v_cmp_gt_i32_e64 s14, 0, v6
	v_and_b32_e32 v1, v1, v17
	v_not_b32_e32 v6, v7
	v_ashrrev_i32_e32 v4, 31, v4
	v_xor_b32_e32 v3, s15, v3
	v_cmp_gt_i32_e64 s15, 0, v7
	v_and_b32_e32 v1, v1, v2
	;; [unrolled: 5-line block ×3, first 2 shown]
	v_not_b32_e32 v3, v5
	v_ashrrev_i32_e32 v2, 31, v2
	v_xor_b32_e32 v6, s15, v6
	v_lshlrev_b32_e32 v0, 3, v0
	v_and_b32_e32 v1, v1, v4
	v_cmp_gt_i32_e64 s15, 0, v5
	v_ashrrev_i32_e32 v3, 31, v3
	v_xor_b32_e32 v2, s14, v2
	v_add_lshl_u32 v4, v0, v73, 2
	v_and_b32_e32 v1, v1, v6
	s_delay_alu instid0(VALU_DEP_4) | instskip(SKIP_3) | instid1(VALU_DEP_2)
	v_xor_b32_e32 v0, s15, v3
	ds_load_b32 v16, v4 offset:32
	v_and_b32_e32 v1, v1, v2
	v_add_nc_u32_e32 v18, 32, v4
	; wave barrier
	v_and_b32_e32 v0, v1, v0
	s_delay_alu instid0(VALU_DEP_1) | instskip(SKIP_1) | instid1(VALU_DEP_2)
	v_mbcnt_lo_u32_b32 v17, v0, 0
	v_cmp_ne_u32_e64 s15, 0, v0
	v_cmp_eq_u32_e64 s14, 0, v17
	s_delay_alu instid0(VALU_DEP_1) | instskip(NEXT) | instid1(SALU_CYCLE_1)
	s_and_b32 s15, s14, s15
	s_and_saveexec_b32 s14, s15
	s_cbranch_execz .LBB367_12
; %bb.11:                               ;   in Loop: Header=BB367_4 Depth=2
	s_waitcnt lgkmcnt(0)
	v_bcnt_u32_b32 v0, v0, v16
	ds_store_b32 v18, v0
.LBB367_12:                             ;   in Loop: Header=BB367_4 Depth=2
	s_or_b32 exec_lo, exec_lo, s14
	v_lshrrev_b32_e32 v0, s30, v56
	v_lshrrev_b32_e32 v1, s27, v57
	; wave barrier
	s_delay_alu instid0(VALU_DEP_1) | instskip(NEXT) | instid1(VALU_DEP_1)
	v_and_b32_e32 v1, s28, v1
	v_dual_cndmask_b32 v1, 0, v1 :: v_dual_and_b32 v0, s31, v0
	s_delay_alu instid0(VALU_DEP_1) | instskip(NEXT) | instid1(VALU_DEP_1)
	v_lshlrev_b32_e32 v0, s29, v0
	v_cndmask_b32_e64 v0, 0, v0, s13
	s_delay_alu instid0(VALU_DEP_1) | instskip(NEXT) | instid1(VALU_DEP_1)
	v_or_b32_e32 v0, v1, v0
	v_and_b32_e32 v1, 1, v0
	v_lshlrev_b32_e32 v2, 30, v0
	v_lshlrev_b32_e32 v3, 29, v0
	;; [unrolled: 1-line block ×4, first 2 shown]
	v_add_co_u32 v1, s14, v1, -1
	s_delay_alu instid0(VALU_DEP_1)
	v_cndmask_b32_e64 v5, 0, 1, s14
	v_not_b32_e32 v20, v2
	v_cmp_gt_i32_e64 s15, 0, v2
	v_not_b32_e32 v2, v3
	v_lshlrev_b32_e32 v7, 26, v0
	v_cmp_ne_u32_e64 s14, 0, v5
	v_ashrrev_i32_e32 v20, 31, v20
	v_lshlrev_b32_e32 v19, 25, v0
	v_ashrrev_i32_e32 v2, 31, v2
	v_lshlrev_b32_e32 v5, 24, v0
	v_xor_b32_e32 v1, s14, v1
	v_cmp_gt_i32_e64 s14, 0, v3
	v_not_b32_e32 v3, v4
	v_xor_b32_e32 v20, s15, v20
	v_cmp_gt_i32_e64 s15, 0, v4
	v_and_b32_e32 v1, exec_lo, v1
	v_not_b32_e32 v4, v6
	v_ashrrev_i32_e32 v3, 31, v3
	v_xor_b32_e32 v2, s14, v2
	v_cmp_gt_i32_e64 s14, 0, v6
	v_and_b32_e32 v1, v1, v20
	v_not_b32_e32 v6, v7
	v_ashrrev_i32_e32 v4, 31, v4
	v_xor_b32_e32 v3, s15, v3
	v_cmp_gt_i32_e64 s15, 0, v7
	v_and_b32_e32 v1, v1, v2
	v_not_b32_e32 v2, v19
	v_ashrrev_i32_e32 v6, 31, v6
	v_xor_b32_e32 v4, s14, v4
	v_cmp_gt_i32_e64 s14, 0, v19
	v_and_b32_e32 v1, v1, v3
	v_not_b32_e32 v3, v5
	v_ashrrev_i32_e32 v2, 31, v2
	v_xor_b32_e32 v6, s15, v6
	v_lshlrev_b32_e32 v0, 3, v0
	v_and_b32_e32 v1, v1, v4
	v_cmp_gt_i32_e64 s15, 0, v5
	v_ashrrev_i32_e32 v3, 31, v3
	v_xor_b32_e32 v2, s14, v2
	v_add_lshl_u32 v4, v0, v73, 2
	v_and_b32_e32 v1, v1, v6
	s_delay_alu instid0(VALU_DEP_4) | instskip(SKIP_3) | instid1(VALU_DEP_2)
	v_xor_b32_e32 v0, s15, v3
	ds_load_b32 v19, v4 offset:32
	v_and_b32_e32 v1, v1, v2
	v_add_nc_u32_e32 v21, 32, v4
	; wave barrier
	v_and_b32_e32 v0, v1, v0
	s_delay_alu instid0(VALU_DEP_1) | instskip(SKIP_1) | instid1(VALU_DEP_2)
	v_mbcnt_lo_u32_b32 v20, v0, 0
	v_cmp_ne_u32_e64 s15, 0, v0
	v_cmp_eq_u32_e64 s14, 0, v20
	s_delay_alu instid0(VALU_DEP_1) | instskip(NEXT) | instid1(SALU_CYCLE_1)
	s_and_b32 s15, s14, s15
	s_and_saveexec_b32 s14, s15
	s_cbranch_execz .LBB367_14
; %bb.13:                               ;   in Loop: Header=BB367_4 Depth=2
	s_waitcnt lgkmcnt(0)
	v_bcnt_u32_b32 v0, v0, v19
	ds_store_b32 v21, v0
.LBB367_14:                             ;   in Loop: Header=BB367_4 Depth=2
	s_or_b32 exec_lo, exec_lo, s14
	v_lshrrev_b32_e32 v0, s30, v54
	v_lshrrev_b32_e32 v1, s27, v55
	; wave barrier
	s_delay_alu instid0(VALU_DEP_1) | instskip(NEXT) | instid1(VALU_DEP_1)
	v_and_b32_e32 v1, s28, v1
	v_dual_cndmask_b32 v1, 0, v1 :: v_dual_and_b32 v0, s31, v0
	s_delay_alu instid0(VALU_DEP_1) | instskip(NEXT) | instid1(VALU_DEP_1)
	v_lshlrev_b32_e32 v0, s29, v0
	v_cndmask_b32_e64 v0, 0, v0, s13
	s_delay_alu instid0(VALU_DEP_1) | instskip(NEXT) | instid1(VALU_DEP_1)
	v_or_b32_e32 v0, v1, v0
	v_and_b32_e32 v1, 1, v0
	v_lshlrev_b32_e32 v2, 30, v0
	v_lshlrev_b32_e32 v3, 29, v0
	;; [unrolled: 1-line block ×4, first 2 shown]
	v_add_co_u32 v1, s14, v1, -1
	s_delay_alu instid0(VALU_DEP_1)
	v_cndmask_b32_e64 v5, 0, 1, s14
	v_not_b32_e32 v23, v2
	v_cmp_gt_i32_e64 s15, 0, v2
	v_not_b32_e32 v2, v3
	v_lshlrev_b32_e32 v7, 26, v0
	v_cmp_ne_u32_e64 s14, 0, v5
	v_ashrrev_i32_e32 v23, 31, v23
	v_lshlrev_b32_e32 v22, 25, v0
	v_ashrrev_i32_e32 v2, 31, v2
	v_lshlrev_b32_e32 v5, 24, v0
	v_xor_b32_e32 v1, s14, v1
	v_cmp_gt_i32_e64 s14, 0, v3
	v_not_b32_e32 v3, v4
	v_xor_b32_e32 v23, s15, v23
	v_cmp_gt_i32_e64 s15, 0, v4
	v_and_b32_e32 v1, exec_lo, v1
	v_not_b32_e32 v4, v6
	v_ashrrev_i32_e32 v3, 31, v3
	v_xor_b32_e32 v2, s14, v2
	v_cmp_gt_i32_e64 s14, 0, v6
	v_and_b32_e32 v1, v1, v23
	v_not_b32_e32 v6, v7
	v_ashrrev_i32_e32 v4, 31, v4
	v_xor_b32_e32 v3, s15, v3
	v_cmp_gt_i32_e64 s15, 0, v7
	v_and_b32_e32 v1, v1, v2
	;; [unrolled: 5-line block ×3, first 2 shown]
	v_not_b32_e32 v3, v5
	v_ashrrev_i32_e32 v2, 31, v2
	v_xor_b32_e32 v6, s15, v6
	v_lshlrev_b32_e32 v0, 3, v0
	v_and_b32_e32 v1, v1, v4
	v_cmp_gt_i32_e64 s15, 0, v5
	v_ashrrev_i32_e32 v3, 31, v3
	v_xor_b32_e32 v2, s14, v2
	v_add_lshl_u32 v4, v0, v73, 2
	v_and_b32_e32 v1, v1, v6
	s_delay_alu instid0(VALU_DEP_4) | instskip(SKIP_3) | instid1(VALU_DEP_2)
	v_xor_b32_e32 v0, s15, v3
	ds_load_b32 v22, v4 offset:32
	v_and_b32_e32 v1, v1, v2
	v_add_nc_u32_e32 v24, 32, v4
	; wave barrier
	v_and_b32_e32 v0, v1, v0
	s_delay_alu instid0(VALU_DEP_1) | instskip(SKIP_1) | instid1(VALU_DEP_2)
	v_mbcnt_lo_u32_b32 v23, v0, 0
	v_cmp_ne_u32_e64 s15, 0, v0
	v_cmp_eq_u32_e64 s14, 0, v23
	s_delay_alu instid0(VALU_DEP_1) | instskip(NEXT) | instid1(SALU_CYCLE_1)
	s_and_b32 s15, s14, s15
	s_and_saveexec_b32 s14, s15
	s_cbranch_execz .LBB367_16
; %bb.15:                               ;   in Loop: Header=BB367_4 Depth=2
	s_waitcnt lgkmcnt(0)
	v_bcnt_u32_b32 v0, v0, v22
	ds_store_b32 v24, v0
.LBB367_16:                             ;   in Loop: Header=BB367_4 Depth=2
	s_or_b32 exec_lo, exec_lo, s14
	v_lshrrev_b32_e32 v0, s30, v62
	v_lshrrev_b32_e32 v1, s27, v63
	; wave barrier
	s_delay_alu instid0(VALU_DEP_1) | instskip(NEXT) | instid1(VALU_DEP_1)
	v_and_b32_e32 v1, s28, v1
	v_dual_cndmask_b32 v1, 0, v1 :: v_dual_and_b32 v0, s31, v0
	s_delay_alu instid0(VALU_DEP_1) | instskip(NEXT) | instid1(VALU_DEP_1)
	v_lshlrev_b32_e32 v0, s29, v0
	v_cndmask_b32_e64 v0, 0, v0, s13
	s_delay_alu instid0(VALU_DEP_1) | instskip(NEXT) | instid1(VALU_DEP_1)
	v_or_b32_e32 v0, v1, v0
	v_and_b32_e32 v1, 1, v0
	v_lshlrev_b32_e32 v2, 30, v0
	v_lshlrev_b32_e32 v3, 29, v0
	;; [unrolled: 1-line block ×4, first 2 shown]
	v_add_co_u32 v1, s14, v1, -1
	s_delay_alu instid0(VALU_DEP_1)
	v_cndmask_b32_e64 v5, 0, 1, s14
	v_not_b32_e32 v26, v2
	v_cmp_gt_i32_e64 s15, 0, v2
	v_not_b32_e32 v2, v3
	v_lshlrev_b32_e32 v7, 26, v0
	v_cmp_ne_u32_e64 s14, 0, v5
	v_ashrrev_i32_e32 v26, 31, v26
	v_lshlrev_b32_e32 v25, 25, v0
	v_ashrrev_i32_e32 v2, 31, v2
	v_lshlrev_b32_e32 v5, 24, v0
	v_xor_b32_e32 v1, s14, v1
	v_cmp_gt_i32_e64 s14, 0, v3
	v_not_b32_e32 v3, v4
	v_xor_b32_e32 v26, s15, v26
	v_cmp_gt_i32_e64 s15, 0, v4
	v_and_b32_e32 v1, exec_lo, v1
	v_not_b32_e32 v4, v6
	v_ashrrev_i32_e32 v3, 31, v3
	v_xor_b32_e32 v2, s14, v2
	v_cmp_gt_i32_e64 s14, 0, v6
	v_and_b32_e32 v1, v1, v26
	v_not_b32_e32 v6, v7
	v_ashrrev_i32_e32 v4, 31, v4
	v_xor_b32_e32 v3, s15, v3
	v_cmp_gt_i32_e64 s15, 0, v7
	v_and_b32_e32 v1, v1, v2
	;; [unrolled: 5-line block ×3, first 2 shown]
	v_not_b32_e32 v3, v5
	v_ashrrev_i32_e32 v2, 31, v2
	v_xor_b32_e32 v6, s15, v6
	v_lshlrev_b32_e32 v0, 3, v0
	v_and_b32_e32 v1, v1, v4
	v_cmp_gt_i32_e64 s15, 0, v5
	v_ashrrev_i32_e32 v3, 31, v3
	v_xor_b32_e32 v2, s14, v2
	v_add_lshl_u32 v4, v0, v73, 2
	v_and_b32_e32 v1, v1, v6
	s_delay_alu instid0(VALU_DEP_4) | instskip(SKIP_3) | instid1(VALU_DEP_2)
	v_xor_b32_e32 v0, s15, v3
	ds_load_b32 v25, v4 offset:32
	v_and_b32_e32 v1, v1, v2
	v_add_nc_u32_e32 v27, 32, v4
	; wave barrier
	v_and_b32_e32 v0, v1, v0
	s_delay_alu instid0(VALU_DEP_1) | instskip(SKIP_1) | instid1(VALU_DEP_2)
	v_mbcnt_lo_u32_b32 v26, v0, 0
	v_cmp_ne_u32_e64 s15, 0, v0
	v_cmp_eq_u32_e64 s14, 0, v26
	s_delay_alu instid0(VALU_DEP_1) | instskip(NEXT) | instid1(SALU_CYCLE_1)
	s_and_b32 s15, s14, s15
	s_and_saveexec_b32 s14, s15
	s_cbranch_execz .LBB367_18
; %bb.17:                               ;   in Loop: Header=BB367_4 Depth=2
	s_waitcnt lgkmcnt(0)
	v_bcnt_u32_b32 v0, v0, v25
	ds_store_b32 v27, v0
.LBB367_18:                             ;   in Loop: Header=BB367_4 Depth=2
	s_or_b32 exec_lo, exec_lo, s14
	v_lshrrev_b32_e32 v0, s30, v60
	v_lshrrev_b32_e32 v1, s27, v61
	; wave barrier
	s_delay_alu instid0(VALU_DEP_1) | instskip(NEXT) | instid1(VALU_DEP_1)
	v_and_b32_e32 v1, s28, v1
	v_dual_cndmask_b32 v1, 0, v1 :: v_dual_and_b32 v0, s31, v0
	s_delay_alu instid0(VALU_DEP_1) | instskip(NEXT) | instid1(VALU_DEP_1)
	v_lshlrev_b32_e32 v0, s29, v0
	v_cndmask_b32_e64 v0, 0, v0, s13
	s_delay_alu instid0(VALU_DEP_1) | instskip(NEXT) | instid1(VALU_DEP_1)
	v_or_b32_e32 v0, v1, v0
	v_and_b32_e32 v1, 1, v0
	v_lshlrev_b32_e32 v2, 30, v0
	v_lshlrev_b32_e32 v3, 29, v0
	;; [unrolled: 1-line block ×4, first 2 shown]
	v_add_co_u32 v1, s13, v1, -1
	s_delay_alu instid0(VALU_DEP_1)
	v_cndmask_b32_e64 v5, 0, 1, s13
	v_not_b32_e32 v29, v2
	v_cmp_gt_i32_e64 s13, 0, v2
	v_not_b32_e32 v2, v3
	v_lshlrev_b32_e32 v7, 26, v0
	v_cmp_ne_u32_e32 vcc_lo, 0, v5
	v_ashrrev_i32_e32 v29, 31, v29
	v_lshlrev_b32_e32 v28, 25, v0
	v_ashrrev_i32_e32 v2, 31, v2
	v_lshlrev_b32_e32 v5, 24, v0
	v_xor_b32_e32 v1, vcc_lo, v1
	v_cmp_gt_i32_e32 vcc_lo, 0, v3
	v_not_b32_e32 v3, v4
	v_xor_b32_e32 v29, s13, v29
	v_cmp_gt_i32_e64 s13, 0, v4
	v_and_b32_e32 v1, exec_lo, v1
	v_not_b32_e32 v4, v6
	v_ashrrev_i32_e32 v3, 31, v3
	v_xor_b32_e32 v2, vcc_lo, v2
	v_cmp_gt_i32_e32 vcc_lo, 0, v6
	v_and_b32_e32 v1, v1, v29
	v_not_b32_e32 v6, v7
	v_ashrrev_i32_e32 v4, 31, v4
	v_xor_b32_e32 v3, s13, v3
	v_cmp_gt_i32_e64 s13, 0, v7
	v_and_b32_e32 v1, v1, v2
	v_not_b32_e32 v2, v28
	v_ashrrev_i32_e32 v6, 31, v6
	v_xor_b32_e32 v4, vcc_lo, v4
	v_cmp_gt_i32_e32 vcc_lo, 0, v28
	v_and_b32_e32 v1, v1, v3
	v_not_b32_e32 v3, v5
	v_ashrrev_i32_e32 v2, 31, v2
	v_xor_b32_e32 v6, s13, v6
	v_lshlrev_b32_e32 v0, 3, v0
	v_and_b32_e32 v1, v1, v4
	v_cmp_gt_i32_e64 s13, 0, v5
	v_ashrrev_i32_e32 v3, 31, v3
	v_xor_b32_e32 v2, vcc_lo, v2
	v_add_lshl_u32 v4, v0, v73, 2
	v_and_b32_e32 v1, v1, v6
	s_delay_alu instid0(VALU_DEP_4) | instskip(SKIP_3) | instid1(VALU_DEP_2)
	v_xor_b32_e32 v0, s13, v3
	ds_load_b32 v28, v4 offset:32
	v_and_b32_e32 v1, v1, v2
	v_add_nc_u32_e32 v30, 32, v4
	; wave barrier
	v_and_b32_e32 v0, v1, v0
	s_delay_alu instid0(VALU_DEP_1) | instskip(SKIP_1) | instid1(VALU_DEP_2)
	v_mbcnt_lo_u32_b32 v29, v0, 0
	v_cmp_ne_u32_e64 s13, 0, v0
	v_cmp_eq_u32_e32 vcc_lo, 0, v29
	s_delay_alu instid0(VALU_DEP_2) | instskip(NEXT) | instid1(SALU_CYCLE_1)
	s_and_b32 s14, vcc_lo, s13
	s_and_saveexec_b32 s13, s14
	s_cbranch_execz .LBB367_20
; %bb.19:                               ;   in Loop: Header=BB367_4 Depth=2
	s_waitcnt lgkmcnt(0)
	v_bcnt_u32_b32 v0, v0, v28
	ds_store_b32 v30, v0
.LBB367_20:                             ;   in Loop: Header=BB367_4 Depth=2
	s_or_b32 exec_lo, exec_lo, s13
	; wave barrier
	s_waitcnt lgkmcnt(0)
	s_barrier
	buffer_gl0_inv
	ds_load_2addr_b64 v[4:7], v65 offset0:4 offset1:5
	ds_load_2addr_b64 v[0:3], v66 offset0:2 offset1:3
	s_waitcnt lgkmcnt(1)
	v_add_nc_u32_e32 v31, v5, v4
	s_delay_alu instid0(VALU_DEP_1) | instskip(SKIP_1) | instid1(VALU_DEP_1)
	v_add3_u32 v31, v31, v6, v7
	s_waitcnt lgkmcnt(0)
	v_add3_u32 v31, v31, v0, v1
	s_delay_alu instid0(VALU_DEP_1) | instskip(NEXT) | instid1(VALU_DEP_1)
	v_add3_u32 v3, v31, v2, v3
	v_mov_b32_dpp v31, v3 row_shr:1 row_mask:0xf bank_mask:0xf
	s_delay_alu instid0(VALU_DEP_1) | instskip(NEXT) | instid1(VALU_DEP_1)
	v_cndmask_b32_e64 v31, v31, 0, s1
	v_add_nc_u32_e32 v3, v31, v3
	s_delay_alu instid0(VALU_DEP_1) | instskip(NEXT) | instid1(VALU_DEP_1)
	v_mov_b32_dpp v31, v3 row_shr:2 row_mask:0xf bank_mask:0xf
	v_cndmask_b32_e64 v31, 0, v31, s2
	s_delay_alu instid0(VALU_DEP_1) | instskip(NEXT) | instid1(VALU_DEP_1)
	v_add_nc_u32_e32 v3, v3, v31
	v_mov_b32_dpp v31, v3 row_shr:4 row_mask:0xf bank_mask:0xf
	s_delay_alu instid0(VALU_DEP_1) | instskip(NEXT) | instid1(VALU_DEP_1)
	v_cndmask_b32_e64 v31, 0, v31, s3
	v_add_nc_u32_e32 v3, v3, v31
	s_delay_alu instid0(VALU_DEP_1) | instskip(NEXT) | instid1(VALU_DEP_1)
	v_mov_b32_dpp v31, v3 row_shr:8 row_mask:0xf bank_mask:0xf
	v_cndmask_b32_e64 v31, 0, v31, s4
	s_delay_alu instid0(VALU_DEP_1) | instskip(SKIP_3) | instid1(VALU_DEP_1)
	v_add_nc_u32_e32 v3, v3, v31
	ds_swizzle_b32 v31, v3 offset:swizzle(BROADCAST,32,15)
	s_waitcnt lgkmcnt(0)
	v_cndmask_b32_e64 v31, v31, 0, s5
	v_add_nc_u32_e32 v3, v3, v31
	s_and_saveexec_b32 s13, s12
	s_cbranch_execz .LBB367_22
; %bb.21:                               ;   in Loop: Header=BB367_4 Depth=2
	ds_store_b32 v68, v3
.LBB367_22:                             ;   in Loop: Header=BB367_4 Depth=2
	s_or_b32 exec_lo, exec_lo, s13
	s_waitcnt lgkmcnt(0)
	s_barrier
	buffer_gl0_inv
	s_and_saveexec_b32 s13, s6
	s_cbranch_execz .LBB367_24
; %bb.23:                               ;   in Loop: Header=BB367_4 Depth=2
	ds_load_b32 v31, v69
	s_waitcnt lgkmcnt(0)
	v_mov_b32_dpp v75, v31 row_shr:1 row_mask:0xf bank_mask:0xf
	s_delay_alu instid0(VALU_DEP_1) | instskip(NEXT) | instid1(VALU_DEP_1)
	v_cndmask_b32_e64 v75, v75, 0, s9
	v_add_nc_u32_e32 v31, v75, v31
	s_delay_alu instid0(VALU_DEP_1) | instskip(NEXT) | instid1(VALU_DEP_1)
	v_mov_b32_dpp v75, v31 row_shr:2 row_mask:0xf bank_mask:0xf
	v_cndmask_b32_e64 v75, 0, v75, s10
	s_delay_alu instid0(VALU_DEP_1) | instskip(NEXT) | instid1(VALU_DEP_1)
	v_add_nc_u32_e32 v31, v31, v75
	v_mov_b32_dpp v75, v31 row_shr:4 row_mask:0xf bank_mask:0xf
	s_delay_alu instid0(VALU_DEP_1) | instskip(NEXT) | instid1(VALU_DEP_1)
	v_cndmask_b32_e64 v75, 0, v75, s11
	v_add_nc_u32_e32 v31, v31, v75
	ds_store_b32 v69, v31
.LBB367_24:                             ;   in Loop: Header=BB367_4 Depth=2
	s_or_b32 exec_lo, exec_lo, s13
	v_mov_b32_e32 v31, 0
	s_waitcnt lgkmcnt(0)
	s_barrier
	buffer_gl0_inv
	s_and_saveexec_b32 s13, s7
	s_cbranch_execz .LBB367_26
; %bb.25:                               ;   in Loop: Header=BB367_4 Depth=2
	ds_load_b32 v31, v72
.LBB367_26:                             ;   in Loop: Header=BB367_4 Depth=2
	s_or_b32 exec_lo, exec_lo, s13
	s_waitcnt lgkmcnt(0)
	v_add_nc_u32_e32 v3, v31, v3
	s_cmp_gt_u32 s27, 55
	ds_bpermute_b32 v3, v67, v3
	s_waitcnt lgkmcnt(0)
	v_cndmask_b32_e64 v3, v3, v31, s0
	s_delay_alu instid0(VALU_DEP_1) | instskip(NEXT) | instid1(VALU_DEP_1)
	v_cndmask_b32_e64 v3, v3, 0, s8
	v_add_nc_u32_e32 v4, v3, v4
	s_delay_alu instid0(VALU_DEP_1) | instskip(NEXT) | instid1(VALU_DEP_1)
	v_add_nc_u32_e32 v5, v4, v5
	v_add_nc_u32_e32 v6, v5, v6
	s_delay_alu instid0(VALU_DEP_1)
	v_add_nc_u32_e32 v75, v6, v7
	v_lshlrev_b32_e32 v7, 3, v12
	v_lshlrev_b32_e32 v12, 3, v13
	;; [unrolled: 1-line block ×4, first 2 shown]
	v_add_nc_u32_e32 v76, v75, v0
	s_delay_alu instid0(VALU_DEP_1) | instskip(NEXT) | instid1(VALU_DEP_1)
	v_add_nc_u32_e32 v0, v76, v1
	v_add_nc_u32_e32 v1, v0, v2
	v_lshlrev_b32_e32 v2, 3, v9
	v_lshlrev_b32_e32 v9, 3, v10
	ds_store_2addr_b64 v65, v[3:4], v[5:6] offset0:4 offset1:5
	ds_store_2addr_b64 v66, v[75:76], v[0:1] offset0:2 offset1:3
	s_waitcnt lgkmcnt(0)
	s_barrier
	buffer_gl0_inv
	ds_load_b32 v0, v8
	ds_load_b32 v1, v11
	;; [unrolled: 1-line block ×8, first 2 shown]
	v_lshlrev_b32_e32 v11, 3, v14
	v_lshlrev_b32_e32 v14, 3, v16
	;; [unrolled: 1-line block ×9, first 2 shown]
	s_waitcnt lgkmcnt(0)
	v_lshl_add_u32 v75, v0, 3, v2
	v_lshlrev_b32_e32 v0, 3, v1
	v_lshlrev_b32_e32 v1, 3, v3
	;; [unrolled: 1-line block ×7, first 2 shown]
	v_add3_u32 v76, v7, v9, v0
	v_add3_u32 v77, v11, v12, v1
	;; [unrolled: 1-line block ×7, first 2 shown]
	s_cbranch_scc0 .LBB367_3
; %bb.27:                               ;   in Loop: Header=BB367_2 Depth=1
                                        ; implicit-def: $sgpr27
                                        ; implicit-def: $vgpr20_vgpr21
                                        ; implicit-def: $vgpr24_vgpr25
                                        ; implicit-def: $vgpr28_vgpr29
                                        ; implicit-def: $vgpr16_vgpr17
                                        ; implicit-def: $vgpr0_vgpr1
                                        ; implicit-def: $vgpr4_vgpr5
                                        ; implicit-def: $vgpr8_vgpr9
                                        ; implicit-def: $vgpr12_vgpr13
                                        ; implicit-def: $sgpr26
                                        ; implicit-def: $sgpr25
	s_branch .LBB367_1
.LBB367_28:
	s_add_u32 s0, s18, s20
	s_waitcnt lgkmcnt(1)
	v_add_nc_u32_e32 v15, v15, v23
	s_addc_u32 s1, s19, s21
	v_add_co_u32 v23, s2, s0, v64
	v_add_nc_u32_e32 v16, v16, v24
	v_add_co_ci_u32_e64 v24, null, s1, 0, s2
	s_waitcnt lgkmcnt(0)
	v_add_nc_u32_e32 v0, v1, v17
	v_add_co_u32 v17, vcc_lo, 0x1000, v23
	v_add_nc_u32_e32 v1, v2, v18
	v_add_co_ci_u32_e32 v18, vcc_lo, 0, v24, vcc_lo
	v_add_nc_u32_e32 v2, v3, v19
	v_add_co_u32 v19, vcc_lo, v23, 0x2000
	v_add_nc_u32_e32 v13, v13, v21
	v_add_nc_u32_e32 v14, v14, v22
	;; [unrolled: 1-line block ×3, first 2 shown]
	v_add_co_ci_u32_e32 v20, vcc_lo, 0, v24, vcc_lo
	v_add_co_u32 v21, vcc_lo, 0x2000, v23
	v_add_nc_u32_e32 v5, v5, v29
	v_add_nc_u32_e32 v6, v6, v30
	;; [unrolled: 1-line block ×4, first 2 shown]
	v_add_co_ci_u32_e32 v22, vcc_lo, 0, v24, vcc_lo
	v_add_nc_u32_e32 v11, v11, v27
	v_add_nc_u32_e32 v12, v12, v28
	global_store_b64 v[19:20], v[13:14], off
	v_add_co_u32 v13, vcc_lo, 0x3000, v23
	v_add_co_ci_u32_e32 v14, vcc_lo, 0, v24, vcc_lo
	v_add_nc_u32_e32 v9, v9, v25
	v_add_nc_u32_e32 v10, v10, v26
	s_clause 0x6
	global_store_b64 v64, v[5:6], s[0:1]
	global_store_b64 v64, v[7:8], s[0:1] offset:2048
	global_store_b64 v[17:18], v[11:12], off offset:2048
	global_store_b64 v[21:22], v[15:16], off offset:2048
	global_store_b64 v[13:14], v[0:1], off
	global_store_b64 v[19:20], v[9:10], off offset:-4096
	global_store_b64 v[13:14], v[2:3], off offset:2048
	s_nop 0
	s_sendmsg sendmsg(MSG_DEALLOC_VGPRS)
	s_endpgm
	.section	.rodata,"a",@progbits
	.p2align	6, 0x0
	.amdhsa_kernel _Z17sort_pairs_kernelI22helper_blocked_stripedN15benchmark_utils11custom_typeIiiEELj256ELj8ELj10EEvPKT0_PS4_
		.amdhsa_group_segment_fixed_size 16384
		.amdhsa_private_segment_fixed_size 0
		.amdhsa_kernarg_size 272
		.amdhsa_user_sgpr_count 15
		.amdhsa_user_sgpr_dispatch_ptr 0
		.amdhsa_user_sgpr_queue_ptr 0
		.amdhsa_user_sgpr_kernarg_segment_ptr 1
		.amdhsa_user_sgpr_dispatch_id 0
		.amdhsa_user_sgpr_private_segment_size 0
		.amdhsa_wavefront_size32 1
		.amdhsa_uses_dynamic_stack 0
		.amdhsa_enable_private_segment 0
		.amdhsa_system_sgpr_workgroup_id_x 1
		.amdhsa_system_sgpr_workgroup_id_y 0
		.amdhsa_system_sgpr_workgroup_id_z 0
		.amdhsa_system_sgpr_workgroup_info 0
		.amdhsa_system_vgpr_workitem_id 2
		.amdhsa_next_free_vgpr 83
		.amdhsa_next_free_sgpr 32
		.amdhsa_reserve_vcc 1
		.amdhsa_float_round_mode_32 0
		.amdhsa_float_round_mode_16_64 0
		.amdhsa_float_denorm_mode_32 3
		.amdhsa_float_denorm_mode_16_64 3
		.amdhsa_dx10_clamp 1
		.amdhsa_ieee_mode 1
		.amdhsa_fp16_overflow 0
		.amdhsa_workgroup_processor_mode 1
		.amdhsa_memory_ordered 1
		.amdhsa_forward_progress 0
		.amdhsa_shared_vgpr_count 0
		.amdhsa_exception_fp_ieee_invalid_op 0
		.amdhsa_exception_fp_denorm_src 0
		.amdhsa_exception_fp_ieee_div_zero 0
		.amdhsa_exception_fp_ieee_overflow 0
		.amdhsa_exception_fp_ieee_underflow 0
		.amdhsa_exception_fp_ieee_inexact 0
		.amdhsa_exception_int_div_zero 0
	.end_amdhsa_kernel
	.section	.text._Z17sort_pairs_kernelI22helper_blocked_stripedN15benchmark_utils11custom_typeIiiEELj256ELj8ELj10EEvPKT0_PS4_,"axG",@progbits,_Z17sort_pairs_kernelI22helper_blocked_stripedN15benchmark_utils11custom_typeIiiEELj256ELj8ELj10EEvPKT0_PS4_,comdat
.Lfunc_end367:
	.size	_Z17sort_pairs_kernelI22helper_blocked_stripedN15benchmark_utils11custom_typeIiiEELj256ELj8ELj10EEvPKT0_PS4_, .Lfunc_end367-_Z17sort_pairs_kernelI22helper_blocked_stripedN15benchmark_utils11custom_typeIiiEELj256ELj8ELj10EEvPKT0_PS4_
                                        ; -- End function
	.section	.AMDGPU.csdata,"",@progbits
; Kernel info:
; codeLenInByte = 5676
; NumSgprs: 34
; NumVgprs: 83
; ScratchSize: 0
; MemoryBound: 0
; FloatMode: 240
; IeeeMode: 1
; LDSByteSize: 16384 bytes/workgroup (compile time only)
; SGPRBlocks: 4
; VGPRBlocks: 10
; NumSGPRsForWavesPerEU: 34
; NumVGPRsForWavesPerEU: 83
; Occupancy: 16
; WaveLimiterHint : 1
; COMPUTE_PGM_RSRC2:SCRATCH_EN: 0
; COMPUTE_PGM_RSRC2:USER_SGPR: 15
; COMPUTE_PGM_RSRC2:TRAP_HANDLER: 0
; COMPUTE_PGM_RSRC2:TGID_X_EN: 1
; COMPUTE_PGM_RSRC2:TGID_Y_EN: 0
; COMPUTE_PGM_RSRC2:TGID_Z_EN: 0
; COMPUTE_PGM_RSRC2:TIDIG_COMP_CNT: 2
	.section	.text._Z16sort_keys_kernelI22helper_blocked_stripedN15benchmark_utils11custom_typeIiiEELj320ELj1ELj10EEvPKT0_PS4_,"axG",@progbits,_Z16sort_keys_kernelI22helper_blocked_stripedN15benchmark_utils11custom_typeIiiEELj320ELj1ELj10EEvPKT0_PS4_,comdat
	.protected	_Z16sort_keys_kernelI22helper_blocked_stripedN15benchmark_utils11custom_typeIiiEELj320ELj1ELj10EEvPKT0_PS4_ ; -- Begin function _Z16sort_keys_kernelI22helper_blocked_stripedN15benchmark_utils11custom_typeIiiEELj320ELj1ELj10EEvPKT0_PS4_
	.globl	_Z16sort_keys_kernelI22helper_blocked_stripedN15benchmark_utils11custom_typeIiiEELj320ELj1ELj10EEvPKT0_PS4_
	.p2align	8
	.type	_Z16sort_keys_kernelI22helper_blocked_stripedN15benchmark_utils11custom_typeIiiEELj320ELj1ELj10EEvPKT0_PS4_,@function
_Z16sort_keys_kernelI22helper_blocked_stripedN15benchmark_utils11custom_typeIiiEELj320ELj1ELj10EEvPKT0_PS4_: ; @_Z16sort_keys_kernelI22helper_blocked_stripedN15benchmark_utils11custom_typeIiiEELj320ELj1ELj10EEvPKT0_PS4_
; %bb.0:
	s_clause 0x1
	s_load_b128 s[16:19], s[0:1], 0x0
	s_load_b32 s8, s[0:1], 0x1c
	s_mov_b32 s21, 0
	s_mul_i32 s20, s15, 0x140
	s_mov_b32 s14, s21
	s_mov_b32 s15, s21
	v_dual_mov_b32 v9, s14 :: v_dual_and_b32 v8, 0x3ff, v0
	s_lshl_b64 s[12:13], s[20:21], 3
	v_mov_b32_e32 v10, s15
	v_mbcnt_lo_u32_b32 v5, -1, 0
	s_delay_alu instid0(VALU_DEP_3)
	v_lshlrev_b32_e32 v1, 3, v8
	s_mov_b32 s20, s21
	v_bfe_u32 v3, v0, 10, 10
	v_bfe_u32 v0, v0, 20, 10
	v_and_b32_e32 v6, 16, v5
	v_dual_mov_b32 v11, s20 :: v_dual_and_b32 v4, 15, v5
	v_dual_mov_b32 v12, s21 :: v_dual_add_nc_u32 v7, -1, v5
	s_waitcnt lgkmcnt(0)
	s_add_u32 s0, s16, s12
	s_addc_u32 s1, s17, s13
	v_cmp_eq_u32_e64 s4, 0, v6
	global_load_b64 v[1:2], v1, s[0:1]
	v_and_b32_e32 v6, 0x1e0, v8
	s_lshr_b32 s9, s8, 16
	v_cmp_eq_u32_e64 s0, 0, v4
	v_cmp_lt_u32_e64 s1, 1, v4
	v_cmp_lt_u32_e64 s2, 3, v4
	;; [unrolled: 1-line block ×3, first 2 shown]
	v_lshrrev_b32_e32 v4, 3, v8
	v_mad_u32_u24 v0, v0, s9, v3
	v_lshlrev_b32_e32 v15, 5, v8
	v_cmp_gt_i32_e64 s7, 0, v7
	v_min_u32_e32 v13, 0x120, v6
	s_and_b32 s8, s8, 0xffff
	v_and_b32_e32 v17, 60, v4
	v_mad_u64_u32 v[3:4], null, v0, s8, v[8:9]
	v_cndmask_b32_e64 v7, v7, v5, s7
	v_lshlrev_b32_e32 v23, 2, v8
	v_or_b32_e32 v0, v5, v6
	v_or_b32_e32 v4, 31, v13
	v_mad_i32_i24 v19, 0xffffffe4, v8, v15
	v_cmp_eq_u32_e32 vcc_lo, 0, v5
	v_cmp_gt_u32_e64 s5, 10, v8
	v_cmp_lt_u32_e64 s6, 31, v8
	v_cmp_eq_u32_e64 s7, 0, v8
	v_add_nc_u32_e32 v16, 40, v15
	v_lshlrev_b32_e32 v18, 2, v7
	v_add_nc_u32_e32 v20, -4, v17
	v_lshlrev_b32_e32 v21, 3, v0
	v_cmp_eq_u32_e64 s8, v4, v8
	v_lshrrev_b32_e32 v22, 5, v3
	v_add_nc_u32_e32 v23, v19, v23
	s_mov_b32 s16, 10
	s_waitcnt vmcnt(0)
	v_xor_b32_e32 v13, 0x80000000, v1
	v_xor_b32_e32 v14, 0x80000000, v2
	s_branch .LBB368_2
.LBB368_1:                              ;   in Loop: Header=BB368_2 Depth=1
	s_or_b32 exec_lo, exec_lo, s9
	s_waitcnt lgkmcnt(0)
	v_add_nc_u32_e32 v3, v26, v3
	s_add_i32 s16, s16, -1
	s_delay_alu instid0(SALU_CYCLE_1) | instskip(SKIP_3) | instid1(VALU_DEP_1)
	s_cmp_eq_u32 s16, 0
	ds_bpermute_b32 v3, v18, v3
	s_waitcnt lgkmcnt(0)
	v_cndmask_b32_e32 v3, v3, v26, vcc_lo
	v_cndmask_b32_e64 v3, v3, 0, s7
	s_delay_alu instid0(VALU_DEP_1) | instskip(NEXT) | instid1(VALU_DEP_1)
	v_add_nc_u32_e32 v4, v3, v4
	v_add_nc_u32_e32 v5, v4, v5
	s_delay_alu instid0(VALU_DEP_1) | instskip(NEXT) | instid1(VALU_DEP_1)
	v_add_nc_u32_e32 v6, v5, v6
	v_add_nc_u32_e32 v26, v6, v7
	;; [unrolled: 3-line block ×3, first 2 shown]
	s_delay_alu instid0(VALU_DEP_1)
	v_add_nc_u32_e32 v1, v0, v2
	ds_store_2addr_b64 v15, v[3:4], v[5:6] offset0:5 offset1:6
	ds_store_2addr_b64 v16, v[26:27], v[0:1] offset0:2 offset1:3
	s_waitcnt lgkmcnt(0)
	s_barrier
	buffer_gl0_inv
	ds_load_b32 v0, v25
	v_lshlrev_b32_e32 v1, 3, v24
	s_waitcnt lgkmcnt(0)
	s_barrier
	buffer_gl0_inv
	v_lshl_add_u32 v0, v0, 3, v1
	ds_store_b64 v0, v[13:14]
	s_waitcnt lgkmcnt(0)
	s_barrier
	buffer_gl0_inv
	ds_load_b64 v[13:14], v23
	s_cbranch_scc1 .LBB368_66
.LBB368_2:                              ; =>This Inner Loop Header: Depth=1
	s_waitcnt lgkmcnt(0)
	s_delay_alu instid0(VALU_DEP_1)
	v_and_b32_e32 v0, 1, v14
	v_lshlrev_b32_e32 v1, 30, v14
	v_lshlrev_b32_e32 v2, 29, v14
	;; [unrolled: 1-line block ×4, first 2 shown]
	v_add_co_u32 v0, s9, v0, -1
	s_delay_alu instid0(VALU_DEP_1)
	v_cndmask_b32_e64 v3, 0, 1, s9
	v_not_b32_e32 v7, v1
	v_cmp_gt_i32_e64 s10, 0, v1
	v_not_b32_e32 v1, v2
	v_lshlrev_b32_e32 v6, 26, v14
	v_cmp_ne_u32_e64 s9, 0, v3
	v_ashrrev_i32_e32 v7, 31, v7
	v_lshlrev_b32_e32 v3, 25, v14
	v_ashrrev_i32_e32 v1, 31, v1
	v_cmp_gt_i32_e64 s11, 0, v5
	v_xor_b32_e32 v0, s9, v0
	v_cmp_gt_i32_e64 s9, 0, v2
	v_not_b32_e32 v2, v4
	v_xor_b32_e32 v7, s10, v7
	v_cmp_gt_i32_e64 s10, 0, v4
	v_and_b32_e32 v0, exec_lo, v0
	v_xor_b32_e32 v1, s9, v1
	v_ashrrev_i32_e32 v2, 31, v2
	v_not_b32_e32 v4, v5
	v_not_b32_e32 v5, v6
	v_and_b32_e32 v0, v0, v7
	v_cmp_gt_i32_e64 s9, 0, v6
	v_xor_b32_e32 v2, s10, v2
	v_not_b32_e32 v6, v3
	ds_store_2addr_b64 v15, v[11:12], v[9:10] offset0:5 offset1:6
	ds_store_2addr_b64 v16, v[11:12], v[9:10] offset0:2 offset1:3
	v_and_b32_e32 v0, v0, v1
	v_ashrrev_i32_e32 v1, 31, v4
	v_ashrrev_i32_e32 v4, 31, v5
	v_lshlrev_b32_e32 v5, 24, v14
	s_waitcnt lgkmcnt(0)
	v_and_b32_e32 v0, v0, v2
	v_xor_b32_e32 v1, s11, v1
	v_xor_b32_e32 v2, s9, v4
	v_cmp_gt_i32_e64 s9, 0, v3
	v_not_b32_e32 v3, v5
	v_ashrrev_i32_e32 v4, 31, v6
	v_and_b32_e32 v0, v0, v1
	v_cmp_gt_i32_e64 s10, 0, v5
	s_barrier
	v_ashrrev_i32_e32 v1, 31, v3
	v_xor_b32_e32 v3, s9, v4
	v_and_b32_e32 v0, v0, v2
	buffer_gl0_inv
	v_xor_b32_e32 v1, s10, v1
	; wave barrier
	v_and_b32_e32 v0, v0, v3
	s_delay_alu instid0(VALU_DEP_1) | instskip(SKIP_1) | instid1(VALU_DEP_2)
	v_and_b32_e32 v0, v0, v1
	v_and_b32_e32 v1, 0xff, v14
	v_mbcnt_lo_u32_b32 v24, v0, 0
	s_delay_alu instid0(VALU_DEP_2) | instskip(SKIP_1) | instid1(VALU_DEP_3)
	v_mad_u32_u24 v1, v1, 10, v22
	v_cmp_ne_u32_e64 s10, 0, v0
	v_cmp_eq_u32_e64 s9, 0, v24
	s_delay_alu instid0(VALU_DEP_3) | instskip(NEXT) | instid1(VALU_DEP_2)
	v_lshl_add_u32 v25, v1, 2, 40
	s_and_b32 s10, s10, s9
	s_delay_alu instid0(SALU_CYCLE_1)
	s_and_saveexec_b32 s9, s10
	s_cbranch_execz .LBB368_4
; %bb.3:                                ;   in Loop: Header=BB368_2 Depth=1
	v_bcnt_u32_b32 v0, v0, 0
	ds_store_b32 v25, v0
.LBB368_4:                              ;   in Loop: Header=BB368_2 Depth=1
	s_or_b32 exec_lo, exec_lo, s9
	; wave barrier
	s_waitcnt lgkmcnt(0)
	s_barrier
	buffer_gl0_inv
	ds_load_2addr_b64 v[4:7], v15 offset0:5 offset1:6
	ds_load_2addr_b64 v[0:3], v16 offset0:2 offset1:3
	s_waitcnt lgkmcnt(1)
	v_add_nc_u32_e32 v26, v5, v4
	s_delay_alu instid0(VALU_DEP_1) | instskip(SKIP_1) | instid1(VALU_DEP_1)
	v_add3_u32 v26, v26, v6, v7
	s_waitcnt lgkmcnt(0)
	v_add3_u32 v26, v26, v0, v1
	s_delay_alu instid0(VALU_DEP_1) | instskip(NEXT) | instid1(VALU_DEP_1)
	v_add3_u32 v3, v26, v2, v3
	v_mov_b32_dpp v26, v3 row_shr:1 row_mask:0xf bank_mask:0xf
	s_delay_alu instid0(VALU_DEP_1) | instskip(NEXT) | instid1(VALU_DEP_1)
	v_cndmask_b32_e64 v26, v26, 0, s0
	v_add_nc_u32_e32 v3, v26, v3
	s_delay_alu instid0(VALU_DEP_1) | instskip(NEXT) | instid1(VALU_DEP_1)
	v_mov_b32_dpp v26, v3 row_shr:2 row_mask:0xf bank_mask:0xf
	v_cndmask_b32_e64 v26, 0, v26, s1
	s_delay_alu instid0(VALU_DEP_1) | instskip(NEXT) | instid1(VALU_DEP_1)
	v_add_nc_u32_e32 v3, v3, v26
	v_mov_b32_dpp v26, v3 row_shr:4 row_mask:0xf bank_mask:0xf
	s_delay_alu instid0(VALU_DEP_1) | instskip(NEXT) | instid1(VALU_DEP_1)
	v_cndmask_b32_e64 v26, 0, v26, s2
	v_add_nc_u32_e32 v3, v3, v26
	s_delay_alu instid0(VALU_DEP_1) | instskip(NEXT) | instid1(VALU_DEP_1)
	v_mov_b32_dpp v26, v3 row_shr:8 row_mask:0xf bank_mask:0xf
	v_cndmask_b32_e64 v26, 0, v26, s3
	s_delay_alu instid0(VALU_DEP_1) | instskip(SKIP_3) | instid1(VALU_DEP_1)
	v_add_nc_u32_e32 v3, v3, v26
	ds_swizzle_b32 v26, v3 offset:swizzle(BROADCAST,32,15)
	s_waitcnt lgkmcnt(0)
	v_cndmask_b32_e64 v26, v26, 0, s4
	v_add_nc_u32_e32 v3, v3, v26
	s_and_saveexec_b32 s9, s8
	s_cbranch_execz .LBB368_6
; %bb.5:                                ;   in Loop: Header=BB368_2 Depth=1
	ds_store_b32 v17, v3
.LBB368_6:                              ;   in Loop: Header=BB368_2 Depth=1
	s_or_b32 exec_lo, exec_lo, s9
	s_waitcnt lgkmcnt(0)
	s_barrier
	buffer_gl0_inv
	s_and_saveexec_b32 s9, s5
	s_cbranch_execz .LBB368_8
; %bb.7:                                ;   in Loop: Header=BB368_2 Depth=1
	ds_load_b32 v26, v19
	s_waitcnt lgkmcnt(0)
	v_mov_b32_dpp v27, v26 row_shr:1 row_mask:0xf bank_mask:0xf
	s_delay_alu instid0(VALU_DEP_1) | instskip(NEXT) | instid1(VALU_DEP_1)
	v_cndmask_b32_e64 v27, v27, 0, s0
	v_add_nc_u32_e32 v26, v27, v26
	s_delay_alu instid0(VALU_DEP_1) | instskip(NEXT) | instid1(VALU_DEP_1)
	v_mov_b32_dpp v27, v26 row_shr:2 row_mask:0xf bank_mask:0xf
	v_cndmask_b32_e64 v27, 0, v27, s1
	s_delay_alu instid0(VALU_DEP_1) | instskip(NEXT) | instid1(VALU_DEP_1)
	v_add_nc_u32_e32 v26, v26, v27
	v_mov_b32_dpp v27, v26 row_shr:4 row_mask:0xf bank_mask:0xf
	s_delay_alu instid0(VALU_DEP_1) | instskip(NEXT) | instid1(VALU_DEP_1)
	v_cndmask_b32_e64 v27, 0, v27, s2
	v_add_nc_u32_e32 v26, v26, v27
	s_delay_alu instid0(VALU_DEP_1) | instskip(NEXT) | instid1(VALU_DEP_1)
	v_mov_b32_dpp v27, v26 row_shr:8 row_mask:0xf bank_mask:0xf
	v_cndmask_b32_e64 v27, 0, v27, s3
	s_delay_alu instid0(VALU_DEP_1)
	v_add_nc_u32_e32 v26, v26, v27
	ds_store_b32 v19, v26
.LBB368_8:                              ;   in Loop: Header=BB368_2 Depth=1
	s_or_b32 exec_lo, exec_lo, s9
	v_mov_b32_e32 v26, 0
	s_waitcnt lgkmcnt(0)
	s_barrier
	buffer_gl0_inv
	s_and_saveexec_b32 s9, s6
	s_cbranch_execz .LBB368_10
; %bb.9:                                ;   in Loop: Header=BB368_2 Depth=1
	ds_load_b32 v26, v20
.LBB368_10:                             ;   in Loop: Header=BB368_2 Depth=1
	s_or_b32 exec_lo, exec_lo, s9
	s_waitcnt lgkmcnt(0)
	v_add_nc_u32_e32 v3, v26, v3
	ds_bpermute_b32 v3, v18, v3
	s_waitcnt lgkmcnt(0)
	v_cndmask_b32_e32 v3, v3, v26, vcc_lo
	s_delay_alu instid0(VALU_DEP_1) | instskip(NEXT) | instid1(VALU_DEP_1)
	v_cndmask_b32_e64 v3, v3, 0, s7
	v_add_nc_u32_e32 v4, v3, v4
	s_delay_alu instid0(VALU_DEP_1) | instskip(NEXT) | instid1(VALU_DEP_1)
	v_add_nc_u32_e32 v5, v4, v5
	v_add_nc_u32_e32 v6, v5, v6
	s_delay_alu instid0(VALU_DEP_1) | instskip(NEXT) | instid1(VALU_DEP_1)
	v_add_nc_u32_e32 v26, v6, v7
	;; [unrolled: 3-line block ×3, first 2 shown]
	v_add_nc_u32_e32 v1, v0, v2
	ds_store_2addr_b64 v15, v[3:4], v[5:6] offset0:5 offset1:6
	ds_store_2addr_b64 v16, v[26:27], v[0:1] offset0:2 offset1:3
	s_waitcnt lgkmcnt(0)
	s_barrier
	buffer_gl0_inv
	ds_load_b32 v0, v25
	v_lshlrev_b32_e32 v1, 3, v24
	s_waitcnt lgkmcnt(0)
	s_barrier
	buffer_gl0_inv
	v_lshl_add_u32 v0, v0, 3, v1
	ds_store_b64 v0, v[13:14]
	s_waitcnt lgkmcnt(0)
	s_barrier
	buffer_gl0_inv
	ds_load_b64 v[13:14], v21
	s_waitcnt lgkmcnt(0)
	s_barrier
	buffer_gl0_inv
	ds_store_2addr_b64 v15, v[11:12], v[9:10] offset0:5 offset1:6
	ds_store_2addr_b64 v16, v[11:12], v[9:10] offset0:2 offset1:3
	s_waitcnt lgkmcnt(0)
	s_barrier
	buffer_gl0_inv
	; wave barrier
	v_bfe_u32 v0, v14, 8, 1
	v_lshrrev_b32_e32 v1, 8, v14
	s_delay_alu instid0(VALU_DEP_2) | instskip(NEXT) | instid1(VALU_DEP_1)
	v_add_co_u32 v0, s9, v0, -1
	v_cndmask_b32_e64 v2, 0, 1, s9
	s_delay_alu instid0(VALU_DEP_3)
	v_lshlrev_b32_e32 v3, 30, v1
	v_lshlrev_b32_e32 v4, 29, v1
	;; [unrolled: 1-line block ×4, first 2 shown]
	v_cmp_ne_u32_e64 s9, 0, v2
	v_not_b32_e32 v2, v3
	v_cmp_gt_i32_e64 s10, 0, v3
	v_not_b32_e32 v3, v4
	v_lshlrev_b32_e32 v7, 26, v1
	v_xor_b32_e32 v0, s9, v0
	v_ashrrev_i32_e32 v2, 31, v2
	v_cmp_gt_i32_e64 s9, 0, v4
	v_not_b32_e32 v4, v5
	v_ashrrev_i32_e32 v3, 31, v3
	v_and_b32_e32 v0, exec_lo, v0
	v_xor_b32_e32 v2, s10, v2
	v_cmp_gt_i32_e64 s10, 0, v5
	v_not_b32_e32 v5, v6
	v_ashrrev_i32_e32 v4, 31, v4
	v_xor_b32_e32 v3, s9, v3
	v_and_b32_e32 v0, v0, v2
	v_lshlrev_b32_e32 v24, 25, v1
	v_cmp_gt_i32_e64 s9, 0, v6
	v_not_b32_e32 v2, v7
	v_ashrrev_i32_e32 v5, 31, v5
	v_xor_b32_e32 v4, s10, v4
	v_and_b32_e32 v0, v0, v3
	v_lshlrev_b32_e32 v1, 24, v1
	v_cmp_gt_i32_e64 s10, 0, v7
	v_not_b32_e32 v3, v24
	v_ashrrev_i32_e32 v2, 31, v2
	v_xor_b32_e32 v5, s9, v5
	v_and_b32_e32 v0, v0, v4
	v_cmp_gt_i32_e64 s9, 0, v24
	v_not_b32_e32 v4, v1
	v_ashrrev_i32_e32 v3, 31, v3
	v_xor_b32_e32 v2, s10, v2
	v_and_b32_e32 v0, v0, v5
	v_cmp_gt_i32_e64 s10, 0, v1
	v_ashrrev_i32_e32 v1, 31, v4
	v_xor_b32_e32 v3, s9, v3
	s_delay_alu instid0(VALU_DEP_4) | instskip(NEXT) | instid1(VALU_DEP_3)
	v_and_b32_e32 v0, v0, v2
	v_xor_b32_e32 v1, s10, v1
	s_delay_alu instid0(VALU_DEP_2) | instskip(NEXT) | instid1(VALU_DEP_1)
	v_and_b32_e32 v0, v0, v3
	v_and_b32_e32 v0, v0, v1
	v_bfe_u32 v1, v14, 8, 8
	s_delay_alu instid0(VALU_DEP_2) | instskip(NEXT) | instid1(VALU_DEP_2)
	v_mbcnt_lo_u32_b32 v24, v0, 0
	v_mad_u32_u24 v1, v1, 10, v22
	v_cmp_ne_u32_e64 s10, 0, v0
	s_delay_alu instid0(VALU_DEP_3) | instskip(NEXT) | instid1(VALU_DEP_3)
	v_cmp_eq_u32_e64 s9, 0, v24
	v_lshl_add_u32 v25, v1, 2, 40
	s_delay_alu instid0(VALU_DEP_2) | instskip(NEXT) | instid1(SALU_CYCLE_1)
	s_and_b32 s10, s10, s9
	s_and_saveexec_b32 s9, s10
	s_cbranch_execz .LBB368_12
; %bb.11:                               ;   in Loop: Header=BB368_2 Depth=1
	v_bcnt_u32_b32 v0, v0, 0
	ds_store_b32 v25, v0
.LBB368_12:                             ;   in Loop: Header=BB368_2 Depth=1
	s_or_b32 exec_lo, exec_lo, s9
	; wave barrier
	s_waitcnt lgkmcnt(0)
	s_barrier
	buffer_gl0_inv
	ds_load_2addr_b64 v[4:7], v15 offset0:5 offset1:6
	ds_load_2addr_b64 v[0:3], v16 offset0:2 offset1:3
	s_waitcnt lgkmcnt(1)
	v_add_nc_u32_e32 v26, v5, v4
	s_delay_alu instid0(VALU_DEP_1) | instskip(SKIP_1) | instid1(VALU_DEP_1)
	v_add3_u32 v26, v26, v6, v7
	s_waitcnt lgkmcnt(0)
	v_add3_u32 v26, v26, v0, v1
	s_delay_alu instid0(VALU_DEP_1) | instskip(NEXT) | instid1(VALU_DEP_1)
	v_add3_u32 v3, v26, v2, v3
	v_mov_b32_dpp v26, v3 row_shr:1 row_mask:0xf bank_mask:0xf
	s_delay_alu instid0(VALU_DEP_1) | instskip(NEXT) | instid1(VALU_DEP_1)
	v_cndmask_b32_e64 v26, v26, 0, s0
	v_add_nc_u32_e32 v3, v26, v3
	s_delay_alu instid0(VALU_DEP_1) | instskip(NEXT) | instid1(VALU_DEP_1)
	v_mov_b32_dpp v26, v3 row_shr:2 row_mask:0xf bank_mask:0xf
	v_cndmask_b32_e64 v26, 0, v26, s1
	s_delay_alu instid0(VALU_DEP_1) | instskip(NEXT) | instid1(VALU_DEP_1)
	v_add_nc_u32_e32 v3, v3, v26
	v_mov_b32_dpp v26, v3 row_shr:4 row_mask:0xf bank_mask:0xf
	s_delay_alu instid0(VALU_DEP_1) | instskip(NEXT) | instid1(VALU_DEP_1)
	v_cndmask_b32_e64 v26, 0, v26, s2
	v_add_nc_u32_e32 v3, v3, v26
	s_delay_alu instid0(VALU_DEP_1) | instskip(NEXT) | instid1(VALU_DEP_1)
	v_mov_b32_dpp v26, v3 row_shr:8 row_mask:0xf bank_mask:0xf
	v_cndmask_b32_e64 v26, 0, v26, s3
	s_delay_alu instid0(VALU_DEP_1) | instskip(SKIP_3) | instid1(VALU_DEP_1)
	v_add_nc_u32_e32 v3, v3, v26
	ds_swizzle_b32 v26, v3 offset:swizzle(BROADCAST,32,15)
	s_waitcnt lgkmcnt(0)
	v_cndmask_b32_e64 v26, v26, 0, s4
	v_add_nc_u32_e32 v3, v3, v26
	s_and_saveexec_b32 s9, s8
	s_cbranch_execz .LBB368_14
; %bb.13:                               ;   in Loop: Header=BB368_2 Depth=1
	ds_store_b32 v17, v3
.LBB368_14:                             ;   in Loop: Header=BB368_2 Depth=1
	s_or_b32 exec_lo, exec_lo, s9
	s_waitcnt lgkmcnt(0)
	s_barrier
	buffer_gl0_inv
	s_and_saveexec_b32 s9, s5
	s_cbranch_execz .LBB368_16
; %bb.15:                               ;   in Loop: Header=BB368_2 Depth=1
	ds_load_b32 v26, v19
	s_waitcnt lgkmcnt(0)
	v_mov_b32_dpp v27, v26 row_shr:1 row_mask:0xf bank_mask:0xf
	s_delay_alu instid0(VALU_DEP_1) | instskip(NEXT) | instid1(VALU_DEP_1)
	v_cndmask_b32_e64 v27, v27, 0, s0
	v_add_nc_u32_e32 v26, v27, v26
	s_delay_alu instid0(VALU_DEP_1) | instskip(NEXT) | instid1(VALU_DEP_1)
	v_mov_b32_dpp v27, v26 row_shr:2 row_mask:0xf bank_mask:0xf
	v_cndmask_b32_e64 v27, 0, v27, s1
	s_delay_alu instid0(VALU_DEP_1) | instskip(NEXT) | instid1(VALU_DEP_1)
	v_add_nc_u32_e32 v26, v26, v27
	v_mov_b32_dpp v27, v26 row_shr:4 row_mask:0xf bank_mask:0xf
	s_delay_alu instid0(VALU_DEP_1) | instskip(NEXT) | instid1(VALU_DEP_1)
	v_cndmask_b32_e64 v27, 0, v27, s2
	v_add_nc_u32_e32 v26, v26, v27
	s_delay_alu instid0(VALU_DEP_1) | instskip(NEXT) | instid1(VALU_DEP_1)
	v_mov_b32_dpp v27, v26 row_shr:8 row_mask:0xf bank_mask:0xf
	v_cndmask_b32_e64 v27, 0, v27, s3
	s_delay_alu instid0(VALU_DEP_1)
	v_add_nc_u32_e32 v26, v26, v27
	ds_store_b32 v19, v26
.LBB368_16:                             ;   in Loop: Header=BB368_2 Depth=1
	s_or_b32 exec_lo, exec_lo, s9
	v_mov_b32_e32 v26, 0
	s_waitcnt lgkmcnt(0)
	s_barrier
	buffer_gl0_inv
	s_and_saveexec_b32 s9, s6
	s_cbranch_execz .LBB368_18
; %bb.17:                               ;   in Loop: Header=BB368_2 Depth=1
	ds_load_b32 v26, v20
.LBB368_18:                             ;   in Loop: Header=BB368_2 Depth=1
	s_or_b32 exec_lo, exec_lo, s9
	s_waitcnt lgkmcnt(0)
	v_add_nc_u32_e32 v3, v26, v3
	ds_bpermute_b32 v3, v18, v3
	s_waitcnt lgkmcnt(0)
	v_cndmask_b32_e32 v3, v3, v26, vcc_lo
	s_delay_alu instid0(VALU_DEP_1) | instskip(NEXT) | instid1(VALU_DEP_1)
	v_cndmask_b32_e64 v3, v3, 0, s7
	v_add_nc_u32_e32 v4, v3, v4
	s_delay_alu instid0(VALU_DEP_1) | instskip(NEXT) | instid1(VALU_DEP_1)
	v_add_nc_u32_e32 v5, v4, v5
	v_add_nc_u32_e32 v6, v5, v6
	s_delay_alu instid0(VALU_DEP_1) | instskip(NEXT) | instid1(VALU_DEP_1)
	v_add_nc_u32_e32 v26, v6, v7
	;; [unrolled: 3-line block ×3, first 2 shown]
	v_add_nc_u32_e32 v1, v0, v2
	ds_store_2addr_b64 v15, v[3:4], v[5:6] offset0:5 offset1:6
	ds_store_2addr_b64 v16, v[26:27], v[0:1] offset0:2 offset1:3
	s_waitcnt lgkmcnt(0)
	s_barrier
	buffer_gl0_inv
	ds_load_b32 v0, v25
	v_lshlrev_b32_e32 v1, 3, v24
	s_waitcnt lgkmcnt(0)
	s_barrier
	buffer_gl0_inv
	v_lshl_add_u32 v0, v0, 3, v1
	ds_store_b64 v0, v[13:14]
	s_waitcnt lgkmcnt(0)
	s_barrier
	buffer_gl0_inv
	ds_load_b64 v[13:14], v21
	s_waitcnt lgkmcnt(0)
	s_barrier
	buffer_gl0_inv
	v_bfe_u32 v0, v14, 16, 1
	v_lshrrev_b32_e32 v1, 16, v14
	s_delay_alu instid0(VALU_DEP_2) | instskip(NEXT) | instid1(VALU_DEP_1)
	v_add_co_u32 v0, s9, v0, -1
	v_cndmask_b32_e64 v2, 0, 1, s9
	s_delay_alu instid0(VALU_DEP_3)
	v_lshlrev_b32_e32 v3, 30, v1
	v_lshlrev_b32_e32 v4, 29, v1
	;; [unrolled: 1-line block ×4, first 2 shown]
	v_cmp_ne_u32_e64 s9, 0, v2
	v_not_b32_e32 v2, v3
	v_cmp_gt_i32_e64 s10, 0, v3
	v_not_b32_e32 v3, v4
	v_lshlrev_b32_e32 v7, 26, v1
	v_xor_b32_e32 v0, s9, v0
	v_ashrrev_i32_e32 v2, 31, v2
	v_cmp_gt_i32_e64 s9, 0, v4
	v_not_b32_e32 v4, v5
	v_ashrrev_i32_e32 v3, 31, v3
	v_and_b32_e32 v0, exec_lo, v0
	v_xor_b32_e32 v2, s10, v2
	v_cmp_gt_i32_e64 s10, 0, v5
	v_not_b32_e32 v5, v6
	v_ashrrev_i32_e32 v4, 31, v4
	v_xor_b32_e32 v3, s9, v3
	v_and_b32_e32 v0, v0, v2
	v_lshlrev_b32_e32 v24, 25, v1
	v_cmp_gt_i32_e64 s9, 0, v6
	v_not_b32_e32 v2, v7
	v_ashrrev_i32_e32 v5, 31, v5
	v_xor_b32_e32 v4, s10, v4
	v_and_b32_e32 v0, v0, v3
	v_lshlrev_b32_e32 v1, 24, v1
	v_cmp_gt_i32_e64 s10, 0, v7
	v_not_b32_e32 v3, v24
	v_ashrrev_i32_e32 v2, 31, v2
	v_xor_b32_e32 v5, s9, v5
	v_and_b32_e32 v0, v0, v4
	v_cmp_gt_i32_e64 s9, 0, v24
	v_not_b32_e32 v4, v1
	v_ashrrev_i32_e32 v3, 31, v3
	v_xor_b32_e32 v2, s10, v2
	v_and_b32_e32 v0, v0, v5
	v_cmp_gt_i32_e64 s10, 0, v1
	v_ashrrev_i32_e32 v1, 31, v4
	v_xor_b32_e32 v3, s9, v3
	s_delay_alu instid0(VALU_DEP_4) | instskip(NEXT) | instid1(VALU_DEP_3)
	v_and_b32_e32 v0, v0, v2
	v_xor_b32_e32 v5, s10, v1
	v_dual_mov_b32 v1, s20 :: v_dual_mov_b32 v2, s21
	s_delay_alu instid0(VALU_DEP_3)
	v_dual_mov_b32 v3, s14 :: v_dual_and_b32 v0, v0, v3
	v_mov_b32_e32 v4, s15
	ds_store_2addr_b64 v15, v[1:2], v[3:4] offset0:5 offset1:6
	ds_store_2addr_b64 v16, v[1:2], v[3:4] offset0:2 offset1:3
	v_and_b32_e32 v0, v0, v5
	v_bfe_u32 v5, v14, 16, 8
	s_waitcnt lgkmcnt(0)
	s_barrier
	buffer_gl0_inv
	v_mbcnt_lo_u32_b32 v24, v0, 0
	v_mad_u32_u24 v1, v5, 10, v22
	v_cmp_ne_u32_e64 s10, 0, v0
	; wave barrier
	s_delay_alu instid0(VALU_DEP_3) | instskip(NEXT) | instid1(VALU_DEP_3)
	v_cmp_eq_u32_e64 s9, 0, v24
	v_lshl_add_u32 v25, v1, 2, 40
	s_delay_alu instid0(VALU_DEP_2) | instskip(NEXT) | instid1(SALU_CYCLE_1)
	s_and_b32 s10, s10, s9
	s_and_saveexec_b32 s9, s10
	s_cbranch_execz .LBB368_20
; %bb.19:                               ;   in Loop: Header=BB368_2 Depth=1
	v_bcnt_u32_b32 v0, v0, 0
	ds_store_b32 v25, v0
.LBB368_20:                             ;   in Loop: Header=BB368_2 Depth=1
	s_or_b32 exec_lo, exec_lo, s9
	; wave barrier
	s_waitcnt lgkmcnt(0)
	s_barrier
	buffer_gl0_inv
	ds_load_2addr_b64 v[4:7], v15 offset0:5 offset1:6
	ds_load_2addr_b64 v[0:3], v16 offset0:2 offset1:3
	s_waitcnt lgkmcnt(1)
	v_add_nc_u32_e32 v26, v5, v4
	s_delay_alu instid0(VALU_DEP_1) | instskip(SKIP_1) | instid1(VALU_DEP_1)
	v_add3_u32 v26, v26, v6, v7
	s_waitcnt lgkmcnt(0)
	v_add3_u32 v26, v26, v0, v1
	s_delay_alu instid0(VALU_DEP_1) | instskip(NEXT) | instid1(VALU_DEP_1)
	v_add3_u32 v3, v26, v2, v3
	v_mov_b32_dpp v26, v3 row_shr:1 row_mask:0xf bank_mask:0xf
	s_delay_alu instid0(VALU_DEP_1) | instskip(NEXT) | instid1(VALU_DEP_1)
	v_cndmask_b32_e64 v26, v26, 0, s0
	v_add_nc_u32_e32 v3, v26, v3
	s_delay_alu instid0(VALU_DEP_1) | instskip(NEXT) | instid1(VALU_DEP_1)
	v_mov_b32_dpp v26, v3 row_shr:2 row_mask:0xf bank_mask:0xf
	v_cndmask_b32_e64 v26, 0, v26, s1
	s_delay_alu instid0(VALU_DEP_1) | instskip(NEXT) | instid1(VALU_DEP_1)
	v_add_nc_u32_e32 v3, v3, v26
	v_mov_b32_dpp v26, v3 row_shr:4 row_mask:0xf bank_mask:0xf
	s_delay_alu instid0(VALU_DEP_1) | instskip(NEXT) | instid1(VALU_DEP_1)
	v_cndmask_b32_e64 v26, 0, v26, s2
	v_add_nc_u32_e32 v3, v3, v26
	s_delay_alu instid0(VALU_DEP_1) | instskip(NEXT) | instid1(VALU_DEP_1)
	v_mov_b32_dpp v26, v3 row_shr:8 row_mask:0xf bank_mask:0xf
	v_cndmask_b32_e64 v26, 0, v26, s3
	s_delay_alu instid0(VALU_DEP_1) | instskip(SKIP_3) | instid1(VALU_DEP_1)
	v_add_nc_u32_e32 v3, v3, v26
	ds_swizzle_b32 v26, v3 offset:swizzle(BROADCAST,32,15)
	s_waitcnt lgkmcnt(0)
	v_cndmask_b32_e64 v26, v26, 0, s4
	v_add_nc_u32_e32 v3, v3, v26
	s_and_saveexec_b32 s9, s8
	s_cbranch_execz .LBB368_22
; %bb.21:                               ;   in Loop: Header=BB368_2 Depth=1
	ds_store_b32 v17, v3
.LBB368_22:                             ;   in Loop: Header=BB368_2 Depth=1
	s_or_b32 exec_lo, exec_lo, s9
	s_waitcnt lgkmcnt(0)
	s_barrier
	buffer_gl0_inv
	s_and_saveexec_b32 s9, s5
	s_cbranch_execz .LBB368_24
; %bb.23:                               ;   in Loop: Header=BB368_2 Depth=1
	ds_load_b32 v26, v19
	s_waitcnt lgkmcnt(0)
	v_mov_b32_dpp v27, v26 row_shr:1 row_mask:0xf bank_mask:0xf
	s_delay_alu instid0(VALU_DEP_1) | instskip(NEXT) | instid1(VALU_DEP_1)
	v_cndmask_b32_e64 v27, v27, 0, s0
	v_add_nc_u32_e32 v26, v27, v26
	s_delay_alu instid0(VALU_DEP_1) | instskip(NEXT) | instid1(VALU_DEP_1)
	v_mov_b32_dpp v27, v26 row_shr:2 row_mask:0xf bank_mask:0xf
	v_cndmask_b32_e64 v27, 0, v27, s1
	s_delay_alu instid0(VALU_DEP_1) | instskip(NEXT) | instid1(VALU_DEP_1)
	v_add_nc_u32_e32 v26, v26, v27
	v_mov_b32_dpp v27, v26 row_shr:4 row_mask:0xf bank_mask:0xf
	s_delay_alu instid0(VALU_DEP_1) | instskip(NEXT) | instid1(VALU_DEP_1)
	v_cndmask_b32_e64 v27, 0, v27, s2
	v_add_nc_u32_e32 v26, v26, v27
	s_delay_alu instid0(VALU_DEP_1) | instskip(NEXT) | instid1(VALU_DEP_1)
	v_mov_b32_dpp v27, v26 row_shr:8 row_mask:0xf bank_mask:0xf
	v_cndmask_b32_e64 v27, 0, v27, s3
	s_delay_alu instid0(VALU_DEP_1)
	v_add_nc_u32_e32 v26, v26, v27
	ds_store_b32 v19, v26
.LBB368_24:                             ;   in Loop: Header=BB368_2 Depth=1
	s_or_b32 exec_lo, exec_lo, s9
	v_mov_b32_e32 v26, 0
	s_waitcnt lgkmcnt(0)
	s_barrier
	buffer_gl0_inv
	s_and_saveexec_b32 s9, s6
	s_cbranch_execz .LBB368_26
; %bb.25:                               ;   in Loop: Header=BB368_2 Depth=1
	ds_load_b32 v26, v20
.LBB368_26:                             ;   in Loop: Header=BB368_2 Depth=1
	s_or_b32 exec_lo, exec_lo, s9
	s_waitcnt lgkmcnt(0)
	v_add_nc_u32_e32 v3, v26, v3
	ds_bpermute_b32 v3, v18, v3
	s_waitcnt lgkmcnt(0)
	v_cndmask_b32_e32 v3, v3, v26, vcc_lo
	s_delay_alu instid0(VALU_DEP_1) | instskip(NEXT) | instid1(VALU_DEP_1)
	v_cndmask_b32_e64 v3, v3, 0, s7
	v_add_nc_u32_e32 v4, v3, v4
	s_delay_alu instid0(VALU_DEP_1) | instskip(NEXT) | instid1(VALU_DEP_1)
	v_add_nc_u32_e32 v5, v4, v5
	v_add_nc_u32_e32 v6, v5, v6
	s_delay_alu instid0(VALU_DEP_1) | instskip(NEXT) | instid1(VALU_DEP_1)
	v_add_nc_u32_e32 v26, v6, v7
	;; [unrolled: 3-line block ×3, first 2 shown]
	v_add_nc_u32_e32 v1, v0, v2
	ds_store_2addr_b64 v15, v[3:4], v[5:6] offset0:5 offset1:6
	ds_store_2addr_b64 v16, v[26:27], v[0:1] offset0:2 offset1:3
	s_waitcnt lgkmcnt(0)
	s_barrier
	buffer_gl0_inv
	ds_load_b32 v0, v25
	v_lshlrev_b32_e32 v1, 3, v24
	s_waitcnt lgkmcnt(0)
	s_barrier
	buffer_gl0_inv
	v_lshl_add_u32 v0, v0, 3, v1
	ds_store_b64 v0, v[13:14]
	s_waitcnt lgkmcnt(0)
	s_barrier
	buffer_gl0_inv
	ds_load_b64 v[13:14], v21
	s_waitcnt lgkmcnt(0)
	s_barrier
	buffer_gl0_inv
	v_bfe_u32 v0, v14, 24, 1
	v_lshrrev_b32_e32 v5, 24, v14
	s_delay_alu instid0(VALU_DEP_2) | instskip(NEXT) | instid1(VALU_DEP_1)
	v_add_co_u32 v0, s9, v0, -1
	v_cndmask_b32_e64 v1, 0, 1, s9
	s_delay_alu instid0(VALU_DEP_3)
	v_lshlrev_b32_e32 v2, 30, v5
	v_lshlrev_b32_e32 v3, 29, v5
	;; [unrolled: 1-line block ×4, first 2 shown]
	v_cmp_ne_u32_e64 s9, 0, v1
	v_not_b32_e32 v1, v2
	v_cmp_gt_i32_e64 s10, 0, v2
	v_not_b32_e32 v2, v3
	v_lshlrev_b32_e32 v7, 26, v5
	v_xor_b32_e32 v0, s9, v0
	v_ashrrev_i32_e32 v1, 31, v1
	v_cmp_gt_i32_e64 s9, 0, v3
	v_not_b32_e32 v3, v4
	v_ashrrev_i32_e32 v2, 31, v2
	v_and_b32_e32 v0, exec_lo, v0
	v_xor_b32_e32 v1, s10, v1
	v_cmp_gt_i32_e64 s10, 0, v4
	v_not_b32_e32 v4, v6
	v_ashrrev_i32_e32 v3, 31, v3
	v_xor_b32_e32 v2, s9, v2
	v_and_b32_e32 v0, v0, v1
	v_lshlrev_b32_e32 v24, 25, v5
	v_cmp_gt_i32_e64 s9, 0, v6
	v_not_b32_e32 v1, v7
	v_ashrrev_i32_e32 v4, 31, v4
	v_xor_b32_e32 v3, s10, v3
	v_and_b32_e32 v0, v0, v2
	v_cmp_gt_i32_e64 s10, 0, v7
	v_not_b32_e32 v2, v24
	v_ashrrev_i32_e32 v1, 31, v1
	v_xor_b32_e32 v4, s9, v4
	v_and_b32_e32 v0, v0, v3
	v_not_b32_e32 v3, v14
	v_cmp_gt_i32_e64 s9, 0, v24
	v_ashrrev_i32_e32 v2, 31, v2
	v_xor_b32_e32 v1, s10, v1
	v_and_b32_e32 v0, v0, v4
	v_cmp_gt_i32_e64 s10, 0, v14
	v_ashrrev_i32_e32 v3, 31, v3
	v_xor_b32_e32 v2, s9, v2
	s_delay_alu instid0(VALU_DEP_4) | instskip(NEXT) | instid1(VALU_DEP_3)
	v_and_b32_e32 v0, v0, v1
	v_xor_b32_e32 v3, s10, v3
	s_delay_alu instid0(VALU_DEP_2) | instskip(SKIP_1) | instid1(VALU_DEP_2)
	v_dual_mov_b32 v1, s20 :: v_dual_and_b32 v0, v0, v2
	v_mov_b32_e32 v2, s21
	v_dual_mov_b32 v3, s14 :: v_dual_and_b32 v0, v0, v3
	v_mov_b32_e32 v4, s15
	ds_store_2addr_b64 v15, v[1:2], v[3:4] offset0:5 offset1:6
	ds_store_2addr_b64 v16, v[1:2], v[3:4] offset0:2 offset1:3
	v_mbcnt_lo_u32_b32 v24, v0, 0
	v_mad_u32_u24 v1, v5, 10, v22
	v_cmp_ne_u32_e64 s10, 0, v0
	s_waitcnt lgkmcnt(0)
	s_barrier
	v_cmp_eq_u32_e64 s9, 0, v24
	v_lshl_add_u32 v25, v1, 2, 40
	buffer_gl0_inv
	; wave barrier
	s_and_b32 s10, s10, s9
	s_delay_alu instid0(SALU_CYCLE_1)
	s_and_saveexec_b32 s9, s10
	s_cbranch_execz .LBB368_28
; %bb.27:                               ;   in Loop: Header=BB368_2 Depth=1
	v_bcnt_u32_b32 v0, v0, 0
	ds_store_b32 v25, v0
.LBB368_28:                             ;   in Loop: Header=BB368_2 Depth=1
	s_or_b32 exec_lo, exec_lo, s9
	; wave barrier
	s_waitcnt lgkmcnt(0)
	s_barrier
	buffer_gl0_inv
	ds_load_2addr_b64 v[4:7], v15 offset0:5 offset1:6
	ds_load_2addr_b64 v[0:3], v16 offset0:2 offset1:3
	s_waitcnt lgkmcnt(1)
	v_add_nc_u32_e32 v26, v5, v4
	s_delay_alu instid0(VALU_DEP_1) | instskip(SKIP_1) | instid1(VALU_DEP_1)
	v_add3_u32 v26, v26, v6, v7
	s_waitcnt lgkmcnt(0)
	v_add3_u32 v26, v26, v0, v1
	s_delay_alu instid0(VALU_DEP_1) | instskip(NEXT) | instid1(VALU_DEP_1)
	v_add3_u32 v3, v26, v2, v3
	v_mov_b32_dpp v26, v3 row_shr:1 row_mask:0xf bank_mask:0xf
	s_delay_alu instid0(VALU_DEP_1) | instskip(NEXT) | instid1(VALU_DEP_1)
	v_cndmask_b32_e64 v26, v26, 0, s0
	v_add_nc_u32_e32 v3, v26, v3
	s_delay_alu instid0(VALU_DEP_1) | instskip(NEXT) | instid1(VALU_DEP_1)
	v_mov_b32_dpp v26, v3 row_shr:2 row_mask:0xf bank_mask:0xf
	v_cndmask_b32_e64 v26, 0, v26, s1
	s_delay_alu instid0(VALU_DEP_1) | instskip(NEXT) | instid1(VALU_DEP_1)
	v_add_nc_u32_e32 v3, v3, v26
	v_mov_b32_dpp v26, v3 row_shr:4 row_mask:0xf bank_mask:0xf
	s_delay_alu instid0(VALU_DEP_1) | instskip(NEXT) | instid1(VALU_DEP_1)
	v_cndmask_b32_e64 v26, 0, v26, s2
	v_add_nc_u32_e32 v3, v3, v26
	s_delay_alu instid0(VALU_DEP_1) | instskip(NEXT) | instid1(VALU_DEP_1)
	v_mov_b32_dpp v26, v3 row_shr:8 row_mask:0xf bank_mask:0xf
	v_cndmask_b32_e64 v26, 0, v26, s3
	s_delay_alu instid0(VALU_DEP_1) | instskip(SKIP_3) | instid1(VALU_DEP_1)
	v_add_nc_u32_e32 v3, v3, v26
	ds_swizzle_b32 v26, v3 offset:swizzle(BROADCAST,32,15)
	s_waitcnt lgkmcnt(0)
	v_cndmask_b32_e64 v26, v26, 0, s4
	v_add_nc_u32_e32 v3, v3, v26
	s_and_saveexec_b32 s9, s8
	s_cbranch_execz .LBB368_30
; %bb.29:                               ;   in Loop: Header=BB368_2 Depth=1
	ds_store_b32 v17, v3
.LBB368_30:                             ;   in Loop: Header=BB368_2 Depth=1
	s_or_b32 exec_lo, exec_lo, s9
	s_waitcnt lgkmcnt(0)
	s_barrier
	buffer_gl0_inv
	s_and_saveexec_b32 s9, s5
	s_cbranch_execz .LBB368_32
; %bb.31:                               ;   in Loop: Header=BB368_2 Depth=1
	ds_load_b32 v26, v19
	s_waitcnt lgkmcnt(0)
	v_mov_b32_dpp v27, v26 row_shr:1 row_mask:0xf bank_mask:0xf
	s_delay_alu instid0(VALU_DEP_1) | instskip(NEXT) | instid1(VALU_DEP_1)
	v_cndmask_b32_e64 v27, v27, 0, s0
	v_add_nc_u32_e32 v26, v27, v26
	s_delay_alu instid0(VALU_DEP_1) | instskip(NEXT) | instid1(VALU_DEP_1)
	v_mov_b32_dpp v27, v26 row_shr:2 row_mask:0xf bank_mask:0xf
	v_cndmask_b32_e64 v27, 0, v27, s1
	s_delay_alu instid0(VALU_DEP_1) | instskip(NEXT) | instid1(VALU_DEP_1)
	v_add_nc_u32_e32 v26, v26, v27
	v_mov_b32_dpp v27, v26 row_shr:4 row_mask:0xf bank_mask:0xf
	s_delay_alu instid0(VALU_DEP_1) | instskip(NEXT) | instid1(VALU_DEP_1)
	v_cndmask_b32_e64 v27, 0, v27, s2
	v_add_nc_u32_e32 v26, v26, v27
	s_delay_alu instid0(VALU_DEP_1) | instskip(NEXT) | instid1(VALU_DEP_1)
	v_mov_b32_dpp v27, v26 row_shr:8 row_mask:0xf bank_mask:0xf
	v_cndmask_b32_e64 v27, 0, v27, s3
	s_delay_alu instid0(VALU_DEP_1)
	v_add_nc_u32_e32 v26, v26, v27
	ds_store_b32 v19, v26
.LBB368_32:                             ;   in Loop: Header=BB368_2 Depth=1
	s_or_b32 exec_lo, exec_lo, s9
	v_mov_b32_e32 v26, 0
	s_waitcnt lgkmcnt(0)
	s_barrier
	buffer_gl0_inv
	s_and_saveexec_b32 s9, s6
	s_cbranch_execz .LBB368_34
; %bb.33:                               ;   in Loop: Header=BB368_2 Depth=1
	ds_load_b32 v26, v20
.LBB368_34:                             ;   in Loop: Header=BB368_2 Depth=1
	s_or_b32 exec_lo, exec_lo, s9
	s_waitcnt lgkmcnt(0)
	v_add_nc_u32_e32 v3, v26, v3
	ds_bpermute_b32 v3, v18, v3
	s_waitcnt lgkmcnt(0)
	v_cndmask_b32_e32 v3, v3, v26, vcc_lo
	s_delay_alu instid0(VALU_DEP_1) | instskip(NEXT) | instid1(VALU_DEP_1)
	v_cndmask_b32_e64 v3, v3, 0, s7
	v_add_nc_u32_e32 v4, v3, v4
	s_delay_alu instid0(VALU_DEP_1) | instskip(NEXT) | instid1(VALU_DEP_1)
	v_add_nc_u32_e32 v5, v4, v5
	v_add_nc_u32_e32 v6, v5, v6
	s_delay_alu instid0(VALU_DEP_1) | instskip(NEXT) | instid1(VALU_DEP_1)
	v_add_nc_u32_e32 v26, v6, v7
	;; [unrolled: 3-line block ×3, first 2 shown]
	v_add_nc_u32_e32 v1, v0, v2
	ds_store_2addr_b64 v15, v[3:4], v[5:6] offset0:5 offset1:6
	ds_store_2addr_b64 v16, v[26:27], v[0:1] offset0:2 offset1:3
	s_waitcnt lgkmcnt(0)
	s_barrier
	buffer_gl0_inv
	ds_load_b32 v0, v25
	v_lshlrev_b32_e32 v1, 3, v24
	s_waitcnt lgkmcnt(0)
	s_barrier
	buffer_gl0_inv
	v_lshl_add_u32 v0, v0, 3, v1
	ds_store_b64 v0, v[13:14]
	s_waitcnt lgkmcnt(0)
	s_barrier
	buffer_gl0_inv
	ds_load_b64 v[13:14], v21
	s_waitcnt lgkmcnt(0)
	s_barrier
	buffer_gl0_inv
	v_and_b32_e32 v0, 1, v13
	v_lshlrev_b32_e32 v1, 30, v13
	v_lshlrev_b32_e32 v2, 29, v13
	;; [unrolled: 1-line block ×4, first 2 shown]
	v_add_co_u32 v0, s9, v0, -1
	s_delay_alu instid0(VALU_DEP_1)
	v_cndmask_b32_e64 v4, 0, 1, s9
	v_not_b32_e32 v24, v1
	v_cmp_gt_i32_e64 s10, 0, v1
	v_not_b32_e32 v1, v2
	v_lshlrev_b32_e32 v6, 26, v13
	v_cmp_ne_u32_e64 s9, 0, v4
	v_ashrrev_i32_e32 v24, 31, v24
	v_lshlrev_b32_e32 v7, 25, v13
	v_ashrrev_i32_e32 v1, 31, v1
	v_lshlrev_b32_e32 v4, 24, v13
	v_xor_b32_e32 v0, s9, v0
	v_cmp_gt_i32_e64 s9, 0, v2
	v_not_b32_e32 v2, v3
	v_xor_b32_e32 v24, s10, v24
	v_cmp_gt_i32_e64 s10, 0, v3
	v_and_b32_e32 v0, exec_lo, v0
	v_not_b32_e32 v3, v5
	v_ashrrev_i32_e32 v2, 31, v2
	v_xor_b32_e32 v1, s9, v1
	v_cmp_gt_i32_e64 s9, 0, v5
	v_and_b32_e32 v0, v0, v24
	v_not_b32_e32 v5, v6
	v_ashrrev_i32_e32 v3, 31, v3
	v_xor_b32_e32 v2, s10, v2
	v_cmp_gt_i32_e64 s10, 0, v6
	v_and_b32_e32 v0, v0, v1
	;; [unrolled: 5-line block ×3, first 2 shown]
	v_not_b32_e32 v2, v4
	v_ashrrev_i32_e32 v1, 31, v1
	v_xor_b32_e32 v5, s10, v5
	v_cmp_gt_i32_e64 s10, 0, v4
	v_dual_mov_b32 v3, s14 :: v_dual_and_b32 v0, v0, v3
	v_ashrrev_i32_e32 v2, 31, v2
	v_xor_b32_e32 v1, s9, v1
	v_mov_b32_e32 v4, s15
	s_delay_alu instid0(VALU_DEP_4) | instskip(NEXT) | instid1(VALU_DEP_4)
	v_and_b32_e32 v0, v0, v5
	v_xor_b32_e32 v5, s10, v2
	s_delay_alu instid0(VALU_DEP_2)
	v_dual_mov_b32 v1, s20 :: v_dual_and_b32 v0, v0, v1
	v_mov_b32_e32 v2, s21
	ds_store_2addr_b64 v15, v[1:2], v[3:4] offset0:5 offset1:6
	ds_store_2addr_b64 v16, v[1:2], v[3:4] offset0:2 offset1:3
	v_and_b32_e32 v0, v0, v5
	v_and_b32_e32 v5, 0xff, v13
	s_waitcnt lgkmcnt(0)
	s_barrier
	buffer_gl0_inv
	v_mbcnt_lo_u32_b32 v24, v0, 0
	v_mad_u32_u24 v1, v5, 10, v22
	v_cmp_ne_u32_e64 s10, 0, v0
	; wave barrier
	s_delay_alu instid0(VALU_DEP_3) | instskip(NEXT) | instid1(VALU_DEP_3)
	v_cmp_eq_u32_e64 s9, 0, v24
	v_lshl_add_u32 v25, v1, 2, 40
	s_delay_alu instid0(VALU_DEP_2) | instskip(NEXT) | instid1(SALU_CYCLE_1)
	s_and_b32 s10, s10, s9
	s_and_saveexec_b32 s9, s10
	s_cbranch_execz .LBB368_36
; %bb.35:                               ;   in Loop: Header=BB368_2 Depth=1
	v_bcnt_u32_b32 v0, v0, 0
	ds_store_b32 v25, v0
.LBB368_36:                             ;   in Loop: Header=BB368_2 Depth=1
	s_or_b32 exec_lo, exec_lo, s9
	; wave barrier
	s_waitcnt lgkmcnt(0)
	s_barrier
	buffer_gl0_inv
	ds_load_2addr_b64 v[4:7], v15 offset0:5 offset1:6
	ds_load_2addr_b64 v[0:3], v16 offset0:2 offset1:3
	s_waitcnt lgkmcnt(1)
	v_add_nc_u32_e32 v26, v5, v4
	s_delay_alu instid0(VALU_DEP_1) | instskip(SKIP_1) | instid1(VALU_DEP_1)
	v_add3_u32 v26, v26, v6, v7
	s_waitcnt lgkmcnt(0)
	v_add3_u32 v26, v26, v0, v1
	s_delay_alu instid0(VALU_DEP_1) | instskip(NEXT) | instid1(VALU_DEP_1)
	v_add3_u32 v3, v26, v2, v3
	v_mov_b32_dpp v26, v3 row_shr:1 row_mask:0xf bank_mask:0xf
	s_delay_alu instid0(VALU_DEP_1) | instskip(NEXT) | instid1(VALU_DEP_1)
	v_cndmask_b32_e64 v26, v26, 0, s0
	v_add_nc_u32_e32 v3, v26, v3
	s_delay_alu instid0(VALU_DEP_1) | instskip(NEXT) | instid1(VALU_DEP_1)
	v_mov_b32_dpp v26, v3 row_shr:2 row_mask:0xf bank_mask:0xf
	v_cndmask_b32_e64 v26, 0, v26, s1
	s_delay_alu instid0(VALU_DEP_1) | instskip(NEXT) | instid1(VALU_DEP_1)
	v_add_nc_u32_e32 v3, v3, v26
	v_mov_b32_dpp v26, v3 row_shr:4 row_mask:0xf bank_mask:0xf
	s_delay_alu instid0(VALU_DEP_1) | instskip(NEXT) | instid1(VALU_DEP_1)
	v_cndmask_b32_e64 v26, 0, v26, s2
	v_add_nc_u32_e32 v3, v3, v26
	s_delay_alu instid0(VALU_DEP_1) | instskip(NEXT) | instid1(VALU_DEP_1)
	v_mov_b32_dpp v26, v3 row_shr:8 row_mask:0xf bank_mask:0xf
	v_cndmask_b32_e64 v26, 0, v26, s3
	s_delay_alu instid0(VALU_DEP_1) | instskip(SKIP_3) | instid1(VALU_DEP_1)
	v_add_nc_u32_e32 v3, v3, v26
	ds_swizzle_b32 v26, v3 offset:swizzle(BROADCAST,32,15)
	s_waitcnt lgkmcnt(0)
	v_cndmask_b32_e64 v26, v26, 0, s4
	v_add_nc_u32_e32 v3, v3, v26
	s_and_saveexec_b32 s9, s8
	s_cbranch_execz .LBB368_38
; %bb.37:                               ;   in Loop: Header=BB368_2 Depth=1
	ds_store_b32 v17, v3
.LBB368_38:                             ;   in Loop: Header=BB368_2 Depth=1
	s_or_b32 exec_lo, exec_lo, s9
	s_waitcnt lgkmcnt(0)
	s_barrier
	buffer_gl0_inv
	s_and_saveexec_b32 s9, s5
	s_cbranch_execz .LBB368_40
; %bb.39:                               ;   in Loop: Header=BB368_2 Depth=1
	ds_load_b32 v26, v19
	s_waitcnt lgkmcnt(0)
	v_mov_b32_dpp v27, v26 row_shr:1 row_mask:0xf bank_mask:0xf
	s_delay_alu instid0(VALU_DEP_1) | instskip(NEXT) | instid1(VALU_DEP_1)
	v_cndmask_b32_e64 v27, v27, 0, s0
	v_add_nc_u32_e32 v26, v27, v26
	s_delay_alu instid0(VALU_DEP_1) | instskip(NEXT) | instid1(VALU_DEP_1)
	v_mov_b32_dpp v27, v26 row_shr:2 row_mask:0xf bank_mask:0xf
	v_cndmask_b32_e64 v27, 0, v27, s1
	s_delay_alu instid0(VALU_DEP_1) | instskip(NEXT) | instid1(VALU_DEP_1)
	v_add_nc_u32_e32 v26, v26, v27
	v_mov_b32_dpp v27, v26 row_shr:4 row_mask:0xf bank_mask:0xf
	s_delay_alu instid0(VALU_DEP_1) | instskip(NEXT) | instid1(VALU_DEP_1)
	v_cndmask_b32_e64 v27, 0, v27, s2
	v_add_nc_u32_e32 v26, v26, v27
	s_delay_alu instid0(VALU_DEP_1) | instskip(NEXT) | instid1(VALU_DEP_1)
	v_mov_b32_dpp v27, v26 row_shr:8 row_mask:0xf bank_mask:0xf
	v_cndmask_b32_e64 v27, 0, v27, s3
	s_delay_alu instid0(VALU_DEP_1)
	v_add_nc_u32_e32 v26, v26, v27
	ds_store_b32 v19, v26
.LBB368_40:                             ;   in Loop: Header=BB368_2 Depth=1
	s_or_b32 exec_lo, exec_lo, s9
	v_mov_b32_e32 v26, 0
	s_waitcnt lgkmcnt(0)
	s_barrier
	buffer_gl0_inv
	s_and_saveexec_b32 s9, s6
	s_cbranch_execz .LBB368_42
; %bb.41:                               ;   in Loop: Header=BB368_2 Depth=1
	ds_load_b32 v26, v20
.LBB368_42:                             ;   in Loop: Header=BB368_2 Depth=1
	s_or_b32 exec_lo, exec_lo, s9
	s_waitcnt lgkmcnt(0)
	v_add_nc_u32_e32 v3, v26, v3
	ds_bpermute_b32 v3, v18, v3
	s_waitcnt lgkmcnt(0)
	v_cndmask_b32_e32 v3, v3, v26, vcc_lo
	s_delay_alu instid0(VALU_DEP_1) | instskip(NEXT) | instid1(VALU_DEP_1)
	v_cndmask_b32_e64 v3, v3, 0, s7
	v_add_nc_u32_e32 v4, v3, v4
	s_delay_alu instid0(VALU_DEP_1) | instskip(NEXT) | instid1(VALU_DEP_1)
	v_add_nc_u32_e32 v5, v4, v5
	v_add_nc_u32_e32 v6, v5, v6
	s_delay_alu instid0(VALU_DEP_1) | instskip(NEXT) | instid1(VALU_DEP_1)
	v_add_nc_u32_e32 v26, v6, v7
	;; [unrolled: 3-line block ×3, first 2 shown]
	v_add_nc_u32_e32 v1, v0, v2
	ds_store_2addr_b64 v15, v[3:4], v[5:6] offset0:5 offset1:6
	ds_store_2addr_b64 v16, v[26:27], v[0:1] offset0:2 offset1:3
	s_waitcnt lgkmcnt(0)
	s_barrier
	buffer_gl0_inv
	ds_load_b32 v0, v25
	v_lshlrev_b32_e32 v1, 3, v24
	s_waitcnt lgkmcnt(0)
	s_barrier
	buffer_gl0_inv
	v_lshl_add_u32 v0, v0, 3, v1
	ds_store_b64 v0, v[13:14]
	s_waitcnt lgkmcnt(0)
	s_barrier
	buffer_gl0_inv
	ds_load_b64 v[13:14], v21
	s_waitcnt lgkmcnt(0)
	s_barrier
	buffer_gl0_inv
	v_bfe_u32 v0, v13, 8, 1
	v_lshrrev_b32_e32 v1, 8, v13
	s_delay_alu instid0(VALU_DEP_2) | instskip(NEXT) | instid1(VALU_DEP_1)
	v_add_co_u32 v0, s9, v0, -1
	v_cndmask_b32_e64 v2, 0, 1, s9
	s_delay_alu instid0(VALU_DEP_3)
	v_lshlrev_b32_e32 v3, 30, v1
	v_lshlrev_b32_e32 v4, 29, v1
	;; [unrolled: 1-line block ×4, first 2 shown]
	v_cmp_ne_u32_e64 s9, 0, v2
	v_not_b32_e32 v2, v3
	v_cmp_gt_i32_e64 s10, 0, v3
	v_not_b32_e32 v3, v4
	v_lshlrev_b32_e32 v7, 26, v1
	v_xor_b32_e32 v0, s9, v0
	v_ashrrev_i32_e32 v2, 31, v2
	v_cmp_gt_i32_e64 s9, 0, v4
	v_not_b32_e32 v4, v5
	v_ashrrev_i32_e32 v3, 31, v3
	v_and_b32_e32 v0, exec_lo, v0
	v_xor_b32_e32 v2, s10, v2
	v_cmp_gt_i32_e64 s10, 0, v5
	v_not_b32_e32 v5, v6
	v_ashrrev_i32_e32 v4, 31, v4
	v_xor_b32_e32 v3, s9, v3
	v_and_b32_e32 v0, v0, v2
	v_lshlrev_b32_e32 v24, 25, v1
	v_cmp_gt_i32_e64 s9, 0, v6
	v_not_b32_e32 v2, v7
	v_ashrrev_i32_e32 v5, 31, v5
	v_xor_b32_e32 v4, s10, v4
	v_and_b32_e32 v0, v0, v3
	v_lshlrev_b32_e32 v1, 24, v1
	v_cmp_gt_i32_e64 s10, 0, v7
	v_not_b32_e32 v3, v24
	v_ashrrev_i32_e32 v2, 31, v2
	v_xor_b32_e32 v5, s9, v5
	v_and_b32_e32 v0, v0, v4
	v_cmp_gt_i32_e64 s9, 0, v24
	v_not_b32_e32 v4, v1
	v_ashrrev_i32_e32 v3, 31, v3
	v_xor_b32_e32 v2, s10, v2
	v_and_b32_e32 v0, v0, v5
	v_cmp_gt_i32_e64 s10, 0, v1
	v_ashrrev_i32_e32 v1, 31, v4
	v_xor_b32_e32 v3, s9, v3
	s_delay_alu instid0(VALU_DEP_4) | instskip(NEXT) | instid1(VALU_DEP_3)
	v_and_b32_e32 v0, v0, v2
	v_xor_b32_e32 v5, s10, v1
	v_dual_mov_b32 v1, s20 :: v_dual_mov_b32 v2, s21
	s_delay_alu instid0(VALU_DEP_3)
	v_dual_mov_b32 v3, s14 :: v_dual_and_b32 v0, v0, v3
	v_mov_b32_e32 v4, s15
	ds_store_2addr_b64 v15, v[1:2], v[3:4] offset0:5 offset1:6
	ds_store_2addr_b64 v16, v[1:2], v[3:4] offset0:2 offset1:3
	v_and_b32_e32 v0, v0, v5
	v_bfe_u32 v5, v13, 8, 8
	s_waitcnt lgkmcnt(0)
	s_barrier
	buffer_gl0_inv
	v_mbcnt_lo_u32_b32 v24, v0, 0
	v_mad_u32_u24 v1, v5, 10, v22
	v_cmp_ne_u32_e64 s10, 0, v0
	; wave barrier
	s_delay_alu instid0(VALU_DEP_3) | instskip(NEXT) | instid1(VALU_DEP_3)
	v_cmp_eq_u32_e64 s9, 0, v24
	v_lshl_add_u32 v25, v1, 2, 40
	s_delay_alu instid0(VALU_DEP_2) | instskip(NEXT) | instid1(SALU_CYCLE_1)
	s_and_b32 s10, s10, s9
	s_and_saveexec_b32 s9, s10
	s_cbranch_execz .LBB368_44
; %bb.43:                               ;   in Loop: Header=BB368_2 Depth=1
	v_bcnt_u32_b32 v0, v0, 0
	ds_store_b32 v25, v0
.LBB368_44:                             ;   in Loop: Header=BB368_2 Depth=1
	s_or_b32 exec_lo, exec_lo, s9
	; wave barrier
	s_waitcnt lgkmcnt(0)
	s_barrier
	buffer_gl0_inv
	ds_load_2addr_b64 v[4:7], v15 offset0:5 offset1:6
	ds_load_2addr_b64 v[0:3], v16 offset0:2 offset1:3
	s_waitcnt lgkmcnt(1)
	v_add_nc_u32_e32 v26, v5, v4
	s_delay_alu instid0(VALU_DEP_1) | instskip(SKIP_1) | instid1(VALU_DEP_1)
	v_add3_u32 v26, v26, v6, v7
	s_waitcnt lgkmcnt(0)
	v_add3_u32 v26, v26, v0, v1
	s_delay_alu instid0(VALU_DEP_1) | instskip(NEXT) | instid1(VALU_DEP_1)
	v_add3_u32 v3, v26, v2, v3
	v_mov_b32_dpp v26, v3 row_shr:1 row_mask:0xf bank_mask:0xf
	s_delay_alu instid0(VALU_DEP_1) | instskip(NEXT) | instid1(VALU_DEP_1)
	v_cndmask_b32_e64 v26, v26, 0, s0
	v_add_nc_u32_e32 v3, v26, v3
	s_delay_alu instid0(VALU_DEP_1) | instskip(NEXT) | instid1(VALU_DEP_1)
	v_mov_b32_dpp v26, v3 row_shr:2 row_mask:0xf bank_mask:0xf
	v_cndmask_b32_e64 v26, 0, v26, s1
	s_delay_alu instid0(VALU_DEP_1) | instskip(NEXT) | instid1(VALU_DEP_1)
	v_add_nc_u32_e32 v3, v3, v26
	v_mov_b32_dpp v26, v3 row_shr:4 row_mask:0xf bank_mask:0xf
	s_delay_alu instid0(VALU_DEP_1) | instskip(NEXT) | instid1(VALU_DEP_1)
	v_cndmask_b32_e64 v26, 0, v26, s2
	v_add_nc_u32_e32 v3, v3, v26
	s_delay_alu instid0(VALU_DEP_1) | instskip(NEXT) | instid1(VALU_DEP_1)
	v_mov_b32_dpp v26, v3 row_shr:8 row_mask:0xf bank_mask:0xf
	v_cndmask_b32_e64 v26, 0, v26, s3
	s_delay_alu instid0(VALU_DEP_1) | instskip(SKIP_3) | instid1(VALU_DEP_1)
	v_add_nc_u32_e32 v3, v3, v26
	ds_swizzle_b32 v26, v3 offset:swizzle(BROADCAST,32,15)
	s_waitcnt lgkmcnt(0)
	v_cndmask_b32_e64 v26, v26, 0, s4
	v_add_nc_u32_e32 v3, v3, v26
	s_and_saveexec_b32 s9, s8
	s_cbranch_execz .LBB368_46
; %bb.45:                               ;   in Loop: Header=BB368_2 Depth=1
	ds_store_b32 v17, v3
.LBB368_46:                             ;   in Loop: Header=BB368_2 Depth=1
	s_or_b32 exec_lo, exec_lo, s9
	s_waitcnt lgkmcnt(0)
	s_barrier
	buffer_gl0_inv
	s_and_saveexec_b32 s9, s5
	s_cbranch_execz .LBB368_48
; %bb.47:                               ;   in Loop: Header=BB368_2 Depth=1
	ds_load_b32 v26, v19
	s_waitcnt lgkmcnt(0)
	v_mov_b32_dpp v27, v26 row_shr:1 row_mask:0xf bank_mask:0xf
	s_delay_alu instid0(VALU_DEP_1) | instskip(NEXT) | instid1(VALU_DEP_1)
	v_cndmask_b32_e64 v27, v27, 0, s0
	v_add_nc_u32_e32 v26, v27, v26
	s_delay_alu instid0(VALU_DEP_1) | instskip(NEXT) | instid1(VALU_DEP_1)
	v_mov_b32_dpp v27, v26 row_shr:2 row_mask:0xf bank_mask:0xf
	v_cndmask_b32_e64 v27, 0, v27, s1
	s_delay_alu instid0(VALU_DEP_1) | instskip(NEXT) | instid1(VALU_DEP_1)
	v_add_nc_u32_e32 v26, v26, v27
	v_mov_b32_dpp v27, v26 row_shr:4 row_mask:0xf bank_mask:0xf
	s_delay_alu instid0(VALU_DEP_1) | instskip(NEXT) | instid1(VALU_DEP_1)
	v_cndmask_b32_e64 v27, 0, v27, s2
	v_add_nc_u32_e32 v26, v26, v27
	s_delay_alu instid0(VALU_DEP_1) | instskip(NEXT) | instid1(VALU_DEP_1)
	v_mov_b32_dpp v27, v26 row_shr:8 row_mask:0xf bank_mask:0xf
	v_cndmask_b32_e64 v27, 0, v27, s3
	s_delay_alu instid0(VALU_DEP_1)
	v_add_nc_u32_e32 v26, v26, v27
	ds_store_b32 v19, v26
.LBB368_48:                             ;   in Loop: Header=BB368_2 Depth=1
	s_or_b32 exec_lo, exec_lo, s9
	v_mov_b32_e32 v26, 0
	s_waitcnt lgkmcnt(0)
	s_barrier
	buffer_gl0_inv
	s_and_saveexec_b32 s9, s6
	s_cbranch_execz .LBB368_50
; %bb.49:                               ;   in Loop: Header=BB368_2 Depth=1
	ds_load_b32 v26, v20
.LBB368_50:                             ;   in Loop: Header=BB368_2 Depth=1
	s_or_b32 exec_lo, exec_lo, s9
	s_waitcnt lgkmcnt(0)
	v_add_nc_u32_e32 v3, v26, v3
	ds_bpermute_b32 v3, v18, v3
	s_waitcnt lgkmcnt(0)
	v_cndmask_b32_e32 v3, v3, v26, vcc_lo
	s_delay_alu instid0(VALU_DEP_1) | instskip(NEXT) | instid1(VALU_DEP_1)
	v_cndmask_b32_e64 v3, v3, 0, s7
	v_add_nc_u32_e32 v4, v3, v4
	s_delay_alu instid0(VALU_DEP_1) | instskip(NEXT) | instid1(VALU_DEP_1)
	v_add_nc_u32_e32 v5, v4, v5
	v_add_nc_u32_e32 v6, v5, v6
	s_delay_alu instid0(VALU_DEP_1) | instskip(NEXT) | instid1(VALU_DEP_1)
	v_add_nc_u32_e32 v26, v6, v7
	;; [unrolled: 3-line block ×3, first 2 shown]
	v_add_nc_u32_e32 v1, v0, v2
	ds_store_2addr_b64 v15, v[3:4], v[5:6] offset0:5 offset1:6
	ds_store_2addr_b64 v16, v[26:27], v[0:1] offset0:2 offset1:3
	s_waitcnt lgkmcnt(0)
	s_barrier
	buffer_gl0_inv
	ds_load_b32 v0, v25
	v_lshlrev_b32_e32 v1, 3, v24
	s_waitcnt lgkmcnt(0)
	s_barrier
	buffer_gl0_inv
	v_lshl_add_u32 v0, v0, 3, v1
	ds_store_b64 v0, v[13:14]
	s_waitcnt lgkmcnt(0)
	s_barrier
	buffer_gl0_inv
	ds_load_b64 v[13:14], v21
	s_waitcnt lgkmcnt(0)
	s_barrier
	buffer_gl0_inv
	v_bfe_u32 v0, v13, 16, 1
	v_lshrrev_b32_e32 v1, 16, v13
	s_delay_alu instid0(VALU_DEP_2) | instskip(NEXT) | instid1(VALU_DEP_1)
	v_add_co_u32 v0, s9, v0, -1
	v_cndmask_b32_e64 v2, 0, 1, s9
	s_delay_alu instid0(VALU_DEP_3)
	v_lshlrev_b32_e32 v3, 30, v1
	v_lshlrev_b32_e32 v4, 29, v1
	;; [unrolled: 1-line block ×4, first 2 shown]
	v_cmp_ne_u32_e64 s9, 0, v2
	v_not_b32_e32 v2, v3
	v_cmp_gt_i32_e64 s10, 0, v3
	v_not_b32_e32 v3, v4
	v_lshlrev_b32_e32 v7, 26, v1
	v_xor_b32_e32 v0, s9, v0
	v_ashrrev_i32_e32 v2, 31, v2
	v_cmp_gt_i32_e64 s9, 0, v4
	v_not_b32_e32 v4, v5
	v_ashrrev_i32_e32 v3, 31, v3
	v_and_b32_e32 v0, exec_lo, v0
	v_xor_b32_e32 v2, s10, v2
	v_cmp_gt_i32_e64 s10, 0, v5
	v_not_b32_e32 v5, v6
	v_ashrrev_i32_e32 v4, 31, v4
	v_xor_b32_e32 v3, s9, v3
	v_and_b32_e32 v0, v0, v2
	v_lshlrev_b32_e32 v24, 25, v1
	v_cmp_gt_i32_e64 s9, 0, v6
	v_not_b32_e32 v2, v7
	v_ashrrev_i32_e32 v5, 31, v5
	v_xor_b32_e32 v4, s10, v4
	v_and_b32_e32 v0, v0, v3
	v_lshlrev_b32_e32 v1, 24, v1
	v_cmp_gt_i32_e64 s10, 0, v7
	v_not_b32_e32 v3, v24
	v_ashrrev_i32_e32 v2, 31, v2
	v_xor_b32_e32 v5, s9, v5
	v_and_b32_e32 v0, v0, v4
	v_cmp_gt_i32_e64 s9, 0, v24
	v_not_b32_e32 v4, v1
	v_ashrrev_i32_e32 v3, 31, v3
	v_xor_b32_e32 v2, s10, v2
	v_and_b32_e32 v0, v0, v5
	v_cmp_gt_i32_e64 s10, 0, v1
	v_ashrrev_i32_e32 v1, 31, v4
	v_xor_b32_e32 v3, s9, v3
	s_delay_alu instid0(VALU_DEP_4) | instskip(NEXT) | instid1(VALU_DEP_3)
	v_and_b32_e32 v0, v0, v2
	v_xor_b32_e32 v5, s10, v1
	v_dual_mov_b32 v1, s20 :: v_dual_mov_b32 v2, s21
	s_delay_alu instid0(VALU_DEP_3)
	v_dual_mov_b32 v3, s14 :: v_dual_and_b32 v0, v0, v3
	v_mov_b32_e32 v4, s15
	ds_store_2addr_b64 v15, v[1:2], v[3:4] offset0:5 offset1:6
	ds_store_2addr_b64 v16, v[1:2], v[3:4] offset0:2 offset1:3
	v_and_b32_e32 v0, v0, v5
	v_bfe_u32 v5, v13, 16, 8
	s_waitcnt lgkmcnt(0)
	s_barrier
	buffer_gl0_inv
	v_mbcnt_lo_u32_b32 v24, v0, 0
	v_mad_u32_u24 v1, v5, 10, v22
	v_cmp_ne_u32_e64 s10, 0, v0
	; wave barrier
	s_delay_alu instid0(VALU_DEP_3) | instskip(NEXT) | instid1(VALU_DEP_3)
	v_cmp_eq_u32_e64 s9, 0, v24
	v_lshl_add_u32 v25, v1, 2, 40
	s_delay_alu instid0(VALU_DEP_2) | instskip(NEXT) | instid1(SALU_CYCLE_1)
	s_and_b32 s10, s10, s9
	s_and_saveexec_b32 s9, s10
	s_cbranch_execz .LBB368_52
; %bb.51:                               ;   in Loop: Header=BB368_2 Depth=1
	v_bcnt_u32_b32 v0, v0, 0
	ds_store_b32 v25, v0
.LBB368_52:                             ;   in Loop: Header=BB368_2 Depth=1
	s_or_b32 exec_lo, exec_lo, s9
	; wave barrier
	s_waitcnt lgkmcnt(0)
	s_barrier
	buffer_gl0_inv
	ds_load_2addr_b64 v[4:7], v15 offset0:5 offset1:6
	ds_load_2addr_b64 v[0:3], v16 offset0:2 offset1:3
	s_waitcnt lgkmcnt(1)
	v_add_nc_u32_e32 v26, v5, v4
	s_delay_alu instid0(VALU_DEP_1) | instskip(SKIP_1) | instid1(VALU_DEP_1)
	v_add3_u32 v26, v26, v6, v7
	s_waitcnt lgkmcnt(0)
	v_add3_u32 v26, v26, v0, v1
	s_delay_alu instid0(VALU_DEP_1) | instskip(NEXT) | instid1(VALU_DEP_1)
	v_add3_u32 v3, v26, v2, v3
	v_mov_b32_dpp v26, v3 row_shr:1 row_mask:0xf bank_mask:0xf
	s_delay_alu instid0(VALU_DEP_1) | instskip(NEXT) | instid1(VALU_DEP_1)
	v_cndmask_b32_e64 v26, v26, 0, s0
	v_add_nc_u32_e32 v3, v26, v3
	s_delay_alu instid0(VALU_DEP_1) | instskip(NEXT) | instid1(VALU_DEP_1)
	v_mov_b32_dpp v26, v3 row_shr:2 row_mask:0xf bank_mask:0xf
	v_cndmask_b32_e64 v26, 0, v26, s1
	s_delay_alu instid0(VALU_DEP_1) | instskip(NEXT) | instid1(VALU_DEP_1)
	v_add_nc_u32_e32 v3, v3, v26
	v_mov_b32_dpp v26, v3 row_shr:4 row_mask:0xf bank_mask:0xf
	s_delay_alu instid0(VALU_DEP_1) | instskip(NEXT) | instid1(VALU_DEP_1)
	v_cndmask_b32_e64 v26, 0, v26, s2
	v_add_nc_u32_e32 v3, v3, v26
	s_delay_alu instid0(VALU_DEP_1) | instskip(NEXT) | instid1(VALU_DEP_1)
	v_mov_b32_dpp v26, v3 row_shr:8 row_mask:0xf bank_mask:0xf
	v_cndmask_b32_e64 v26, 0, v26, s3
	s_delay_alu instid0(VALU_DEP_1) | instskip(SKIP_3) | instid1(VALU_DEP_1)
	v_add_nc_u32_e32 v3, v3, v26
	ds_swizzle_b32 v26, v3 offset:swizzle(BROADCAST,32,15)
	s_waitcnt lgkmcnt(0)
	v_cndmask_b32_e64 v26, v26, 0, s4
	v_add_nc_u32_e32 v3, v3, v26
	s_and_saveexec_b32 s9, s8
	s_cbranch_execz .LBB368_54
; %bb.53:                               ;   in Loop: Header=BB368_2 Depth=1
	ds_store_b32 v17, v3
.LBB368_54:                             ;   in Loop: Header=BB368_2 Depth=1
	s_or_b32 exec_lo, exec_lo, s9
	s_waitcnt lgkmcnt(0)
	s_barrier
	buffer_gl0_inv
	s_and_saveexec_b32 s9, s5
	s_cbranch_execz .LBB368_56
; %bb.55:                               ;   in Loop: Header=BB368_2 Depth=1
	ds_load_b32 v26, v19
	s_waitcnt lgkmcnt(0)
	v_mov_b32_dpp v27, v26 row_shr:1 row_mask:0xf bank_mask:0xf
	s_delay_alu instid0(VALU_DEP_1) | instskip(NEXT) | instid1(VALU_DEP_1)
	v_cndmask_b32_e64 v27, v27, 0, s0
	v_add_nc_u32_e32 v26, v27, v26
	s_delay_alu instid0(VALU_DEP_1) | instskip(NEXT) | instid1(VALU_DEP_1)
	v_mov_b32_dpp v27, v26 row_shr:2 row_mask:0xf bank_mask:0xf
	v_cndmask_b32_e64 v27, 0, v27, s1
	s_delay_alu instid0(VALU_DEP_1) | instskip(NEXT) | instid1(VALU_DEP_1)
	v_add_nc_u32_e32 v26, v26, v27
	v_mov_b32_dpp v27, v26 row_shr:4 row_mask:0xf bank_mask:0xf
	s_delay_alu instid0(VALU_DEP_1) | instskip(NEXT) | instid1(VALU_DEP_1)
	v_cndmask_b32_e64 v27, 0, v27, s2
	v_add_nc_u32_e32 v26, v26, v27
	s_delay_alu instid0(VALU_DEP_1) | instskip(NEXT) | instid1(VALU_DEP_1)
	v_mov_b32_dpp v27, v26 row_shr:8 row_mask:0xf bank_mask:0xf
	v_cndmask_b32_e64 v27, 0, v27, s3
	s_delay_alu instid0(VALU_DEP_1)
	v_add_nc_u32_e32 v26, v26, v27
	ds_store_b32 v19, v26
.LBB368_56:                             ;   in Loop: Header=BB368_2 Depth=1
	s_or_b32 exec_lo, exec_lo, s9
	v_mov_b32_e32 v26, 0
	s_waitcnt lgkmcnt(0)
	s_barrier
	buffer_gl0_inv
	s_and_saveexec_b32 s9, s6
	s_cbranch_execz .LBB368_58
; %bb.57:                               ;   in Loop: Header=BB368_2 Depth=1
	ds_load_b32 v26, v20
.LBB368_58:                             ;   in Loop: Header=BB368_2 Depth=1
	s_or_b32 exec_lo, exec_lo, s9
	s_waitcnt lgkmcnt(0)
	v_add_nc_u32_e32 v3, v26, v3
	ds_bpermute_b32 v3, v18, v3
	s_waitcnt lgkmcnt(0)
	v_cndmask_b32_e32 v3, v3, v26, vcc_lo
	s_delay_alu instid0(VALU_DEP_1) | instskip(NEXT) | instid1(VALU_DEP_1)
	v_cndmask_b32_e64 v3, v3, 0, s7
	v_add_nc_u32_e32 v4, v3, v4
	s_delay_alu instid0(VALU_DEP_1) | instskip(NEXT) | instid1(VALU_DEP_1)
	v_add_nc_u32_e32 v5, v4, v5
	v_add_nc_u32_e32 v6, v5, v6
	s_delay_alu instid0(VALU_DEP_1) | instskip(NEXT) | instid1(VALU_DEP_1)
	v_add_nc_u32_e32 v26, v6, v7
	;; [unrolled: 3-line block ×3, first 2 shown]
	v_add_nc_u32_e32 v1, v0, v2
	ds_store_2addr_b64 v15, v[3:4], v[5:6] offset0:5 offset1:6
	ds_store_2addr_b64 v16, v[26:27], v[0:1] offset0:2 offset1:3
	s_waitcnt lgkmcnt(0)
	s_barrier
	buffer_gl0_inv
	ds_load_b32 v0, v25
	v_lshlrev_b32_e32 v1, 3, v24
	s_waitcnt lgkmcnt(0)
	s_barrier
	buffer_gl0_inv
	v_lshl_add_u32 v0, v0, 3, v1
	ds_store_b64 v0, v[13:14]
	s_waitcnt lgkmcnt(0)
	s_barrier
	buffer_gl0_inv
	ds_load_b64 v[13:14], v21
	s_waitcnt lgkmcnt(0)
	s_barrier
	buffer_gl0_inv
	v_bfe_u32 v0, v13, 24, 1
	v_lshrrev_b32_e32 v5, 24, v13
	s_delay_alu instid0(VALU_DEP_2) | instskip(NEXT) | instid1(VALU_DEP_1)
	v_add_co_u32 v0, s9, v0, -1
	v_cndmask_b32_e64 v1, 0, 1, s9
	s_delay_alu instid0(VALU_DEP_3)
	v_lshlrev_b32_e32 v2, 30, v5
	v_lshlrev_b32_e32 v3, 29, v5
	;; [unrolled: 1-line block ×4, first 2 shown]
	v_cmp_ne_u32_e64 s9, 0, v1
	v_not_b32_e32 v1, v2
	v_cmp_gt_i32_e64 s10, 0, v2
	v_not_b32_e32 v2, v3
	v_lshlrev_b32_e32 v7, 26, v5
	v_xor_b32_e32 v0, s9, v0
	v_ashrrev_i32_e32 v1, 31, v1
	v_cmp_gt_i32_e64 s9, 0, v3
	v_not_b32_e32 v3, v4
	v_ashrrev_i32_e32 v2, 31, v2
	v_and_b32_e32 v0, exec_lo, v0
	v_xor_b32_e32 v1, s10, v1
	v_cmp_gt_i32_e64 s10, 0, v4
	v_not_b32_e32 v4, v6
	v_ashrrev_i32_e32 v3, 31, v3
	v_xor_b32_e32 v2, s9, v2
	v_and_b32_e32 v0, v0, v1
	v_lshlrev_b32_e32 v24, 25, v5
	v_cmp_gt_i32_e64 s9, 0, v6
	v_not_b32_e32 v1, v7
	v_ashrrev_i32_e32 v4, 31, v4
	v_xor_b32_e32 v3, s10, v3
	v_and_b32_e32 v0, v0, v2
	v_cmp_gt_i32_e64 s10, 0, v7
	v_not_b32_e32 v2, v24
	v_ashrrev_i32_e32 v1, 31, v1
	v_xor_b32_e32 v4, s9, v4
	v_and_b32_e32 v0, v0, v3
	v_not_b32_e32 v3, v13
	v_cmp_gt_i32_e64 s9, 0, v24
	v_ashrrev_i32_e32 v2, 31, v2
	v_xor_b32_e32 v1, s10, v1
	v_and_b32_e32 v0, v0, v4
	v_cmp_gt_i32_e64 s10, 0, v13
	v_ashrrev_i32_e32 v3, 31, v3
	v_xor_b32_e32 v2, s9, v2
	s_delay_alu instid0(VALU_DEP_4) | instskip(NEXT) | instid1(VALU_DEP_3)
	v_and_b32_e32 v0, v0, v1
	v_xor_b32_e32 v3, s10, v3
	s_delay_alu instid0(VALU_DEP_2) | instskip(SKIP_1) | instid1(VALU_DEP_2)
	v_dual_mov_b32 v1, s20 :: v_dual_and_b32 v0, v0, v2
	v_mov_b32_e32 v2, s21
	v_dual_mov_b32 v3, s14 :: v_dual_and_b32 v0, v0, v3
	v_mov_b32_e32 v4, s15
	ds_store_2addr_b64 v15, v[1:2], v[3:4] offset0:5 offset1:6
	ds_store_2addr_b64 v16, v[1:2], v[3:4] offset0:2 offset1:3
	v_mbcnt_lo_u32_b32 v24, v0, 0
	v_mad_u32_u24 v1, v5, 10, v22
	v_cmp_ne_u32_e64 s10, 0, v0
	s_waitcnt lgkmcnt(0)
	s_barrier
	v_cmp_eq_u32_e64 s9, 0, v24
	v_lshl_add_u32 v25, v1, 2, 40
	buffer_gl0_inv
	; wave barrier
	s_and_b32 s10, s10, s9
	s_delay_alu instid0(SALU_CYCLE_1)
	s_and_saveexec_b32 s9, s10
	s_cbranch_execz .LBB368_60
; %bb.59:                               ;   in Loop: Header=BB368_2 Depth=1
	v_bcnt_u32_b32 v0, v0, 0
	ds_store_b32 v25, v0
.LBB368_60:                             ;   in Loop: Header=BB368_2 Depth=1
	s_or_b32 exec_lo, exec_lo, s9
	; wave barrier
	s_waitcnt lgkmcnt(0)
	s_barrier
	buffer_gl0_inv
	ds_load_2addr_b64 v[4:7], v15 offset0:5 offset1:6
	ds_load_2addr_b64 v[0:3], v16 offset0:2 offset1:3
	s_waitcnt lgkmcnt(1)
	v_add_nc_u32_e32 v26, v5, v4
	s_delay_alu instid0(VALU_DEP_1) | instskip(SKIP_1) | instid1(VALU_DEP_1)
	v_add3_u32 v26, v26, v6, v7
	s_waitcnt lgkmcnt(0)
	v_add3_u32 v26, v26, v0, v1
	s_delay_alu instid0(VALU_DEP_1) | instskip(NEXT) | instid1(VALU_DEP_1)
	v_add3_u32 v3, v26, v2, v3
	v_mov_b32_dpp v26, v3 row_shr:1 row_mask:0xf bank_mask:0xf
	s_delay_alu instid0(VALU_DEP_1) | instskip(NEXT) | instid1(VALU_DEP_1)
	v_cndmask_b32_e64 v26, v26, 0, s0
	v_add_nc_u32_e32 v3, v26, v3
	s_delay_alu instid0(VALU_DEP_1) | instskip(NEXT) | instid1(VALU_DEP_1)
	v_mov_b32_dpp v26, v3 row_shr:2 row_mask:0xf bank_mask:0xf
	v_cndmask_b32_e64 v26, 0, v26, s1
	s_delay_alu instid0(VALU_DEP_1) | instskip(NEXT) | instid1(VALU_DEP_1)
	v_add_nc_u32_e32 v3, v3, v26
	v_mov_b32_dpp v26, v3 row_shr:4 row_mask:0xf bank_mask:0xf
	s_delay_alu instid0(VALU_DEP_1) | instskip(NEXT) | instid1(VALU_DEP_1)
	v_cndmask_b32_e64 v26, 0, v26, s2
	v_add_nc_u32_e32 v3, v3, v26
	s_delay_alu instid0(VALU_DEP_1) | instskip(NEXT) | instid1(VALU_DEP_1)
	v_mov_b32_dpp v26, v3 row_shr:8 row_mask:0xf bank_mask:0xf
	v_cndmask_b32_e64 v26, 0, v26, s3
	s_delay_alu instid0(VALU_DEP_1) | instskip(SKIP_3) | instid1(VALU_DEP_1)
	v_add_nc_u32_e32 v3, v3, v26
	ds_swizzle_b32 v26, v3 offset:swizzle(BROADCAST,32,15)
	s_waitcnt lgkmcnt(0)
	v_cndmask_b32_e64 v26, v26, 0, s4
	v_add_nc_u32_e32 v3, v3, v26
	s_and_saveexec_b32 s9, s8
	s_cbranch_execz .LBB368_62
; %bb.61:                               ;   in Loop: Header=BB368_2 Depth=1
	ds_store_b32 v17, v3
.LBB368_62:                             ;   in Loop: Header=BB368_2 Depth=1
	s_or_b32 exec_lo, exec_lo, s9
	s_waitcnt lgkmcnt(0)
	s_barrier
	buffer_gl0_inv
	s_and_saveexec_b32 s9, s5
	s_cbranch_execz .LBB368_64
; %bb.63:                               ;   in Loop: Header=BB368_2 Depth=1
	ds_load_b32 v26, v19
	s_waitcnt lgkmcnt(0)
	v_mov_b32_dpp v27, v26 row_shr:1 row_mask:0xf bank_mask:0xf
	s_delay_alu instid0(VALU_DEP_1) | instskip(NEXT) | instid1(VALU_DEP_1)
	v_cndmask_b32_e64 v27, v27, 0, s0
	v_add_nc_u32_e32 v26, v27, v26
	s_delay_alu instid0(VALU_DEP_1) | instskip(NEXT) | instid1(VALU_DEP_1)
	v_mov_b32_dpp v27, v26 row_shr:2 row_mask:0xf bank_mask:0xf
	v_cndmask_b32_e64 v27, 0, v27, s1
	s_delay_alu instid0(VALU_DEP_1) | instskip(NEXT) | instid1(VALU_DEP_1)
	v_add_nc_u32_e32 v26, v26, v27
	v_mov_b32_dpp v27, v26 row_shr:4 row_mask:0xf bank_mask:0xf
	s_delay_alu instid0(VALU_DEP_1) | instskip(NEXT) | instid1(VALU_DEP_1)
	v_cndmask_b32_e64 v27, 0, v27, s2
	v_add_nc_u32_e32 v26, v26, v27
	s_delay_alu instid0(VALU_DEP_1) | instskip(NEXT) | instid1(VALU_DEP_1)
	v_mov_b32_dpp v27, v26 row_shr:8 row_mask:0xf bank_mask:0xf
	v_cndmask_b32_e64 v27, 0, v27, s3
	s_delay_alu instid0(VALU_DEP_1)
	v_add_nc_u32_e32 v26, v26, v27
	ds_store_b32 v19, v26
.LBB368_64:                             ;   in Loop: Header=BB368_2 Depth=1
	s_or_b32 exec_lo, exec_lo, s9
	v_mov_b32_e32 v26, 0
	s_waitcnt lgkmcnt(0)
	s_barrier
	buffer_gl0_inv
	s_and_saveexec_b32 s9, s6
	s_cbranch_execz .LBB368_1
; %bb.65:                               ;   in Loop: Header=BB368_2 Depth=1
	ds_load_b32 v26, v20
	s_branch .LBB368_1
.LBB368_66:
	s_waitcnt lgkmcnt(0)
	v_xor_b32_e32 v1, 0x80000000, v14
	v_xor_b32_e32 v0, 0x80000000, v13
	v_lshlrev_b32_e32 v2, 3, v8
	s_add_u32 s0, s18, s12
	s_addc_u32 s1, s19, s13
	global_store_b64 v2, v[0:1], s[0:1]
	s_nop 0
	s_sendmsg sendmsg(MSG_DEALLOC_VGPRS)
	s_endpgm
	.section	.rodata,"a",@progbits
	.p2align	6, 0x0
	.amdhsa_kernel _Z16sort_keys_kernelI22helper_blocked_stripedN15benchmark_utils11custom_typeIiiEELj320ELj1ELj10EEvPKT0_PS4_
		.amdhsa_group_segment_fixed_size 10288
		.amdhsa_private_segment_fixed_size 0
		.amdhsa_kernarg_size 272
		.amdhsa_user_sgpr_count 15
		.amdhsa_user_sgpr_dispatch_ptr 0
		.amdhsa_user_sgpr_queue_ptr 0
		.amdhsa_user_sgpr_kernarg_segment_ptr 1
		.amdhsa_user_sgpr_dispatch_id 0
		.amdhsa_user_sgpr_private_segment_size 0
		.amdhsa_wavefront_size32 1
		.amdhsa_uses_dynamic_stack 0
		.amdhsa_enable_private_segment 0
		.amdhsa_system_sgpr_workgroup_id_x 1
		.amdhsa_system_sgpr_workgroup_id_y 0
		.amdhsa_system_sgpr_workgroup_id_z 0
		.amdhsa_system_sgpr_workgroup_info 0
		.amdhsa_system_vgpr_workitem_id 2
		.amdhsa_next_free_vgpr 28
		.amdhsa_next_free_sgpr 22
		.amdhsa_reserve_vcc 1
		.amdhsa_float_round_mode_32 0
		.amdhsa_float_round_mode_16_64 0
		.amdhsa_float_denorm_mode_32 3
		.amdhsa_float_denorm_mode_16_64 3
		.amdhsa_dx10_clamp 1
		.amdhsa_ieee_mode 1
		.amdhsa_fp16_overflow 0
		.amdhsa_workgroup_processor_mode 1
		.amdhsa_memory_ordered 1
		.amdhsa_forward_progress 0
		.amdhsa_shared_vgpr_count 0
		.amdhsa_exception_fp_ieee_invalid_op 0
		.amdhsa_exception_fp_denorm_src 0
		.amdhsa_exception_fp_ieee_div_zero 0
		.amdhsa_exception_fp_ieee_overflow 0
		.amdhsa_exception_fp_ieee_underflow 0
		.amdhsa_exception_fp_ieee_inexact 0
		.amdhsa_exception_int_div_zero 0
	.end_amdhsa_kernel
	.section	.text._Z16sort_keys_kernelI22helper_blocked_stripedN15benchmark_utils11custom_typeIiiEELj320ELj1ELj10EEvPKT0_PS4_,"axG",@progbits,_Z16sort_keys_kernelI22helper_blocked_stripedN15benchmark_utils11custom_typeIiiEELj320ELj1ELj10EEvPKT0_PS4_,comdat
.Lfunc_end368:
	.size	_Z16sort_keys_kernelI22helper_blocked_stripedN15benchmark_utils11custom_typeIiiEELj320ELj1ELj10EEvPKT0_PS4_, .Lfunc_end368-_Z16sort_keys_kernelI22helper_blocked_stripedN15benchmark_utils11custom_typeIiiEELj320ELj1ELj10EEvPKT0_PS4_
                                        ; -- End function
	.section	.AMDGPU.csdata,"",@progbits
; Kernel info:
; codeLenInByte = 8340
; NumSgprs: 24
; NumVgprs: 28
; ScratchSize: 0
; MemoryBound: 0
; FloatMode: 240
; IeeeMode: 1
; LDSByteSize: 10288 bytes/workgroup (compile time only)
; SGPRBlocks: 2
; VGPRBlocks: 3
; NumSGPRsForWavesPerEU: 24
; NumVGPRsForWavesPerEU: 28
; Occupancy: 15
; WaveLimiterHint : 0
; COMPUTE_PGM_RSRC2:SCRATCH_EN: 0
; COMPUTE_PGM_RSRC2:USER_SGPR: 15
; COMPUTE_PGM_RSRC2:TRAP_HANDLER: 0
; COMPUTE_PGM_RSRC2:TGID_X_EN: 1
; COMPUTE_PGM_RSRC2:TGID_Y_EN: 0
; COMPUTE_PGM_RSRC2:TGID_Z_EN: 0
; COMPUTE_PGM_RSRC2:TIDIG_COMP_CNT: 2
	.section	.text._Z17sort_pairs_kernelI22helper_blocked_stripedN15benchmark_utils11custom_typeIiiEELj320ELj1ELj10EEvPKT0_PS4_,"axG",@progbits,_Z17sort_pairs_kernelI22helper_blocked_stripedN15benchmark_utils11custom_typeIiiEELj320ELj1ELj10EEvPKT0_PS4_,comdat
	.protected	_Z17sort_pairs_kernelI22helper_blocked_stripedN15benchmark_utils11custom_typeIiiEELj320ELj1ELj10EEvPKT0_PS4_ ; -- Begin function _Z17sort_pairs_kernelI22helper_blocked_stripedN15benchmark_utils11custom_typeIiiEELj320ELj1ELj10EEvPKT0_PS4_
	.globl	_Z17sort_pairs_kernelI22helper_blocked_stripedN15benchmark_utils11custom_typeIiiEELj320ELj1ELj10EEvPKT0_PS4_
	.p2align	8
	.type	_Z17sort_pairs_kernelI22helper_blocked_stripedN15benchmark_utils11custom_typeIiiEELj320ELj1ELj10EEvPKT0_PS4_,@function
_Z17sort_pairs_kernelI22helper_blocked_stripedN15benchmark_utils11custom_typeIiiEELj320ELj1ELj10EEvPKT0_PS4_: ; @_Z17sort_pairs_kernelI22helper_blocked_stripedN15benchmark_utils11custom_typeIiiEELj320ELj1ELj10EEvPKT0_PS4_
; %bb.0:
	s_clause 0x1
	s_load_b128 s[16:19], s[0:1], 0x0
	s_load_b32 s8, s[0:1], 0x1c
	s_mov_b32 s21, 0
	s_mul_i32 s20, s15, 0x140
	s_mov_b32 s14, s21
	s_mov_b32 s15, s21
	v_dual_mov_b32 v9, s14 :: v_dual_and_b32 v8, 0x3ff, v0
	s_lshl_b64 s[12:13], s[20:21], 3
	v_mov_b32_e32 v10, s15
	v_mbcnt_lo_u32_b32 v5, -1, 0
	s_delay_alu instid0(VALU_DEP_3)
	v_lshlrev_b32_e32 v1, 3, v8
	s_mov_b32 s20, s21
	v_bfe_u32 v3, v0, 10, 10
	v_bfe_u32 v0, v0, 20, 10
	v_and_b32_e32 v6, 16, v5
	v_dual_mov_b32 v11, s20 :: v_dual_and_b32 v4, 15, v5
	v_dual_mov_b32 v12, s21 :: v_dual_add_nc_u32 v7, -1, v5
	s_waitcnt lgkmcnt(0)
	s_add_u32 s0, s16, s12
	s_addc_u32 s1, s17, s13
	v_cmp_eq_u32_e64 s4, 0, v6
	global_load_b64 v[1:2], v1, s[0:1]
	v_and_b32_e32 v6, 0x1e0, v8
	s_lshr_b32 s9, s8, 16
	v_cmp_eq_u32_e64 s0, 0, v4
	v_cmp_lt_u32_e64 s1, 1, v4
	v_cmp_lt_u32_e64 s2, 3, v4
	;; [unrolled: 1-line block ×3, first 2 shown]
	v_lshrrev_b32_e32 v4, 3, v8
	v_mad_u32_u24 v0, v0, s9, v3
	v_lshlrev_b32_e32 v19, 5, v8
	v_cmp_gt_i32_e64 s7, 0, v7
	v_min_u32_e32 v13, 0x120, v6
	s_and_b32 s8, s8, 0xffff
	v_and_b32_e32 v21, 60, v4
	v_mad_u64_u32 v[3:4], null, v0, s8, v[8:9]
	v_cndmask_b32_e64 v7, v7, v5, s7
	v_lshlrev_b32_e32 v17, 2, v8
	v_or_b32_e32 v0, v5, v6
	v_or_b32_e32 v4, 31, v13
	v_mad_i32_i24 v23, 0xffffffe4, v8, v19
	v_cmp_eq_u32_e32 vcc_lo, 0, v5
	v_cmp_gt_u32_e64 s5, 10, v8
	v_cmp_lt_u32_e64 s6, 31, v8
	v_cmp_eq_u32_e64 s7, 0, v8
	v_add_nc_u32_e32 v20, 40, v19
	v_lshlrev_b32_e32 v22, 2, v7
	v_add_nc_u32_e32 v24, -4, v21
	v_lshlrev_b32_e32 v25, 3, v0
	v_cmp_eq_u32_e64 s8, v4, v8
	v_lshrrev_b32_e32 v26, 5, v3
	v_add_nc_u32_e32 v27, v23, v17
	s_mov_b32 s16, 10
	s_waitcnt vmcnt(0)
	v_add_nc_u32_e32 v13, 1, v1
	v_add_nc_u32_e32 v14, 1, v2
	v_xor_b32_e32 v15, 0x80000000, v1
	v_xor_b32_e32 v16, 0x80000000, v2
	s_branch .LBB369_2
.LBB369_1:                              ;   in Loop: Header=BB369_2 Depth=1
	s_or_b32 exec_lo, exec_lo, s9
	s_waitcnt lgkmcnt(0)
	v_add_nc_u32_e32 v3, v28, v3
	s_add_i32 s16, s16, -1
	s_delay_alu instid0(SALU_CYCLE_1) | instskip(SKIP_3) | instid1(VALU_DEP_1)
	s_cmp_lg_u32 s16, 0
	ds_bpermute_b32 v3, v22, v3
	s_waitcnt lgkmcnt(0)
	v_cndmask_b32_e32 v3, v3, v28, vcc_lo
	v_cndmask_b32_e64 v3, v3, 0, s7
	s_delay_alu instid0(VALU_DEP_1) | instskip(NEXT) | instid1(VALU_DEP_1)
	v_add_nc_u32_e32 v4, v3, v4
	v_add_nc_u32_e32 v5, v4, v5
	s_delay_alu instid0(VALU_DEP_1) | instskip(NEXT) | instid1(VALU_DEP_1)
	v_add_nc_u32_e32 v6, v5, v6
	v_add_nc_u32_e32 v28, v6, v7
	;; [unrolled: 3-line block ×3, first 2 shown]
	s_delay_alu instid0(VALU_DEP_1)
	v_add_nc_u32_e32 v1, v0, v2
	ds_store_2addr_b64 v19, v[3:4], v[5:6] offset0:5 offset1:6
	ds_store_2addr_b64 v20, v[28:29], v[0:1] offset0:2 offset1:3
	s_waitcnt lgkmcnt(0)
	s_barrier
	buffer_gl0_inv
	ds_load_b32 v0, v16
	v_lshlrev_b32_e32 v1, 3, v15
	s_waitcnt lgkmcnt(0)
	s_barrier
	buffer_gl0_inv
	v_lshl_add_u32 v0, v0, 3, v1
	ds_store_b64 v0, v[13:14]
	s_waitcnt lgkmcnt(0)
	s_barrier
	buffer_gl0_inv
	ds_load_b64 v[15:16], v27
	s_waitcnt lgkmcnt(0)
	s_barrier
	buffer_gl0_inv
	ds_store_b64 v0, v[17:18]
	s_waitcnt lgkmcnt(0)
	s_barrier
	buffer_gl0_inv
	ds_load_b64 v[13:14], v27
	s_cbranch_scc0 .LBB369_66
.LBB369_2:                              ; =>This Inner Loop Header: Depth=1
	s_delay_alu instid0(VALU_DEP_1)
	v_and_b32_e32 v0, 1, v16
	v_lshlrev_b32_e32 v1, 30, v16
	v_lshlrev_b32_e32 v2, 29, v16
	;; [unrolled: 1-line block ×4, first 2 shown]
	v_add_co_u32 v0, s9, v0, -1
	s_delay_alu instid0(VALU_DEP_1)
	v_cndmask_b32_e64 v3, 0, 1, s9
	v_not_b32_e32 v7, v1
	v_cmp_gt_i32_e64 s10, 0, v1
	v_not_b32_e32 v1, v2
	v_lshlrev_b32_e32 v6, 26, v16
	v_cmp_ne_u32_e64 s9, 0, v3
	v_ashrrev_i32_e32 v7, 31, v7
	v_lshlrev_b32_e32 v3, 25, v16
	v_ashrrev_i32_e32 v1, 31, v1
	v_cmp_gt_i32_e64 s11, 0, v5
	v_xor_b32_e32 v0, s9, v0
	v_cmp_gt_i32_e64 s9, 0, v2
	v_not_b32_e32 v2, v4
	v_xor_b32_e32 v7, s10, v7
	v_cmp_gt_i32_e64 s10, 0, v4
	v_and_b32_e32 v0, exec_lo, v0
	v_xor_b32_e32 v1, s9, v1
	v_ashrrev_i32_e32 v2, 31, v2
	v_not_b32_e32 v4, v5
	v_not_b32_e32 v5, v6
	v_and_b32_e32 v0, v0, v7
	v_cmp_gt_i32_e64 s9, 0, v6
	v_xor_b32_e32 v2, s10, v2
	v_not_b32_e32 v6, v3
	ds_store_2addr_b64 v19, v[11:12], v[9:10] offset0:5 offset1:6
	ds_store_2addr_b64 v20, v[11:12], v[9:10] offset0:2 offset1:3
	v_and_b32_e32 v0, v0, v1
	v_ashrrev_i32_e32 v1, 31, v4
	v_ashrrev_i32_e32 v4, 31, v5
	v_lshlrev_b32_e32 v5, 24, v16
	s_waitcnt lgkmcnt(0)
	v_and_b32_e32 v0, v0, v2
	v_xor_b32_e32 v1, s11, v1
	v_xor_b32_e32 v2, s9, v4
	v_cmp_gt_i32_e64 s9, 0, v3
	v_not_b32_e32 v3, v5
	v_ashrrev_i32_e32 v4, 31, v6
	v_and_b32_e32 v0, v0, v1
	v_cmp_gt_i32_e64 s10, 0, v5
	s_barrier
	v_ashrrev_i32_e32 v1, 31, v3
	v_xor_b32_e32 v3, s9, v4
	v_and_b32_e32 v0, v0, v2
	buffer_gl0_inv
	v_xor_b32_e32 v1, s10, v1
	; wave barrier
	v_and_b32_e32 v0, v0, v3
	s_delay_alu instid0(VALU_DEP_1) | instskip(SKIP_1) | instid1(VALU_DEP_2)
	v_and_b32_e32 v0, v0, v1
	v_and_b32_e32 v1, 0xff, v16
	v_mbcnt_lo_u32_b32 v17, v0, 0
	s_delay_alu instid0(VALU_DEP_2) | instskip(SKIP_1) | instid1(VALU_DEP_3)
	v_mad_u32_u24 v1, v1, 10, v26
	v_cmp_ne_u32_e64 s10, 0, v0
	v_cmp_eq_u32_e64 s9, 0, v17
	s_delay_alu instid0(VALU_DEP_3) | instskip(NEXT) | instid1(VALU_DEP_2)
	v_lshl_add_u32 v18, v1, 2, 40
	s_and_b32 s10, s10, s9
	s_delay_alu instid0(SALU_CYCLE_1)
	s_and_saveexec_b32 s9, s10
	s_cbranch_execz .LBB369_4
; %bb.3:                                ;   in Loop: Header=BB369_2 Depth=1
	v_bcnt_u32_b32 v0, v0, 0
	ds_store_b32 v18, v0
.LBB369_4:                              ;   in Loop: Header=BB369_2 Depth=1
	s_or_b32 exec_lo, exec_lo, s9
	; wave barrier
	s_waitcnt lgkmcnt(0)
	s_barrier
	buffer_gl0_inv
	ds_load_2addr_b64 v[4:7], v19 offset0:5 offset1:6
	ds_load_2addr_b64 v[0:3], v20 offset0:2 offset1:3
	s_waitcnt lgkmcnt(1)
	v_add_nc_u32_e32 v28, v5, v4
	s_delay_alu instid0(VALU_DEP_1) | instskip(SKIP_1) | instid1(VALU_DEP_1)
	v_add3_u32 v28, v28, v6, v7
	s_waitcnt lgkmcnt(0)
	v_add3_u32 v28, v28, v0, v1
	s_delay_alu instid0(VALU_DEP_1) | instskip(NEXT) | instid1(VALU_DEP_1)
	v_add3_u32 v3, v28, v2, v3
	v_mov_b32_dpp v28, v3 row_shr:1 row_mask:0xf bank_mask:0xf
	s_delay_alu instid0(VALU_DEP_1) | instskip(NEXT) | instid1(VALU_DEP_1)
	v_cndmask_b32_e64 v28, v28, 0, s0
	v_add_nc_u32_e32 v3, v28, v3
	s_delay_alu instid0(VALU_DEP_1) | instskip(NEXT) | instid1(VALU_DEP_1)
	v_mov_b32_dpp v28, v3 row_shr:2 row_mask:0xf bank_mask:0xf
	v_cndmask_b32_e64 v28, 0, v28, s1
	s_delay_alu instid0(VALU_DEP_1) | instskip(NEXT) | instid1(VALU_DEP_1)
	v_add_nc_u32_e32 v3, v3, v28
	v_mov_b32_dpp v28, v3 row_shr:4 row_mask:0xf bank_mask:0xf
	s_delay_alu instid0(VALU_DEP_1) | instskip(NEXT) | instid1(VALU_DEP_1)
	v_cndmask_b32_e64 v28, 0, v28, s2
	v_add_nc_u32_e32 v3, v3, v28
	s_delay_alu instid0(VALU_DEP_1) | instskip(NEXT) | instid1(VALU_DEP_1)
	v_mov_b32_dpp v28, v3 row_shr:8 row_mask:0xf bank_mask:0xf
	v_cndmask_b32_e64 v28, 0, v28, s3
	s_delay_alu instid0(VALU_DEP_1) | instskip(SKIP_3) | instid1(VALU_DEP_1)
	v_add_nc_u32_e32 v3, v3, v28
	ds_swizzle_b32 v28, v3 offset:swizzle(BROADCAST,32,15)
	s_waitcnt lgkmcnt(0)
	v_cndmask_b32_e64 v28, v28, 0, s4
	v_add_nc_u32_e32 v3, v3, v28
	s_and_saveexec_b32 s9, s8
	s_cbranch_execz .LBB369_6
; %bb.5:                                ;   in Loop: Header=BB369_2 Depth=1
	ds_store_b32 v21, v3
.LBB369_6:                              ;   in Loop: Header=BB369_2 Depth=1
	s_or_b32 exec_lo, exec_lo, s9
	s_waitcnt lgkmcnt(0)
	s_barrier
	buffer_gl0_inv
	s_and_saveexec_b32 s9, s5
	s_cbranch_execz .LBB369_8
; %bb.7:                                ;   in Loop: Header=BB369_2 Depth=1
	ds_load_b32 v28, v23
	s_waitcnt lgkmcnt(0)
	v_mov_b32_dpp v29, v28 row_shr:1 row_mask:0xf bank_mask:0xf
	s_delay_alu instid0(VALU_DEP_1) | instskip(NEXT) | instid1(VALU_DEP_1)
	v_cndmask_b32_e64 v29, v29, 0, s0
	v_add_nc_u32_e32 v28, v29, v28
	s_delay_alu instid0(VALU_DEP_1) | instskip(NEXT) | instid1(VALU_DEP_1)
	v_mov_b32_dpp v29, v28 row_shr:2 row_mask:0xf bank_mask:0xf
	v_cndmask_b32_e64 v29, 0, v29, s1
	s_delay_alu instid0(VALU_DEP_1) | instskip(NEXT) | instid1(VALU_DEP_1)
	v_add_nc_u32_e32 v28, v28, v29
	v_mov_b32_dpp v29, v28 row_shr:4 row_mask:0xf bank_mask:0xf
	s_delay_alu instid0(VALU_DEP_1) | instskip(NEXT) | instid1(VALU_DEP_1)
	v_cndmask_b32_e64 v29, 0, v29, s2
	v_add_nc_u32_e32 v28, v28, v29
	s_delay_alu instid0(VALU_DEP_1) | instskip(NEXT) | instid1(VALU_DEP_1)
	v_mov_b32_dpp v29, v28 row_shr:8 row_mask:0xf bank_mask:0xf
	v_cndmask_b32_e64 v29, 0, v29, s3
	s_delay_alu instid0(VALU_DEP_1)
	v_add_nc_u32_e32 v28, v28, v29
	ds_store_b32 v23, v28
.LBB369_8:                              ;   in Loop: Header=BB369_2 Depth=1
	s_or_b32 exec_lo, exec_lo, s9
	v_mov_b32_e32 v28, 0
	s_waitcnt lgkmcnt(0)
	s_barrier
	buffer_gl0_inv
	s_and_saveexec_b32 s9, s6
	s_cbranch_execz .LBB369_10
; %bb.9:                                ;   in Loop: Header=BB369_2 Depth=1
	ds_load_b32 v28, v24
.LBB369_10:                             ;   in Loop: Header=BB369_2 Depth=1
	s_or_b32 exec_lo, exec_lo, s9
	s_waitcnt lgkmcnt(0)
	v_add_nc_u32_e32 v3, v28, v3
	ds_bpermute_b32 v3, v22, v3
	s_waitcnt lgkmcnt(0)
	v_cndmask_b32_e32 v3, v3, v28, vcc_lo
	s_delay_alu instid0(VALU_DEP_1) | instskip(NEXT) | instid1(VALU_DEP_1)
	v_cndmask_b32_e64 v3, v3, 0, s7
	v_add_nc_u32_e32 v4, v3, v4
	s_delay_alu instid0(VALU_DEP_1) | instskip(NEXT) | instid1(VALU_DEP_1)
	v_add_nc_u32_e32 v5, v4, v5
	v_add_nc_u32_e32 v6, v5, v6
	s_delay_alu instid0(VALU_DEP_1) | instskip(NEXT) | instid1(VALU_DEP_1)
	v_add_nc_u32_e32 v28, v6, v7
	;; [unrolled: 3-line block ×3, first 2 shown]
	v_add_nc_u32_e32 v1, v0, v2
	ds_store_2addr_b64 v19, v[3:4], v[5:6] offset0:5 offset1:6
	ds_store_2addr_b64 v20, v[28:29], v[0:1] offset0:2 offset1:3
	s_waitcnt lgkmcnt(0)
	s_barrier
	buffer_gl0_inv
	ds_load_b32 v0, v18
	v_lshlrev_b32_e32 v1, 3, v17
	s_waitcnt lgkmcnt(0)
	s_barrier
	buffer_gl0_inv
	v_lshl_add_u32 v0, v0, 3, v1
	ds_store_b64 v0, v[15:16]
	s_waitcnt lgkmcnt(0)
	s_barrier
	buffer_gl0_inv
	ds_load_b64 v[17:18], v25
	s_waitcnt lgkmcnt(0)
	s_barrier
	buffer_gl0_inv
	ds_store_b64 v0, v[13:14]
	s_waitcnt lgkmcnt(0)
	s_barrier
	buffer_gl0_inv
	v_bfe_u32 v1, v18, 8, 1
	v_lshrrev_b32_e32 v2, 8, v18
	s_delay_alu instid0(VALU_DEP_2) | instskip(NEXT) | instid1(VALU_DEP_1)
	v_add_co_u32 v1, s9, v1, -1
	v_cndmask_b32_e64 v3, 0, 1, s9
	s_delay_alu instid0(VALU_DEP_3)
	v_lshlrev_b32_e32 v4, 30, v2
	v_lshlrev_b32_e32 v5, 29, v2
	;; [unrolled: 1-line block ×4, first 2 shown]
	v_cmp_ne_u32_e64 s9, 0, v3
	v_not_b32_e32 v3, v4
	v_cmp_gt_i32_e64 s10, 0, v4
	v_not_b32_e32 v4, v5
	v_lshlrev_b32_e32 v15, 26, v2
	v_xor_b32_e32 v1, s9, v1
	v_ashrrev_i32_e32 v3, 31, v3
	v_cmp_gt_i32_e64 s9, 0, v5
	v_not_b32_e32 v5, v6
	v_ashrrev_i32_e32 v4, 31, v4
	v_and_b32_e32 v1, exec_lo, v1
	v_xor_b32_e32 v3, s10, v3
	v_cmp_gt_i32_e64 s10, 0, v6
	v_not_b32_e32 v6, v7
	v_ashrrev_i32_e32 v5, 31, v5
	v_xor_b32_e32 v4, s9, v4
	v_and_b32_e32 v1, v1, v3
	v_lshlrev_b32_e32 v16, 25, v2
	v_cmp_gt_i32_e64 s9, 0, v7
	v_not_b32_e32 v3, v15
	v_ashrrev_i32_e32 v6, 31, v6
	v_xor_b32_e32 v5, s10, v5
	v_and_b32_e32 v1, v1, v4
	v_lshlrev_b32_e32 v2, 24, v2
	v_cmp_gt_i32_e64 s10, 0, v15
	v_not_b32_e32 v4, v16
	v_ashrrev_i32_e32 v3, 31, v3
	v_xor_b32_e32 v6, s9, v6
	v_and_b32_e32 v1, v1, v5
	v_cmp_gt_i32_e64 s9, 0, v16
	v_not_b32_e32 v5, v2
	v_ashrrev_i32_e32 v4, 31, v4
	v_xor_b32_e32 v3, s10, v3
	v_and_b32_e32 v1, v1, v6
	v_cmp_gt_i32_e64 s10, 0, v2
	v_ashrrev_i32_e32 v2, 31, v5
	v_xor_b32_e32 v4, s9, v4
	ds_load_b64 v[15:16], v25
	v_and_b32_e32 v1, v1, v3
	s_waitcnt lgkmcnt(0)
	v_xor_b32_e32 v0, s10, v2
	s_barrier
	buffer_gl0_inv
	v_and_b32_e32 v1, v1, v4
	ds_store_2addr_b64 v19, v[11:12], v[9:10] offset0:5 offset1:6
	ds_store_2addr_b64 v20, v[11:12], v[9:10] offset0:2 offset1:3
	s_waitcnt lgkmcnt(0)
	s_barrier
	buffer_gl0_inv
	v_and_b32_e32 v0, v1, v0
	v_bfe_u32 v1, v18, 8, 8
	; wave barrier
	s_delay_alu instid0(VALU_DEP_2) | instskip(NEXT) | instid1(VALU_DEP_2)
	v_mbcnt_lo_u32_b32 v13, v0, 0
	v_mad_u32_u24 v1, v1, 10, v26
	v_cmp_ne_u32_e64 s10, 0, v0
	s_delay_alu instid0(VALU_DEP_3) | instskip(NEXT) | instid1(VALU_DEP_3)
	v_cmp_eq_u32_e64 s9, 0, v13
	v_lshl_add_u32 v14, v1, 2, 40
	s_delay_alu instid0(VALU_DEP_2) | instskip(NEXT) | instid1(SALU_CYCLE_1)
	s_and_b32 s10, s10, s9
	s_and_saveexec_b32 s9, s10
	s_cbranch_execz .LBB369_12
; %bb.11:                               ;   in Loop: Header=BB369_2 Depth=1
	v_bcnt_u32_b32 v0, v0, 0
	ds_store_b32 v14, v0
.LBB369_12:                             ;   in Loop: Header=BB369_2 Depth=1
	s_or_b32 exec_lo, exec_lo, s9
	; wave barrier
	s_waitcnt lgkmcnt(0)
	s_barrier
	buffer_gl0_inv
	ds_load_2addr_b64 v[4:7], v19 offset0:5 offset1:6
	ds_load_2addr_b64 v[0:3], v20 offset0:2 offset1:3
	s_waitcnt lgkmcnt(1)
	v_add_nc_u32_e32 v28, v5, v4
	s_delay_alu instid0(VALU_DEP_1) | instskip(SKIP_1) | instid1(VALU_DEP_1)
	v_add3_u32 v28, v28, v6, v7
	s_waitcnt lgkmcnt(0)
	v_add3_u32 v28, v28, v0, v1
	s_delay_alu instid0(VALU_DEP_1) | instskip(NEXT) | instid1(VALU_DEP_1)
	v_add3_u32 v3, v28, v2, v3
	v_mov_b32_dpp v28, v3 row_shr:1 row_mask:0xf bank_mask:0xf
	s_delay_alu instid0(VALU_DEP_1) | instskip(NEXT) | instid1(VALU_DEP_1)
	v_cndmask_b32_e64 v28, v28, 0, s0
	v_add_nc_u32_e32 v3, v28, v3
	s_delay_alu instid0(VALU_DEP_1) | instskip(NEXT) | instid1(VALU_DEP_1)
	v_mov_b32_dpp v28, v3 row_shr:2 row_mask:0xf bank_mask:0xf
	v_cndmask_b32_e64 v28, 0, v28, s1
	s_delay_alu instid0(VALU_DEP_1) | instskip(NEXT) | instid1(VALU_DEP_1)
	v_add_nc_u32_e32 v3, v3, v28
	v_mov_b32_dpp v28, v3 row_shr:4 row_mask:0xf bank_mask:0xf
	s_delay_alu instid0(VALU_DEP_1) | instskip(NEXT) | instid1(VALU_DEP_1)
	v_cndmask_b32_e64 v28, 0, v28, s2
	v_add_nc_u32_e32 v3, v3, v28
	s_delay_alu instid0(VALU_DEP_1) | instskip(NEXT) | instid1(VALU_DEP_1)
	v_mov_b32_dpp v28, v3 row_shr:8 row_mask:0xf bank_mask:0xf
	v_cndmask_b32_e64 v28, 0, v28, s3
	s_delay_alu instid0(VALU_DEP_1) | instskip(SKIP_3) | instid1(VALU_DEP_1)
	v_add_nc_u32_e32 v3, v3, v28
	ds_swizzle_b32 v28, v3 offset:swizzle(BROADCAST,32,15)
	s_waitcnt lgkmcnt(0)
	v_cndmask_b32_e64 v28, v28, 0, s4
	v_add_nc_u32_e32 v3, v3, v28
	s_and_saveexec_b32 s9, s8
	s_cbranch_execz .LBB369_14
; %bb.13:                               ;   in Loop: Header=BB369_2 Depth=1
	ds_store_b32 v21, v3
.LBB369_14:                             ;   in Loop: Header=BB369_2 Depth=1
	s_or_b32 exec_lo, exec_lo, s9
	s_waitcnt lgkmcnt(0)
	s_barrier
	buffer_gl0_inv
	s_and_saveexec_b32 s9, s5
	s_cbranch_execz .LBB369_16
; %bb.15:                               ;   in Loop: Header=BB369_2 Depth=1
	ds_load_b32 v28, v23
	s_waitcnt lgkmcnt(0)
	v_mov_b32_dpp v29, v28 row_shr:1 row_mask:0xf bank_mask:0xf
	s_delay_alu instid0(VALU_DEP_1) | instskip(NEXT) | instid1(VALU_DEP_1)
	v_cndmask_b32_e64 v29, v29, 0, s0
	v_add_nc_u32_e32 v28, v29, v28
	s_delay_alu instid0(VALU_DEP_1) | instskip(NEXT) | instid1(VALU_DEP_1)
	v_mov_b32_dpp v29, v28 row_shr:2 row_mask:0xf bank_mask:0xf
	v_cndmask_b32_e64 v29, 0, v29, s1
	s_delay_alu instid0(VALU_DEP_1) | instskip(NEXT) | instid1(VALU_DEP_1)
	v_add_nc_u32_e32 v28, v28, v29
	v_mov_b32_dpp v29, v28 row_shr:4 row_mask:0xf bank_mask:0xf
	s_delay_alu instid0(VALU_DEP_1) | instskip(NEXT) | instid1(VALU_DEP_1)
	v_cndmask_b32_e64 v29, 0, v29, s2
	v_add_nc_u32_e32 v28, v28, v29
	s_delay_alu instid0(VALU_DEP_1) | instskip(NEXT) | instid1(VALU_DEP_1)
	v_mov_b32_dpp v29, v28 row_shr:8 row_mask:0xf bank_mask:0xf
	v_cndmask_b32_e64 v29, 0, v29, s3
	s_delay_alu instid0(VALU_DEP_1)
	v_add_nc_u32_e32 v28, v28, v29
	ds_store_b32 v23, v28
.LBB369_16:                             ;   in Loop: Header=BB369_2 Depth=1
	s_or_b32 exec_lo, exec_lo, s9
	v_mov_b32_e32 v28, 0
	s_waitcnt lgkmcnt(0)
	s_barrier
	buffer_gl0_inv
	s_and_saveexec_b32 s9, s6
	s_cbranch_execz .LBB369_18
; %bb.17:                               ;   in Loop: Header=BB369_2 Depth=1
	ds_load_b32 v28, v24
.LBB369_18:                             ;   in Loop: Header=BB369_2 Depth=1
	s_or_b32 exec_lo, exec_lo, s9
	s_waitcnt lgkmcnt(0)
	v_add_nc_u32_e32 v3, v28, v3
	ds_bpermute_b32 v3, v22, v3
	s_waitcnt lgkmcnt(0)
	v_cndmask_b32_e32 v3, v3, v28, vcc_lo
	s_delay_alu instid0(VALU_DEP_1) | instskip(NEXT) | instid1(VALU_DEP_1)
	v_cndmask_b32_e64 v3, v3, 0, s7
	v_add_nc_u32_e32 v4, v3, v4
	s_delay_alu instid0(VALU_DEP_1) | instskip(NEXT) | instid1(VALU_DEP_1)
	v_add_nc_u32_e32 v5, v4, v5
	v_add_nc_u32_e32 v6, v5, v6
	s_delay_alu instid0(VALU_DEP_1) | instskip(NEXT) | instid1(VALU_DEP_1)
	v_add_nc_u32_e32 v28, v6, v7
	;; [unrolled: 3-line block ×3, first 2 shown]
	v_add_nc_u32_e32 v1, v0, v2
	ds_store_2addr_b64 v19, v[3:4], v[5:6] offset0:5 offset1:6
	ds_store_2addr_b64 v20, v[28:29], v[0:1] offset0:2 offset1:3
	s_waitcnt lgkmcnt(0)
	s_barrier
	buffer_gl0_inv
	ds_load_b32 v0, v14
	v_lshlrev_b32_e32 v1, 3, v13
	s_waitcnt lgkmcnt(0)
	s_barrier
	buffer_gl0_inv
	v_lshl_add_u32 v0, v0, 3, v1
	v_dual_mov_b32 v1, s20 :: v_dual_mov_b32 v2, s21
	ds_store_b64 v0, v[17:18]
	s_waitcnt lgkmcnt(0)
	s_barrier
	buffer_gl0_inv
	ds_load_b64 v[13:14], v25
	s_waitcnt lgkmcnt(0)
	s_barrier
	buffer_gl0_inv
	ds_store_b64 v0, v[15:16]
	s_waitcnt lgkmcnt(0)
	s_barrier
	buffer_gl0_inv
	ds_load_b64 v[15:16], v25
	s_waitcnt lgkmcnt(0)
	s_barrier
	buffer_gl0_inv
	v_bfe_u32 v3, v14, 16, 1
	v_lshrrev_b32_e32 v4, 16, v14
	s_delay_alu instid0(VALU_DEP_2) | instskip(NEXT) | instid1(VALU_DEP_1)
	v_add_co_u32 v3, s9, v3, -1
	v_cndmask_b32_e64 v5, 0, 1, s9
	s_delay_alu instid0(VALU_DEP_3)
	v_lshlrev_b32_e32 v6, 30, v4
	v_lshlrev_b32_e32 v7, 29, v4
	;; [unrolled: 1-line block ×4, first 2 shown]
	v_cmp_ne_u32_e64 s9, 0, v5
	v_not_b32_e32 v5, v6
	v_cmp_gt_i32_e64 s10, 0, v6
	v_not_b32_e32 v6, v7
	v_lshlrev_b32_e32 v28, 26, v4
	v_xor_b32_e32 v3, s9, v3
	v_ashrrev_i32_e32 v5, 31, v5
	v_cmp_gt_i32_e64 s9, 0, v7
	v_not_b32_e32 v7, v17
	v_ashrrev_i32_e32 v6, 31, v6
	v_and_b32_e32 v3, exec_lo, v3
	v_xor_b32_e32 v5, s10, v5
	v_cmp_gt_i32_e64 s10, 0, v17
	v_not_b32_e32 v17, v18
	v_ashrrev_i32_e32 v7, 31, v7
	v_xor_b32_e32 v6, s9, v6
	v_and_b32_e32 v3, v3, v5
	v_lshlrev_b32_e32 v29, 25, v4
	v_cmp_gt_i32_e64 s9, 0, v18
	v_not_b32_e32 v5, v28
	v_ashrrev_i32_e32 v17, 31, v17
	v_xor_b32_e32 v7, s10, v7
	v_and_b32_e32 v3, v3, v6
	v_lshlrev_b32_e32 v4, 24, v4
	v_cmp_gt_i32_e64 s10, 0, v28
	v_not_b32_e32 v6, v29
	v_ashrrev_i32_e32 v5, 31, v5
	v_xor_b32_e32 v17, s9, v17
	v_and_b32_e32 v3, v3, v7
	v_cmp_gt_i32_e64 s9, 0, v29
	v_not_b32_e32 v7, v4
	v_ashrrev_i32_e32 v6, 31, v6
	v_xor_b32_e32 v5, s10, v5
	v_and_b32_e32 v3, v3, v17
	v_cmp_gt_i32_e64 s10, 0, v4
	v_ashrrev_i32_e32 v4, 31, v7
	v_xor_b32_e32 v6, s9, v6
	s_delay_alu instid0(VALU_DEP_4) | instskip(NEXT) | instid1(VALU_DEP_3)
	v_and_b32_e32 v3, v3, v5
	v_xor_b32_e32 v0, s10, v4
	s_delay_alu instid0(VALU_DEP_2)
	v_and_b32_e32 v5, v3, v6
	v_dual_mov_b32 v3, s14 :: v_dual_mov_b32 v4, s15
	ds_store_2addr_b64 v19, v[1:2], v[3:4] offset0:5 offset1:6
	ds_store_2addr_b64 v20, v[1:2], v[3:4] offset0:2 offset1:3
	v_and_b32_e32 v0, v5, v0
	v_bfe_u32 v5, v14, 16, 8
	s_waitcnt lgkmcnt(0)
	s_barrier
	buffer_gl0_inv
	v_mbcnt_lo_u32_b32 v17, v0, 0
	v_mad_u32_u24 v1, v5, 10, v26
	v_cmp_ne_u32_e64 s10, 0, v0
	; wave barrier
	s_delay_alu instid0(VALU_DEP_3) | instskip(NEXT) | instid1(VALU_DEP_3)
	v_cmp_eq_u32_e64 s9, 0, v17
	v_lshl_add_u32 v18, v1, 2, 40
	s_delay_alu instid0(VALU_DEP_2) | instskip(NEXT) | instid1(SALU_CYCLE_1)
	s_and_b32 s10, s10, s9
	s_and_saveexec_b32 s9, s10
	s_cbranch_execz .LBB369_20
; %bb.19:                               ;   in Loop: Header=BB369_2 Depth=1
	v_bcnt_u32_b32 v0, v0, 0
	ds_store_b32 v18, v0
.LBB369_20:                             ;   in Loop: Header=BB369_2 Depth=1
	s_or_b32 exec_lo, exec_lo, s9
	; wave barrier
	s_waitcnt lgkmcnt(0)
	s_barrier
	buffer_gl0_inv
	ds_load_2addr_b64 v[4:7], v19 offset0:5 offset1:6
	ds_load_2addr_b64 v[0:3], v20 offset0:2 offset1:3
	s_waitcnt lgkmcnt(1)
	v_add_nc_u32_e32 v28, v5, v4
	s_delay_alu instid0(VALU_DEP_1) | instskip(SKIP_1) | instid1(VALU_DEP_1)
	v_add3_u32 v28, v28, v6, v7
	s_waitcnt lgkmcnt(0)
	v_add3_u32 v28, v28, v0, v1
	s_delay_alu instid0(VALU_DEP_1) | instskip(NEXT) | instid1(VALU_DEP_1)
	v_add3_u32 v3, v28, v2, v3
	v_mov_b32_dpp v28, v3 row_shr:1 row_mask:0xf bank_mask:0xf
	s_delay_alu instid0(VALU_DEP_1) | instskip(NEXT) | instid1(VALU_DEP_1)
	v_cndmask_b32_e64 v28, v28, 0, s0
	v_add_nc_u32_e32 v3, v28, v3
	s_delay_alu instid0(VALU_DEP_1) | instskip(NEXT) | instid1(VALU_DEP_1)
	v_mov_b32_dpp v28, v3 row_shr:2 row_mask:0xf bank_mask:0xf
	v_cndmask_b32_e64 v28, 0, v28, s1
	s_delay_alu instid0(VALU_DEP_1) | instskip(NEXT) | instid1(VALU_DEP_1)
	v_add_nc_u32_e32 v3, v3, v28
	v_mov_b32_dpp v28, v3 row_shr:4 row_mask:0xf bank_mask:0xf
	s_delay_alu instid0(VALU_DEP_1) | instskip(NEXT) | instid1(VALU_DEP_1)
	v_cndmask_b32_e64 v28, 0, v28, s2
	v_add_nc_u32_e32 v3, v3, v28
	s_delay_alu instid0(VALU_DEP_1) | instskip(NEXT) | instid1(VALU_DEP_1)
	v_mov_b32_dpp v28, v3 row_shr:8 row_mask:0xf bank_mask:0xf
	v_cndmask_b32_e64 v28, 0, v28, s3
	s_delay_alu instid0(VALU_DEP_1) | instskip(SKIP_3) | instid1(VALU_DEP_1)
	v_add_nc_u32_e32 v3, v3, v28
	ds_swizzle_b32 v28, v3 offset:swizzle(BROADCAST,32,15)
	s_waitcnt lgkmcnt(0)
	v_cndmask_b32_e64 v28, v28, 0, s4
	v_add_nc_u32_e32 v3, v3, v28
	s_and_saveexec_b32 s9, s8
	s_cbranch_execz .LBB369_22
; %bb.21:                               ;   in Loop: Header=BB369_2 Depth=1
	ds_store_b32 v21, v3
.LBB369_22:                             ;   in Loop: Header=BB369_2 Depth=1
	s_or_b32 exec_lo, exec_lo, s9
	s_waitcnt lgkmcnt(0)
	s_barrier
	buffer_gl0_inv
	s_and_saveexec_b32 s9, s5
	s_cbranch_execz .LBB369_24
; %bb.23:                               ;   in Loop: Header=BB369_2 Depth=1
	ds_load_b32 v28, v23
	s_waitcnt lgkmcnt(0)
	v_mov_b32_dpp v29, v28 row_shr:1 row_mask:0xf bank_mask:0xf
	s_delay_alu instid0(VALU_DEP_1) | instskip(NEXT) | instid1(VALU_DEP_1)
	v_cndmask_b32_e64 v29, v29, 0, s0
	v_add_nc_u32_e32 v28, v29, v28
	s_delay_alu instid0(VALU_DEP_1) | instskip(NEXT) | instid1(VALU_DEP_1)
	v_mov_b32_dpp v29, v28 row_shr:2 row_mask:0xf bank_mask:0xf
	v_cndmask_b32_e64 v29, 0, v29, s1
	s_delay_alu instid0(VALU_DEP_1) | instskip(NEXT) | instid1(VALU_DEP_1)
	v_add_nc_u32_e32 v28, v28, v29
	v_mov_b32_dpp v29, v28 row_shr:4 row_mask:0xf bank_mask:0xf
	s_delay_alu instid0(VALU_DEP_1) | instskip(NEXT) | instid1(VALU_DEP_1)
	v_cndmask_b32_e64 v29, 0, v29, s2
	v_add_nc_u32_e32 v28, v28, v29
	s_delay_alu instid0(VALU_DEP_1) | instskip(NEXT) | instid1(VALU_DEP_1)
	v_mov_b32_dpp v29, v28 row_shr:8 row_mask:0xf bank_mask:0xf
	v_cndmask_b32_e64 v29, 0, v29, s3
	s_delay_alu instid0(VALU_DEP_1)
	v_add_nc_u32_e32 v28, v28, v29
	ds_store_b32 v23, v28
.LBB369_24:                             ;   in Loop: Header=BB369_2 Depth=1
	s_or_b32 exec_lo, exec_lo, s9
	v_mov_b32_e32 v28, 0
	s_waitcnt lgkmcnt(0)
	s_barrier
	buffer_gl0_inv
	s_and_saveexec_b32 s9, s6
	s_cbranch_execz .LBB369_26
; %bb.25:                               ;   in Loop: Header=BB369_2 Depth=1
	ds_load_b32 v28, v24
.LBB369_26:                             ;   in Loop: Header=BB369_2 Depth=1
	s_or_b32 exec_lo, exec_lo, s9
	s_waitcnt lgkmcnt(0)
	v_add_nc_u32_e32 v3, v28, v3
	ds_bpermute_b32 v3, v22, v3
	s_waitcnt lgkmcnt(0)
	v_cndmask_b32_e32 v3, v3, v28, vcc_lo
	s_delay_alu instid0(VALU_DEP_1) | instskip(NEXT) | instid1(VALU_DEP_1)
	v_cndmask_b32_e64 v3, v3, 0, s7
	v_add_nc_u32_e32 v4, v3, v4
	s_delay_alu instid0(VALU_DEP_1) | instskip(NEXT) | instid1(VALU_DEP_1)
	v_add_nc_u32_e32 v5, v4, v5
	v_add_nc_u32_e32 v6, v5, v6
	s_delay_alu instid0(VALU_DEP_1) | instskip(NEXT) | instid1(VALU_DEP_1)
	v_add_nc_u32_e32 v28, v6, v7
	;; [unrolled: 3-line block ×3, first 2 shown]
	v_add_nc_u32_e32 v1, v0, v2
	ds_store_2addr_b64 v19, v[3:4], v[5:6] offset0:5 offset1:6
	ds_store_2addr_b64 v20, v[28:29], v[0:1] offset0:2 offset1:3
	s_waitcnt lgkmcnt(0)
	s_barrier
	buffer_gl0_inv
	ds_load_b32 v0, v18
	v_lshlrev_b32_e32 v1, 3, v17
	s_waitcnt lgkmcnt(0)
	s_barrier
	buffer_gl0_inv
	v_lshl_add_u32 v0, v0, 3, v1
	ds_store_b64 v0, v[13:14]
	s_waitcnt lgkmcnt(0)
	s_barrier
	buffer_gl0_inv
	ds_load_b64 v[13:14], v25
	s_waitcnt lgkmcnt(0)
	s_barrier
	buffer_gl0_inv
	ds_store_b64 v0, v[15:16]
	s_waitcnt lgkmcnt(0)
	s_barrier
	buffer_gl0_inv
	ds_load_b64 v[15:16], v25
	s_waitcnt lgkmcnt(0)
	s_barrier
	buffer_gl0_inv
	v_bfe_u32 v1, v14, 24, 1
	v_lshrrev_b32_e32 v5, 24, v14
	s_delay_alu instid0(VALU_DEP_2) | instskip(NEXT) | instid1(VALU_DEP_1)
	v_add_co_u32 v1, s9, v1, -1
	v_cndmask_b32_e64 v2, 0, 1, s9
	s_delay_alu instid0(VALU_DEP_3)
	v_lshlrev_b32_e32 v3, 30, v5
	v_lshlrev_b32_e32 v4, 29, v5
	;; [unrolled: 1-line block ×4, first 2 shown]
	v_cmp_ne_u32_e64 s9, 0, v2
	v_not_b32_e32 v2, v3
	v_cmp_gt_i32_e64 s10, 0, v3
	v_not_b32_e32 v3, v4
	v_lshlrev_b32_e32 v17, 26, v5
	v_xor_b32_e32 v1, s9, v1
	v_ashrrev_i32_e32 v2, 31, v2
	v_cmp_gt_i32_e64 s9, 0, v4
	v_not_b32_e32 v4, v6
	v_ashrrev_i32_e32 v3, 31, v3
	v_and_b32_e32 v1, exec_lo, v1
	v_xor_b32_e32 v2, s10, v2
	v_cmp_gt_i32_e64 s10, 0, v6
	v_not_b32_e32 v6, v7
	v_ashrrev_i32_e32 v4, 31, v4
	v_xor_b32_e32 v3, s9, v3
	v_and_b32_e32 v1, v1, v2
	v_lshlrev_b32_e32 v18, 25, v5
	v_cmp_gt_i32_e64 s9, 0, v7
	v_not_b32_e32 v2, v17
	v_ashrrev_i32_e32 v6, 31, v6
	v_xor_b32_e32 v4, s10, v4
	v_and_b32_e32 v1, v1, v3
	v_cmp_gt_i32_e64 s10, 0, v17
	v_not_b32_e32 v3, v18
	v_ashrrev_i32_e32 v2, 31, v2
	v_xor_b32_e32 v6, s9, v6
	v_and_b32_e32 v1, v1, v4
	v_not_b32_e32 v4, v14
	v_cmp_gt_i32_e64 s9, 0, v18
	v_ashrrev_i32_e32 v3, 31, v3
	v_xor_b32_e32 v2, s10, v2
	v_and_b32_e32 v1, v1, v6
	v_cmp_gt_i32_e64 s10, 0, v14
	v_ashrrev_i32_e32 v4, 31, v4
	v_xor_b32_e32 v3, s9, v3
	s_delay_alu instid0(VALU_DEP_4) | instskip(NEXT) | instid1(VALU_DEP_3)
	v_and_b32_e32 v1, v1, v2
	v_xor_b32_e32 v0, s10, v4
	s_delay_alu instid0(VALU_DEP_2) | instskip(SKIP_1) | instid1(VALU_DEP_2)
	v_and_b32_e32 v3, v1, v3
	v_dual_mov_b32 v1, s20 :: v_dual_mov_b32 v2, s21
	v_dual_mov_b32 v3, s14 :: v_dual_and_b32 v0, v3, v0
	v_mov_b32_e32 v4, s15
	ds_store_2addr_b64 v19, v[1:2], v[3:4] offset0:5 offset1:6
	ds_store_2addr_b64 v20, v[1:2], v[3:4] offset0:2 offset1:3
	v_mbcnt_lo_u32_b32 v17, v0, 0
	v_mad_u32_u24 v1, v5, 10, v26
	v_cmp_ne_u32_e64 s10, 0, v0
	s_waitcnt lgkmcnt(0)
	s_barrier
	v_cmp_eq_u32_e64 s9, 0, v17
	v_lshl_add_u32 v18, v1, 2, 40
	buffer_gl0_inv
	; wave barrier
	s_and_b32 s10, s10, s9
	s_delay_alu instid0(SALU_CYCLE_1)
	s_and_saveexec_b32 s9, s10
	s_cbranch_execz .LBB369_28
; %bb.27:                               ;   in Loop: Header=BB369_2 Depth=1
	v_bcnt_u32_b32 v0, v0, 0
	ds_store_b32 v18, v0
.LBB369_28:                             ;   in Loop: Header=BB369_2 Depth=1
	s_or_b32 exec_lo, exec_lo, s9
	; wave barrier
	s_waitcnt lgkmcnt(0)
	s_barrier
	buffer_gl0_inv
	ds_load_2addr_b64 v[4:7], v19 offset0:5 offset1:6
	ds_load_2addr_b64 v[0:3], v20 offset0:2 offset1:3
	s_waitcnt lgkmcnt(1)
	v_add_nc_u32_e32 v28, v5, v4
	s_delay_alu instid0(VALU_DEP_1) | instskip(SKIP_1) | instid1(VALU_DEP_1)
	v_add3_u32 v28, v28, v6, v7
	s_waitcnt lgkmcnt(0)
	v_add3_u32 v28, v28, v0, v1
	s_delay_alu instid0(VALU_DEP_1) | instskip(NEXT) | instid1(VALU_DEP_1)
	v_add3_u32 v3, v28, v2, v3
	v_mov_b32_dpp v28, v3 row_shr:1 row_mask:0xf bank_mask:0xf
	s_delay_alu instid0(VALU_DEP_1) | instskip(NEXT) | instid1(VALU_DEP_1)
	v_cndmask_b32_e64 v28, v28, 0, s0
	v_add_nc_u32_e32 v3, v28, v3
	s_delay_alu instid0(VALU_DEP_1) | instskip(NEXT) | instid1(VALU_DEP_1)
	v_mov_b32_dpp v28, v3 row_shr:2 row_mask:0xf bank_mask:0xf
	v_cndmask_b32_e64 v28, 0, v28, s1
	s_delay_alu instid0(VALU_DEP_1) | instskip(NEXT) | instid1(VALU_DEP_1)
	v_add_nc_u32_e32 v3, v3, v28
	v_mov_b32_dpp v28, v3 row_shr:4 row_mask:0xf bank_mask:0xf
	s_delay_alu instid0(VALU_DEP_1) | instskip(NEXT) | instid1(VALU_DEP_1)
	v_cndmask_b32_e64 v28, 0, v28, s2
	v_add_nc_u32_e32 v3, v3, v28
	s_delay_alu instid0(VALU_DEP_1) | instskip(NEXT) | instid1(VALU_DEP_1)
	v_mov_b32_dpp v28, v3 row_shr:8 row_mask:0xf bank_mask:0xf
	v_cndmask_b32_e64 v28, 0, v28, s3
	s_delay_alu instid0(VALU_DEP_1) | instskip(SKIP_3) | instid1(VALU_DEP_1)
	v_add_nc_u32_e32 v3, v3, v28
	ds_swizzle_b32 v28, v3 offset:swizzle(BROADCAST,32,15)
	s_waitcnt lgkmcnt(0)
	v_cndmask_b32_e64 v28, v28, 0, s4
	v_add_nc_u32_e32 v3, v3, v28
	s_and_saveexec_b32 s9, s8
	s_cbranch_execz .LBB369_30
; %bb.29:                               ;   in Loop: Header=BB369_2 Depth=1
	ds_store_b32 v21, v3
.LBB369_30:                             ;   in Loop: Header=BB369_2 Depth=1
	s_or_b32 exec_lo, exec_lo, s9
	s_waitcnt lgkmcnt(0)
	s_barrier
	buffer_gl0_inv
	s_and_saveexec_b32 s9, s5
	s_cbranch_execz .LBB369_32
; %bb.31:                               ;   in Loop: Header=BB369_2 Depth=1
	ds_load_b32 v28, v23
	s_waitcnt lgkmcnt(0)
	v_mov_b32_dpp v29, v28 row_shr:1 row_mask:0xf bank_mask:0xf
	s_delay_alu instid0(VALU_DEP_1) | instskip(NEXT) | instid1(VALU_DEP_1)
	v_cndmask_b32_e64 v29, v29, 0, s0
	v_add_nc_u32_e32 v28, v29, v28
	s_delay_alu instid0(VALU_DEP_1) | instskip(NEXT) | instid1(VALU_DEP_1)
	v_mov_b32_dpp v29, v28 row_shr:2 row_mask:0xf bank_mask:0xf
	v_cndmask_b32_e64 v29, 0, v29, s1
	s_delay_alu instid0(VALU_DEP_1) | instskip(NEXT) | instid1(VALU_DEP_1)
	v_add_nc_u32_e32 v28, v28, v29
	v_mov_b32_dpp v29, v28 row_shr:4 row_mask:0xf bank_mask:0xf
	s_delay_alu instid0(VALU_DEP_1) | instskip(NEXT) | instid1(VALU_DEP_1)
	v_cndmask_b32_e64 v29, 0, v29, s2
	v_add_nc_u32_e32 v28, v28, v29
	s_delay_alu instid0(VALU_DEP_1) | instskip(NEXT) | instid1(VALU_DEP_1)
	v_mov_b32_dpp v29, v28 row_shr:8 row_mask:0xf bank_mask:0xf
	v_cndmask_b32_e64 v29, 0, v29, s3
	s_delay_alu instid0(VALU_DEP_1)
	v_add_nc_u32_e32 v28, v28, v29
	ds_store_b32 v23, v28
.LBB369_32:                             ;   in Loop: Header=BB369_2 Depth=1
	s_or_b32 exec_lo, exec_lo, s9
	v_mov_b32_e32 v28, 0
	s_waitcnt lgkmcnt(0)
	s_barrier
	buffer_gl0_inv
	s_and_saveexec_b32 s9, s6
	s_cbranch_execz .LBB369_34
; %bb.33:                               ;   in Loop: Header=BB369_2 Depth=1
	ds_load_b32 v28, v24
.LBB369_34:                             ;   in Loop: Header=BB369_2 Depth=1
	s_or_b32 exec_lo, exec_lo, s9
	s_waitcnt lgkmcnt(0)
	v_add_nc_u32_e32 v3, v28, v3
	ds_bpermute_b32 v3, v22, v3
	s_waitcnt lgkmcnt(0)
	v_cndmask_b32_e32 v3, v3, v28, vcc_lo
	s_delay_alu instid0(VALU_DEP_1) | instskip(NEXT) | instid1(VALU_DEP_1)
	v_cndmask_b32_e64 v3, v3, 0, s7
	v_add_nc_u32_e32 v4, v3, v4
	s_delay_alu instid0(VALU_DEP_1) | instskip(NEXT) | instid1(VALU_DEP_1)
	v_add_nc_u32_e32 v5, v4, v5
	v_add_nc_u32_e32 v6, v5, v6
	s_delay_alu instid0(VALU_DEP_1) | instskip(NEXT) | instid1(VALU_DEP_1)
	v_add_nc_u32_e32 v28, v6, v7
	;; [unrolled: 3-line block ×3, first 2 shown]
	v_add_nc_u32_e32 v1, v0, v2
	ds_store_2addr_b64 v19, v[3:4], v[5:6] offset0:5 offset1:6
	ds_store_2addr_b64 v20, v[28:29], v[0:1] offset0:2 offset1:3
	s_waitcnt lgkmcnt(0)
	s_barrier
	buffer_gl0_inv
	ds_load_b32 v0, v18
	v_lshlrev_b32_e32 v1, 3, v17
	s_waitcnt lgkmcnt(0)
	s_barrier
	buffer_gl0_inv
	v_lshl_add_u32 v0, v0, 3, v1
	v_dual_mov_b32 v1, s20 :: v_dual_mov_b32 v2, s21
	ds_store_b64 v0, v[13:14]
	s_waitcnt lgkmcnt(0)
	s_barrier
	buffer_gl0_inv
	ds_load_b64 v[13:14], v25
	s_waitcnt lgkmcnt(0)
	s_barrier
	buffer_gl0_inv
	ds_store_b64 v0, v[15:16]
	s_waitcnt lgkmcnt(0)
	s_barrier
	buffer_gl0_inv
	ds_load_b64 v[15:16], v25
	s_waitcnt lgkmcnt(0)
	s_barrier
	buffer_gl0_inv
	v_and_b32_e32 v3, 1, v13
	v_lshlrev_b32_e32 v4, 30, v13
	v_lshlrev_b32_e32 v5, 29, v13
	;; [unrolled: 1-line block ×4, first 2 shown]
	v_add_co_u32 v3, s9, v3, -1
	s_delay_alu instid0(VALU_DEP_1)
	v_cndmask_b32_e64 v7, 0, 1, s9
	v_not_b32_e32 v29, v4
	v_cmp_gt_i32_e64 s10, 0, v4
	v_not_b32_e32 v4, v5
	v_lshlrev_b32_e32 v18, 26, v13
	v_cmp_ne_u32_e64 s9, 0, v7
	v_ashrrev_i32_e32 v29, 31, v29
	v_lshlrev_b32_e32 v28, 25, v13
	v_ashrrev_i32_e32 v4, 31, v4
	v_lshlrev_b32_e32 v7, 24, v13
	v_xor_b32_e32 v3, s9, v3
	v_cmp_gt_i32_e64 s9, 0, v5
	v_not_b32_e32 v5, v6
	v_xor_b32_e32 v29, s10, v29
	v_cmp_gt_i32_e64 s10, 0, v6
	v_and_b32_e32 v3, exec_lo, v3
	v_not_b32_e32 v6, v17
	v_ashrrev_i32_e32 v5, 31, v5
	v_xor_b32_e32 v4, s9, v4
	v_cmp_gt_i32_e64 s9, 0, v17
	v_and_b32_e32 v3, v3, v29
	v_not_b32_e32 v17, v18
	v_ashrrev_i32_e32 v6, 31, v6
	v_xor_b32_e32 v5, s10, v5
	v_cmp_gt_i32_e64 s10, 0, v18
	v_and_b32_e32 v3, v3, v4
	v_not_b32_e32 v4, v28
	v_ashrrev_i32_e32 v17, 31, v17
	v_xor_b32_e32 v6, s9, v6
	v_cmp_gt_i32_e64 s9, 0, v28
	v_and_b32_e32 v3, v3, v5
	v_not_b32_e32 v5, v7
	v_ashrrev_i32_e32 v4, 31, v4
	v_xor_b32_e32 v17, s10, v17
	v_cmp_gt_i32_e64 s10, 0, v7
	v_and_b32_e32 v3, v3, v6
	v_ashrrev_i32_e32 v5, 31, v5
	v_xor_b32_e32 v4, s9, v4
	s_delay_alu instid0(VALU_DEP_3) | instskip(NEXT) | instid1(VALU_DEP_3)
	v_and_b32_e32 v3, v3, v17
	v_xor_b32_e32 v0, s10, v5
	s_delay_alu instid0(VALU_DEP_2)
	v_and_b32_e32 v5, v3, v4
	v_dual_mov_b32 v3, s14 :: v_dual_mov_b32 v4, s15
	ds_store_2addr_b64 v19, v[1:2], v[3:4] offset0:5 offset1:6
	ds_store_2addr_b64 v20, v[1:2], v[3:4] offset0:2 offset1:3
	v_and_b32_e32 v0, v5, v0
	v_and_b32_e32 v5, 0xff, v13
	s_waitcnt lgkmcnt(0)
	s_barrier
	buffer_gl0_inv
	v_mbcnt_lo_u32_b32 v17, v0, 0
	v_mad_u32_u24 v1, v5, 10, v26
	v_cmp_ne_u32_e64 s10, 0, v0
	; wave barrier
	s_delay_alu instid0(VALU_DEP_3) | instskip(NEXT) | instid1(VALU_DEP_3)
	v_cmp_eq_u32_e64 s9, 0, v17
	v_lshl_add_u32 v18, v1, 2, 40
	s_delay_alu instid0(VALU_DEP_2) | instskip(NEXT) | instid1(SALU_CYCLE_1)
	s_and_b32 s10, s10, s9
	s_and_saveexec_b32 s9, s10
	s_cbranch_execz .LBB369_36
; %bb.35:                               ;   in Loop: Header=BB369_2 Depth=1
	v_bcnt_u32_b32 v0, v0, 0
	ds_store_b32 v18, v0
.LBB369_36:                             ;   in Loop: Header=BB369_2 Depth=1
	s_or_b32 exec_lo, exec_lo, s9
	; wave barrier
	s_waitcnt lgkmcnt(0)
	s_barrier
	buffer_gl0_inv
	ds_load_2addr_b64 v[4:7], v19 offset0:5 offset1:6
	ds_load_2addr_b64 v[0:3], v20 offset0:2 offset1:3
	s_waitcnt lgkmcnt(1)
	v_add_nc_u32_e32 v28, v5, v4
	s_delay_alu instid0(VALU_DEP_1) | instskip(SKIP_1) | instid1(VALU_DEP_1)
	v_add3_u32 v28, v28, v6, v7
	s_waitcnt lgkmcnt(0)
	v_add3_u32 v28, v28, v0, v1
	s_delay_alu instid0(VALU_DEP_1) | instskip(NEXT) | instid1(VALU_DEP_1)
	v_add3_u32 v3, v28, v2, v3
	v_mov_b32_dpp v28, v3 row_shr:1 row_mask:0xf bank_mask:0xf
	s_delay_alu instid0(VALU_DEP_1) | instskip(NEXT) | instid1(VALU_DEP_1)
	v_cndmask_b32_e64 v28, v28, 0, s0
	v_add_nc_u32_e32 v3, v28, v3
	s_delay_alu instid0(VALU_DEP_1) | instskip(NEXT) | instid1(VALU_DEP_1)
	v_mov_b32_dpp v28, v3 row_shr:2 row_mask:0xf bank_mask:0xf
	v_cndmask_b32_e64 v28, 0, v28, s1
	s_delay_alu instid0(VALU_DEP_1) | instskip(NEXT) | instid1(VALU_DEP_1)
	v_add_nc_u32_e32 v3, v3, v28
	v_mov_b32_dpp v28, v3 row_shr:4 row_mask:0xf bank_mask:0xf
	s_delay_alu instid0(VALU_DEP_1) | instskip(NEXT) | instid1(VALU_DEP_1)
	v_cndmask_b32_e64 v28, 0, v28, s2
	v_add_nc_u32_e32 v3, v3, v28
	s_delay_alu instid0(VALU_DEP_1) | instskip(NEXT) | instid1(VALU_DEP_1)
	v_mov_b32_dpp v28, v3 row_shr:8 row_mask:0xf bank_mask:0xf
	v_cndmask_b32_e64 v28, 0, v28, s3
	s_delay_alu instid0(VALU_DEP_1) | instskip(SKIP_3) | instid1(VALU_DEP_1)
	v_add_nc_u32_e32 v3, v3, v28
	ds_swizzle_b32 v28, v3 offset:swizzle(BROADCAST,32,15)
	s_waitcnt lgkmcnt(0)
	v_cndmask_b32_e64 v28, v28, 0, s4
	v_add_nc_u32_e32 v3, v3, v28
	s_and_saveexec_b32 s9, s8
	s_cbranch_execz .LBB369_38
; %bb.37:                               ;   in Loop: Header=BB369_2 Depth=1
	ds_store_b32 v21, v3
.LBB369_38:                             ;   in Loop: Header=BB369_2 Depth=1
	s_or_b32 exec_lo, exec_lo, s9
	s_waitcnt lgkmcnt(0)
	s_barrier
	buffer_gl0_inv
	s_and_saveexec_b32 s9, s5
	s_cbranch_execz .LBB369_40
; %bb.39:                               ;   in Loop: Header=BB369_2 Depth=1
	ds_load_b32 v28, v23
	s_waitcnt lgkmcnt(0)
	v_mov_b32_dpp v29, v28 row_shr:1 row_mask:0xf bank_mask:0xf
	s_delay_alu instid0(VALU_DEP_1) | instskip(NEXT) | instid1(VALU_DEP_1)
	v_cndmask_b32_e64 v29, v29, 0, s0
	v_add_nc_u32_e32 v28, v29, v28
	s_delay_alu instid0(VALU_DEP_1) | instskip(NEXT) | instid1(VALU_DEP_1)
	v_mov_b32_dpp v29, v28 row_shr:2 row_mask:0xf bank_mask:0xf
	v_cndmask_b32_e64 v29, 0, v29, s1
	s_delay_alu instid0(VALU_DEP_1) | instskip(NEXT) | instid1(VALU_DEP_1)
	v_add_nc_u32_e32 v28, v28, v29
	v_mov_b32_dpp v29, v28 row_shr:4 row_mask:0xf bank_mask:0xf
	s_delay_alu instid0(VALU_DEP_1) | instskip(NEXT) | instid1(VALU_DEP_1)
	v_cndmask_b32_e64 v29, 0, v29, s2
	v_add_nc_u32_e32 v28, v28, v29
	s_delay_alu instid0(VALU_DEP_1) | instskip(NEXT) | instid1(VALU_DEP_1)
	v_mov_b32_dpp v29, v28 row_shr:8 row_mask:0xf bank_mask:0xf
	v_cndmask_b32_e64 v29, 0, v29, s3
	s_delay_alu instid0(VALU_DEP_1)
	v_add_nc_u32_e32 v28, v28, v29
	ds_store_b32 v23, v28
.LBB369_40:                             ;   in Loop: Header=BB369_2 Depth=1
	s_or_b32 exec_lo, exec_lo, s9
	v_mov_b32_e32 v28, 0
	s_waitcnt lgkmcnt(0)
	s_barrier
	buffer_gl0_inv
	s_and_saveexec_b32 s9, s6
	s_cbranch_execz .LBB369_42
; %bb.41:                               ;   in Loop: Header=BB369_2 Depth=1
	ds_load_b32 v28, v24
.LBB369_42:                             ;   in Loop: Header=BB369_2 Depth=1
	s_or_b32 exec_lo, exec_lo, s9
	s_waitcnt lgkmcnt(0)
	v_add_nc_u32_e32 v3, v28, v3
	ds_bpermute_b32 v3, v22, v3
	s_waitcnt lgkmcnt(0)
	v_cndmask_b32_e32 v3, v3, v28, vcc_lo
	s_delay_alu instid0(VALU_DEP_1) | instskip(NEXT) | instid1(VALU_DEP_1)
	v_cndmask_b32_e64 v3, v3, 0, s7
	v_add_nc_u32_e32 v4, v3, v4
	s_delay_alu instid0(VALU_DEP_1) | instskip(NEXT) | instid1(VALU_DEP_1)
	v_add_nc_u32_e32 v5, v4, v5
	v_add_nc_u32_e32 v6, v5, v6
	s_delay_alu instid0(VALU_DEP_1) | instskip(NEXT) | instid1(VALU_DEP_1)
	v_add_nc_u32_e32 v28, v6, v7
	v_add_nc_u32_e32 v29, v28, v0
	s_delay_alu instid0(VALU_DEP_1) | instskip(NEXT) | instid1(VALU_DEP_1)
	v_add_nc_u32_e32 v0, v29, v1
	v_add_nc_u32_e32 v1, v0, v2
	ds_store_2addr_b64 v19, v[3:4], v[5:6] offset0:5 offset1:6
	ds_store_2addr_b64 v20, v[28:29], v[0:1] offset0:2 offset1:3
	s_waitcnt lgkmcnt(0)
	s_barrier
	buffer_gl0_inv
	ds_load_b32 v0, v18
	v_lshlrev_b32_e32 v1, 3, v17
	s_waitcnt lgkmcnt(0)
	s_barrier
	buffer_gl0_inv
	v_lshl_add_u32 v0, v0, 3, v1
	v_dual_mov_b32 v1, s20 :: v_dual_mov_b32 v2, s21
	ds_store_b64 v0, v[13:14]
	s_waitcnt lgkmcnt(0)
	s_barrier
	buffer_gl0_inv
	ds_load_b64 v[13:14], v25
	s_waitcnt lgkmcnt(0)
	s_barrier
	buffer_gl0_inv
	ds_store_b64 v0, v[15:16]
	s_waitcnt lgkmcnt(0)
	s_barrier
	buffer_gl0_inv
	ds_load_b64 v[15:16], v25
	s_waitcnt lgkmcnt(0)
	s_barrier
	buffer_gl0_inv
	v_bfe_u32 v3, v13, 8, 1
	v_lshrrev_b32_e32 v4, 8, v13
	s_delay_alu instid0(VALU_DEP_2) | instskip(NEXT) | instid1(VALU_DEP_1)
	v_add_co_u32 v3, s9, v3, -1
	v_cndmask_b32_e64 v5, 0, 1, s9
	s_delay_alu instid0(VALU_DEP_3)
	v_lshlrev_b32_e32 v6, 30, v4
	v_lshlrev_b32_e32 v7, 29, v4
	;; [unrolled: 1-line block ×4, first 2 shown]
	v_cmp_ne_u32_e64 s9, 0, v5
	v_not_b32_e32 v5, v6
	v_cmp_gt_i32_e64 s10, 0, v6
	v_not_b32_e32 v6, v7
	v_lshlrev_b32_e32 v28, 26, v4
	v_xor_b32_e32 v3, s9, v3
	v_ashrrev_i32_e32 v5, 31, v5
	v_cmp_gt_i32_e64 s9, 0, v7
	v_not_b32_e32 v7, v17
	v_ashrrev_i32_e32 v6, 31, v6
	v_and_b32_e32 v3, exec_lo, v3
	v_xor_b32_e32 v5, s10, v5
	v_cmp_gt_i32_e64 s10, 0, v17
	v_not_b32_e32 v17, v18
	v_ashrrev_i32_e32 v7, 31, v7
	v_xor_b32_e32 v6, s9, v6
	v_and_b32_e32 v3, v3, v5
	v_lshlrev_b32_e32 v29, 25, v4
	v_cmp_gt_i32_e64 s9, 0, v18
	v_not_b32_e32 v5, v28
	v_ashrrev_i32_e32 v17, 31, v17
	v_xor_b32_e32 v7, s10, v7
	v_and_b32_e32 v3, v3, v6
	v_lshlrev_b32_e32 v4, 24, v4
	v_cmp_gt_i32_e64 s10, 0, v28
	v_not_b32_e32 v6, v29
	v_ashrrev_i32_e32 v5, 31, v5
	v_xor_b32_e32 v17, s9, v17
	v_and_b32_e32 v3, v3, v7
	v_cmp_gt_i32_e64 s9, 0, v29
	v_not_b32_e32 v7, v4
	v_ashrrev_i32_e32 v6, 31, v6
	v_xor_b32_e32 v5, s10, v5
	v_and_b32_e32 v3, v3, v17
	v_cmp_gt_i32_e64 s10, 0, v4
	v_ashrrev_i32_e32 v4, 31, v7
	v_xor_b32_e32 v6, s9, v6
	s_delay_alu instid0(VALU_DEP_4) | instskip(NEXT) | instid1(VALU_DEP_3)
	v_and_b32_e32 v3, v3, v5
	v_xor_b32_e32 v0, s10, v4
	s_delay_alu instid0(VALU_DEP_2)
	v_and_b32_e32 v5, v3, v6
	v_dual_mov_b32 v3, s14 :: v_dual_mov_b32 v4, s15
	ds_store_2addr_b64 v19, v[1:2], v[3:4] offset0:5 offset1:6
	ds_store_2addr_b64 v20, v[1:2], v[3:4] offset0:2 offset1:3
	v_and_b32_e32 v0, v5, v0
	v_bfe_u32 v5, v13, 8, 8
	s_waitcnt lgkmcnt(0)
	s_barrier
	buffer_gl0_inv
	v_mbcnt_lo_u32_b32 v17, v0, 0
	v_mad_u32_u24 v1, v5, 10, v26
	v_cmp_ne_u32_e64 s10, 0, v0
	; wave barrier
	s_delay_alu instid0(VALU_DEP_3) | instskip(NEXT) | instid1(VALU_DEP_3)
	v_cmp_eq_u32_e64 s9, 0, v17
	v_lshl_add_u32 v18, v1, 2, 40
	s_delay_alu instid0(VALU_DEP_2) | instskip(NEXT) | instid1(SALU_CYCLE_1)
	s_and_b32 s10, s10, s9
	s_and_saveexec_b32 s9, s10
	s_cbranch_execz .LBB369_44
; %bb.43:                               ;   in Loop: Header=BB369_2 Depth=1
	v_bcnt_u32_b32 v0, v0, 0
	ds_store_b32 v18, v0
.LBB369_44:                             ;   in Loop: Header=BB369_2 Depth=1
	s_or_b32 exec_lo, exec_lo, s9
	; wave barrier
	s_waitcnt lgkmcnt(0)
	s_barrier
	buffer_gl0_inv
	ds_load_2addr_b64 v[4:7], v19 offset0:5 offset1:6
	ds_load_2addr_b64 v[0:3], v20 offset0:2 offset1:3
	s_waitcnt lgkmcnt(1)
	v_add_nc_u32_e32 v28, v5, v4
	s_delay_alu instid0(VALU_DEP_1) | instskip(SKIP_1) | instid1(VALU_DEP_1)
	v_add3_u32 v28, v28, v6, v7
	s_waitcnt lgkmcnt(0)
	v_add3_u32 v28, v28, v0, v1
	s_delay_alu instid0(VALU_DEP_1) | instskip(NEXT) | instid1(VALU_DEP_1)
	v_add3_u32 v3, v28, v2, v3
	v_mov_b32_dpp v28, v3 row_shr:1 row_mask:0xf bank_mask:0xf
	s_delay_alu instid0(VALU_DEP_1) | instskip(NEXT) | instid1(VALU_DEP_1)
	v_cndmask_b32_e64 v28, v28, 0, s0
	v_add_nc_u32_e32 v3, v28, v3
	s_delay_alu instid0(VALU_DEP_1) | instskip(NEXT) | instid1(VALU_DEP_1)
	v_mov_b32_dpp v28, v3 row_shr:2 row_mask:0xf bank_mask:0xf
	v_cndmask_b32_e64 v28, 0, v28, s1
	s_delay_alu instid0(VALU_DEP_1) | instskip(NEXT) | instid1(VALU_DEP_1)
	v_add_nc_u32_e32 v3, v3, v28
	v_mov_b32_dpp v28, v3 row_shr:4 row_mask:0xf bank_mask:0xf
	s_delay_alu instid0(VALU_DEP_1) | instskip(NEXT) | instid1(VALU_DEP_1)
	v_cndmask_b32_e64 v28, 0, v28, s2
	v_add_nc_u32_e32 v3, v3, v28
	s_delay_alu instid0(VALU_DEP_1) | instskip(NEXT) | instid1(VALU_DEP_1)
	v_mov_b32_dpp v28, v3 row_shr:8 row_mask:0xf bank_mask:0xf
	v_cndmask_b32_e64 v28, 0, v28, s3
	s_delay_alu instid0(VALU_DEP_1) | instskip(SKIP_3) | instid1(VALU_DEP_1)
	v_add_nc_u32_e32 v3, v3, v28
	ds_swizzle_b32 v28, v3 offset:swizzle(BROADCAST,32,15)
	s_waitcnt lgkmcnt(0)
	v_cndmask_b32_e64 v28, v28, 0, s4
	v_add_nc_u32_e32 v3, v3, v28
	s_and_saveexec_b32 s9, s8
	s_cbranch_execz .LBB369_46
; %bb.45:                               ;   in Loop: Header=BB369_2 Depth=1
	ds_store_b32 v21, v3
.LBB369_46:                             ;   in Loop: Header=BB369_2 Depth=1
	s_or_b32 exec_lo, exec_lo, s9
	s_waitcnt lgkmcnt(0)
	s_barrier
	buffer_gl0_inv
	s_and_saveexec_b32 s9, s5
	s_cbranch_execz .LBB369_48
; %bb.47:                               ;   in Loop: Header=BB369_2 Depth=1
	ds_load_b32 v28, v23
	s_waitcnt lgkmcnt(0)
	v_mov_b32_dpp v29, v28 row_shr:1 row_mask:0xf bank_mask:0xf
	s_delay_alu instid0(VALU_DEP_1) | instskip(NEXT) | instid1(VALU_DEP_1)
	v_cndmask_b32_e64 v29, v29, 0, s0
	v_add_nc_u32_e32 v28, v29, v28
	s_delay_alu instid0(VALU_DEP_1) | instskip(NEXT) | instid1(VALU_DEP_1)
	v_mov_b32_dpp v29, v28 row_shr:2 row_mask:0xf bank_mask:0xf
	v_cndmask_b32_e64 v29, 0, v29, s1
	s_delay_alu instid0(VALU_DEP_1) | instskip(NEXT) | instid1(VALU_DEP_1)
	v_add_nc_u32_e32 v28, v28, v29
	v_mov_b32_dpp v29, v28 row_shr:4 row_mask:0xf bank_mask:0xf
	s_delay_alu instid0(VALU_DEP_1) | instskip(NEXT) | instid1(VALU_DEP_1)
	v_cndmask_b32_e64 v29, 0, v29, s2
	v_add_nc_u32_e32 v28, v28, v29
	s_delay_alu instid0(VALU_DEP_1) | instskip(NEXT) | instid1(VALU_DEP_1)
	v_mov_b32_dpp v29, v28 row_shr:8 row_mask:0xf bank_mask:0xf
	v_cndmask_b32_e64 v29, 0, v29, s3
	s_delay_alu instid0(VALU_DEP_1)
	v_add_nc_u32_e32 v28, v28, v29
	ds_store_b32 v23, v28
.LBB369_48:                             ;   in Loop: Header=BB369_2 Depth=1
	s_or_b32 exec_lo, exec_lo, s9
	v_mov_b32_e32 v28, 0
	s_waitcnt lgkmcnt(0)
	s_barrier
	buffer_gl0_inv
	s_and_saveexec_b32 s9, s6
	s_cbranch_execz .LBB369_50
; %bb.49:                               ;   in Loop: Header=BB369_2 Depth=1
	ds_load_b32 v28, v24
.LBB369_50:                             ;   in Loop: Header=BB369_2 Depth=1
	s_or_b32 exec_lo, exec_lo, s9
	s_waitcnt lgkmcnt(0)
	v_add_nc_u32_e32 v3, v28, v3
	ds_bpermute_b32 v3, v22, v3
	s_waitcnt lgkmcnt(0)
	v_cndmask_b32_e32 v3, v3, v28, vcc_lo
	s_delay_alu instid0(VALU_DEP_1) | instskip(NEXT) | instid1(VALU_DEP_1)
	v_cndmask_b32_e64 v3, v3, 0, s7
	v_add_nc_u32_e32 v4, v3, v4
	s_delay_alu instid0(VALU_DEP_1) | instskip(NEXT) | instid1(VALU_DEP_1)
	v_add_nc_u32_e32 v5, v4, v5
	v_add_nc_u32_e32 v6, v5, v6
	s_delay_alu instid0(VALU_DEP_1) | instskip(NEXT) | instid1(VALU_DEP_1)
	v_add_nc_u32_e32 v28, v6, v7
	;; [unrolled: 3-line block ×3, first 2 shown]
	v_add_nc_u32_e32 v1, v0, v2
	ds_store_2addr_b64 v19, v[3:4], v[5:6] offset0:5 offset1:6
	ds_store_2addr_b64 v20, v[28:29], v[0:1] offset0:2 offset1:3
	s_waitcnt lgkmcnt(0)
	s_barrier
	buffer_gl0_inv
	ds_load_b32 v0, v18
	v_lshlrev_b32_e32 v1, 3, v17
	s_waitcnt lgkmcnt(0)
	s_barrier
	buffer_gl0_inv
	v_lshl_add_u32 v0, v0, 3, v1
	v_dual_mov_b32 v1, s20 :: v_dual_mov_b32 v2, s21
	ds_store_b64 v0, v[13:14]
	s_waitcnt lgkmcnt(0)
	s_barrier
	buffer_gl0_inv
	ds_load_b64 v[13:14], v25
	s_waitcnt lgkmcnt(0)
	s_barrier
	buffer_gl0_inv
	ds_store_b64 v0, v[15:16]
	s_waitcnt lgkmcnt(0)
	s_barrier
	buffer_gl0_inv
	ds_load_b64 v[15:16], v25
	s_waitcnt lgkmcnt(0)
	s_barrier
	buffer_gl0_inv
	v_bfe_u32 v3, v13, 16, 1
	v_lshrrev_b32_e32 v4, 16, v13
	s_delay_alu instid0(VALU_DEP_2) | instskip(NEXT) | instid1(VALU_DEP_1)
	v_add_co_u32 v3, s9, v3, -1
	v_cndmask_b32_e64 v5, 0, 1, s9
	s_delay_alu instid0(VALU_DEP_3)
	v_lshlrev_b32_e32 v6, 30, v4
	v_lshlrev_b32_e32 v7, 29, v4
	;; [unrolled: 1-line block ×4, first 2 shown]
	v_cmp_ne_u32_e64 s9, 0, v5
	v_not_b32_e32 v5, v6
	v_cmp_gt_i32_e64 s10, 0, v6
	v_not_b32_e32 v6, v7
	v_lshlrev_b32_e32 v28, 26, v4
	v_xor_b32_e32 v3, s9, v3
	v_ashrrev_i32_e32 v5, 31, v5
	v_cmp_gt_i32_e64 s9, 0, v7
	v_not_b32_e32 v7, v17
	v_ashrrev_i32_e32 v6, 31, v6
	v_and_b32_e32 v3, exec_lo, v3
	v_xor_b32_e32 v5, s10, v5
	v_cmp_gt_i32_e64 s10, 0, v17
	v_not_b32_e32 v17, v18
	v_ashrrev_i32_e32 v7, 31, v7
	v_xor_b32_e32 v6, s9, v6
	v_and_b32_e32 v3, v3, v5
	v_lshlrev_b32_e32 v29, 25, v4
	v_cmp_gt_i32_e64 s9, 0, v18
	v_not_b32_e32 v5, v28
	v_ashrrev_i32_e32 v17, 31, v17
	v_xor_b32_e32 v7, s10, v7
	v_and_b32_e32 v3, v3, v6
	v_lshlrev_b32_e32 v4, 24, v4
	v_cmp_gt_i32_e64 s10, 0, v28
	v_not_b32_e32 v6, v29
	v_ashrrev_i32_e32 v5, 31, v5
	v_xor_b32_e32 v17, s9, v17
	v_and_b32_e32 v3, v3, v7
	v_cmp_gt_i32_e64 s9, 0, v29
	v_not_b32_e32 v7, v4
	v_ashrrev_i32_e32 v6, 31, v6
	v_xor_b32_e32 v5, s10, v5
	v_and_b32_e32 v3, v3, v17
	v_cmp_gt_i32_e64 s10, 0, v4
	v_ashrrev_i32_e32 v4, 31, v7
	v_xor_b32_e32 v6, s9, v6
	s_delay_alu instid0(VALU_DEP_4) | instskip(NEXT) | instid1(VALU_DEP_3)
	v_and_b32_e32 v3, v3, v5
	v_xor_b32_e32 v0, s10, v4
	s_delay_alu instid0(VALU_DEP_2)
	v_and_b32_e32 v5, v3, v6
	v_dual_mov_b32 v3, s14 :: v_dual_mov_b32 v4, s15
	ds_store_2addr_b64 v19, v[1:2], v[3:4] offset0:5 offset1:6
	ds_store_2addr_b64 v20, v[1:2], v[3:4] offset0:2 offset1:3
	v_and_b32_e32 v0, v5, v0
	v_bfe_u32 v5, v13, 16, 8
	s_waitcnt lgkmcnt(0)
	s_barrier
	buffer_gl0_inv
	v_mbcnt_lo_u32_b32 v17, v0, 0
	v_mad_u32_u24 v1, v5, 10, v26
	v_cmp_ne_u32_e64 s10, 0, v0
	; wave barrier
	s_delay_alu instid0(VALU_DEP_3) | instskip(NEXT) | instid1(VALU_DEP_3)
	v_cmp_eq_u32_e64 s9, 0, v17
	v_lshl_add_u32 v18, v1, 2, 40
	s_delay_alu instid0(VALU_DEP_2) | instskip(NEXT) | instid1(SALU_CYCLE_1)
	s_and_b32 s10, s10, s9
	s_and_saveexec_b32 s9, s10
	s_cbranch_execz .LBB369_52
; %bb.51:                               ;   in Loop: Header=BB369_2 Depth=1
	v_bcnt_u32_b32 v0, v0, 0
	ds_store_b32 v18, v0
.LBB369_52:                             ;   in Loop: Header=BB369_2 Depth=1
	s_or_b32 exec_lo, exec_lo, s9
	; wave barrier
	s_waitcnt lgkmcnt(0)
	s_barrier
	buffer_gl0_inv
	ds_load_2addr_b64 v[4:7], v19 offset0:5 offset1:6
	ds_load_2addr_b64 v[0:3], v20 offset0:2 offset1:3
	s_waitcnt lgkmcnt(1)
	v_add_nc_u32_e32 v28, v5, v4
	s_delay_alu instid0(VALU_DEP_1) | instskip(SKIP_1) | instid1(VALU_DEP_1)
	v_add3_u32 v28, v28, v6, v7
	s_waitcnt lgkmcnt(0)
	v_add3_u32 v28, v28, v0, v1
	s_delay_alu instid0(VALU_DEP_1) | instskip(NEXT) | instid1(VALU_DEP_1)
	v_add3_u32 v3, v28, v2, v3
	v_mov_b32_dpp v28, v3 row_shr:1 row_mask:0xf bank_mask:0xf
	s_delay_alu instid0(VALU_DEP_1) | instskip(NEXT) | instid1(VALU_DEP_1)
	v_cndmask_b32_e64 v28, v28, 0, s0
	v_add_nc_u32_e32 v3, v28, v3
	s_delay_alu instid0(VALU_DEP_1) | instskip(NEXT) | instid1(VALU_DEP_1)
	v_mov_b32_dpp v28, v3 row_shr:2 row_mask:0xf bank_mask:0xf
	v_cndmask_b32_e64 v28, 0, v28, s1
	s_delay_alu instid0(VALU_DEP_1) | instskip(NEXT) | instid1(VALU_DEP_1)
	v_add_nc_u32_e32 v3, v3, v28
	v_mov_b32_dpp v28, v3 row_shr:4 row_mask:0xf bank_mask:0xf
	s_delay_alu instid0(VALU_DEP_1) | instskip(NEXT) | instid1(VALU_DEP_1)
	v_cndmask_b32_e64 v28, 0, v28, s2
	v_add_nc_u32_e32 v3, v3, v28
	s_delay_alu instid0(VALU_DEP_1) | instskip(NEXT) | instid1(VALU_DEP_1)
	v_mov_b32_dpp v28, v3 row_shr:8 row_mask:0xf bank_mask:0xf
	v_cndmask_b32_e64 v28, 0, v28, s3
	s_delay_alu instid0(VALU_DEP_1) | instskip(SKIP_3) | instid1(VALU_DEP_1)
	v_add_nc_u32_e32 v3, v3, v28
	ds_swizzle_b32 v28, v3 offset:swizzle(BROADCAST,32,15)
	s_waitcnt lgkmcnt(0)
	v_cndmask_b32_e64 v28, v28, 0, s4
	v_add_nc_u32_e32 v3, v3, v28
	s_and_saveexec_b32 s9, s8
	s_cbranch_execz .LBB369_54
; %bb.53:                               ;   in Loop: Header=BB369_2 Depth=1
	ds_store_b32 v21, v3
.LBB369_54:                             ;   in Loop: Header=BB369_2 Depth=1
	s_or_b32 exec_lo, exec_lo, s9
	s_waitcnt lgkmcnt(0)
	s_barrier
	buffer_gl0_inv
	s_and_saveexec_b32 s9, s5
	s_cbranch_execz .LBB369_56
; %bb.55:                               ;   in Loop: Header=BB369_2 Depth=1
	ds_load_b32 v28, v23
	s_waitcnt lgkmcnt(0)
	v_mov_b32_dpp v29, v28 row_shr:1 row_mask:0xf bank_mask:0xf
	s_delay_alu instid0(VALU_DEP_1) | instskip(NEXT) | instid1(VALU_DEP_1)
	v_cndmask_b32_e64 v29, v29, 0, s0
	v_add_nc_u32_e32 v28, v29, v28
	s_delay_alu instid0(VALU_DEP_1) | instskip(NEXT) | instid1(VALU_DEP_1)
	v_mov_b32_dpp v29, v28 row_shr:2 row_mask:0xf bank_mask:0xf
	v_cndmask_b32_e64 v29, 0, v29, s1
	s_delay_alu instid0(VALU_DEP_1) | instskip(NEXT) | instid1(VALU_DEP_1)
	v_add_nc_u32_e32 v28, v28, v29
	v_mov_b32_dpp v29, v28 row_shr:4 row_mask:0xf bank_mask:0xf
	s_delay_alu instid0(VALU_DEP_1) | instskip(NEXT) | instid1(VALU_DEP_1)
	v_cndmask_b32_e64 v29, 0, v29, s2
	v_add_nc_u32_e32 v28, v28, v29
	s_delay_alu instid0(VALU_DEP_1) | instskip(NEXT) | instid1(VALU_DEP_1)
	v_mov_b32_dpp v29, v28 row_shr:8 row_mask:0xf bank_mask:0xf
	v_cndmask_b32_e64 v29, 0, v29, s3
	s_delay_alu instid0(VALU_DEP_1)
	v_add_nc_u32_e32 v28, v28, v29
	ds_store_b32 v23, v28
.LBB369_56:                             ;   in Loop: Header=BB369_2 Depth=1
	s_or_b32 exec_lo, exec_lo, s9
	v_mov_b32_e32 v28, 0
	s_waitcnt lgkmcnt(0)
	s_barrier
	buffer_gl0_inv
	s_and_saveexec_b32 s9, s6
	s_cbranch_execz .LBB369_58
; %bb.57:                               ;   in Loop: Header=BB369_2 Depth=1
	ds_load_b32 v28, v24
.LBB369_58:                             ;   in Loop: Header=BB369_2 Depth=1
	s_or_b32 exec_lo, exec_lo, s9
	s_waitcnt lgkmcnt(0)
	v_add_nc_u32_e32 v3, v28, v3
	ds_bpermute_b32 v3, v22, v3
	s_waitcnt lgkmcnt(0)
	v_cndmask_b32_e32 v3, v3, v28, vcc_lo
	s_delay_alu instid0(VALU_DEP_1) | instskip(NEXT) | instid1(VALU_DEP_1)
	v_cndmask_b32_e64 v3, v3, 0, s7
	v_add_nc_u32_e32 v4, v3, v4
	s_delay_alu instid0(VALU_DEP_1) | instskip(NEXT) | instid1(VALU_DEP_1)
	v_add_nc_u32_e32 v5, v4, v5
	v_add_nc_u32_e32 v6, v5, v6
	s_delay_alu instid0(VALU_DEP_1) | instskip(NEXT) | instid1(VALU_DEP_1)
	v_add_nc_u32_e32 v28, v6, v7
	;; [unrolled: 3-line block ×3, first 2 shown]
	v_add_nc_u32_e32 v1, v0, v2
	ds_store_2addr_b64 v19, v[3:4], v[5:6] offset0:5 offset1:6
	ds_store_2addr_b64 v20, v[28:29], v[0:1] offset0:2 offset1:3
	s_waitcnt lgkmcnt(0)
	s_barrier
	buffer_gl0_inv
	ds_load_b32 v0, v18
	v_lshlrev_b32_e32 v1, 3, v17
	s_waitcnt lgkmcnt(0)
	s_barrier
	buffer_gl0_inv
	v_lshl_add_u32 v0, v0, 3, v1
	ds_store_b64 v0, v[13:14]
	s_waitcnt lgkmcnt(0)
	s_barrier
	buffer_gl0_inv
	ds_load_b64 v[13:14], v25
	s_waitcnt lgkmcnt(0)
	s_barrier
	buffer_gl0_inv
	ds_store_b64 v0, v[15:16]
	s_waitcnt lgkmcnt(0)
	s_barrier
	buffer_gl0_inv
	v_bfe_u32 v1, v13, 24, 1
	v_lshrrev_b32_e32 v5, 24, v13
	s_delay_alu instid0(VALU_DEP_2) | instskip(NEXT) | instid1(VALU_DEP_1)
	v_add_co_u32 v1, s9, v1, -1
	v_cndmask_b32_e64 v2, 0, 1, s9
	s_delay_alu instid0(VALU_DEP_3)
	v_lshlrev_b32_e32 v3, 30, v5
	v_lshlrev_b32_e32 v4, 29, v5
	;; [unrolled: 1-line block ×4, first 2 shown]
	v_cmp_ne_u32_e64 s9, 0, v2
	v_not_b32_e32 v2, v3
	v_cmp_gt_i32_e64 s10, 0, v3
	v_not_b32_e32 v3, v4
	v_lshlrev_b32_e32 v17, 26, v5
	v_xor_b32_e32 v1, s9, v1
	v_ashrrev_i32_e32 v2, 31, v2
	v_cmp_gt_i32_e64 s9, 0, v4
	v_not_b32_e32 v4, v6
	v_ashrrev_i32_e32 v3, 31, v3
	v_and_b32_e32 v1, exec_lo, v1
	v_xor_b32_e32 v2, s10, v2
	v_cmp_gt_i32_e64 s10, 0, v6
	v_not_b32_e32 v6, v7
	v_ashrrev_i32_e32 v4, 31, v4
	v_xor_b32_e32 v3, s9, v3
	v_and_b32_e32 v1, v1, v2
	v_lshlrev_b32_e32 v18, 25, v5
	v_cmp_gt_i32_e64 s9, 0, v7
	v_not_b32_e32 v2, v17
	v_ashrrev_i32_e32 v6, 31, v6
	v_xor_b32_e32 v4, s10, v4
	v_and_b32_e32 v1, v1, v3
	v_cmp_gt_i32_e64 s10, 0, v17
	v_not_b32_e32 v3, v18
	v_ashrrev_i32_e32 v2, 31, v2
	v_xor_b32_e32 v6, s9, v6
	v_and_b32_e32 v1, v1, v4
	v_not_b32_e32 v4, v13
	v_cmp_gt_i32_e64 s9, 0, v18
	v_ashrrev_i32_e32 v3, 31, v3
	v_xor_b32_e32 v2, s10, v2
	v_and_b32_e32 v1, v1, v6
	v_cmp_gt_i32_e64 s10, 0, v13
	v_ashrrev_i32_e32 v4, 31, v4
	v_xor_b32_e32 v3, s9, v3
	ds_load_b64 v[17:18], v25
	v_and_b32_e32 v1, v1, v2
	s_waitcnt lgkmcnt(0)
	v_xor_b32_e32 v0, s10, v4
	s_barrier
	buffer_gl0_inv
	v_and_b32_e32 v3, v1, v3
	v_dual_mov_b32 v1, s20 :: v_dual_mov_b32 v2, s21
	s_delay_alu instid0(VALU_DEP_2)
	v_dual_mov_b32 v3, s14 :: v_dual_and_b32 v0, v3, v0
	v_mov_b32_e32 v4, s15
	ds_store_2addr_b64 v19, v[1:2], v[3:4] offset0:5 offset1:6
	ds_store_2addr_b64 v20, v[1:2], v[3:4] offset0:2 offset1:3
	v_mbcnt_lo_u32_b32 v15, v0, 0
	v_mad_u32_u24 v1, v5, 10, v26
	v_cmp_ne_u32_e64 s10, 0, v0
	s_waitcnt lgkmcnt(0)
	s_barrier
	v_cmp_eq_u32_e64 s9, 0, v15
	v_lshl_add_u32 v16, v1, 2, 40
	buffer_gl0_inv
	; wave barrier
	s_and_b32 s10, s10, s9
	s_delay_alu instid0(SALU_CYCLE_1)
	s_and_saveexec_b32 s9, s10
	s_cbranch_execz .LBB369_60
; %bb.59:                               ;   in Loop: Header=BB369_2 Depth=1
	v_bcnt_u32_b32 v0, v0, 0
	ds_store_b32 v16, v0
.LBB369_60:                             ;   in Loop: Header=BB369_2 Depth=1
	s_or_b32 exec_lo, exec_lo, s9
	; wave barrier
	s_waitcnt lgkmcnt(0)
	s_barrier
	buffer_gl0_inv
	ds_load_2addr_b64 v[4:7], v19 offset0:5 offset1:6
	ds_load_2addr_b64 v[0:3], v20 offset0:2 offset1:3
	s_waitcnt lgkmcnt(1)
	v_add_nc_u32_e32 v28, v5, v4
	s_delay_alu instid0(VALU_DEP_1) | instskip(SKIP_1) | instid1(VALU_DEP_1)
	v_add3_u32 v28, v28, v6, v7
	s_waitcnt lgkmcnt(0)
	v_add3_u32 v28, v28, v0, v1
	s_delay_alu instid0(VALU_DEP_1) | instskip(NEXT) | instid1(VALU_DEP_1)
	v_add3_u32 v3, v28, v2, v3
	v_mov_b32_dpp v28, v3 row_shr:1 row_mask:0xf bank_mask:0xf
	s_delay_alu instid0(VALU_DEP_1) | instskip(NEXT) | instid1(VALU_DEP_1)
	v_cndmask_b32_e64 v28, v28, 0, s0
	v_add_nc_u32_e32 v3, v28, v3
	s_delay_alu instid0(VALU_DEP_1) | instskip(NEXT) | instid1(VALU_DEP_1)
	v_mov_b32_dpp v28, v3 row_shr:2 row_mask:0xf bank_mask:0xf
	v_cndmask_b32_e64 v28, 0, v28, s1
	s_delay_alu instid0(VALU_DEP_1) | instskip(NEXT) | instid1(VALU_DEP_1)
	v_add_nc_u32_e32 v3, v3, v28
	v_mov_b32_dpp v28, v3 row_shr:4 row_mask:0xf bank_mask:0xf
	s_delay_alu instid0(VALU_DEP_1) | instskip(NEXT) | instid1(VALU_DEP_1)
	v_cndmask_b32_e64 v28, 0, v28, s2
	v_add_nc_u32_e32 v3, v3, v28
	s_delay_alu instid0(VALU_DEP_1) | instskip(NEXT) | instid1(VALU_DEP_1)
	v_mov_b32_dpp v28, v3 row_shr:8 row_mask:0xf bank_mask:0xf
	v_cndmask_b32_e64 v28, 0, v28, s3
	s_delay_alu instid0(VALU_DEP_1) | instskip(SKIP_3) | instid1(VALU_DEP_1)
	v_add_nc_u32_e32 v3, v3, v28
	ds_swizzle_b32 v28, v3 offset:swizzle(BROADCAST,32,15)
	s_waitcnt lgkmcnt(0)
	v_cndmask_b32_e64 v28, v28, 0, s4
	v_add_nc_u32_e32 v3, v3, v28
	s_and_saveexec_b32 s9, s8
	s_cbranch_execz .LBB369_62
; %bb.61:                               ;   in Loop: Header=BB369_2 Depth=1
	ds_store_b32 v21, v3
.LBB369_62:                             ;   in Loop: Header=BB369_2 Depth=1
	s_or_b32 exec_lo, exec_lo, s9
	s_waitcnt lgkmcnt(0)
	s_barrier
	buffer_gl0_inv
	s_and_saveexec_b32 s9, s5
	s_cbranch_execz .LBB369_64
; %bb.63:                               ;   in Loop: Header=BB369_2 Depth=1
	ds_load_b32 v28, v23
	s_waitcnt lgkmcnt(0)
	v_mov_b32_dpp v29, v28 row_shr:1 row_mask:0xf bank_mask:0xf
	s_delay_alu instid0(VALU_DEP_1) | instskip(NEXT) | instid1(VALU_DEP_1)
	v_cndmask_b32_e64 v29, v29, 0, s0
	v_add_nc_u32_e32 v28, v29, v28
	s_delay_alu instid0(VALU_DEP_1) | instskip(NEXT) | instid1(VALU_DEP_1)
	v_mov_b32_dpp v29, v28 row_shr:2 row_mask:0xf bank_mask:0xf
	v_cndmask_b32_e64 v29, 0, v29, s1
	s_delay_alu instid0(VALU_DEP_1) | instskip(NEXT) | instid1(VALU_DEP_1)
	v_add_nc_u32_e32 v28, v28, v29
	v_mov_b32_dpp v29, v28 row_shr:4 row_mask:0xf bank_mask:0xf
	s_delay_alu instid0(VALU_DEP_1) | instskip(NEXT) | instid1(VALU_DEP_1)
	v_cndmask_b32_e64 v29, 0, v29, s2
	v_add_nc_u32_e32 v28, v28, v29
	s_delay_alu instid0(VALU_DEP_1) | instskip(NEXT) | instid1(VALU_DEP_1)
	v_mov_b32_dpp v29, v28 row_shr:8 row_mask:0xf bank_mask:0xf
	v_cndmask_b32_e64 v29, 0, v29, s3
	s_delay_alu instid0(VALU_DEP_1)
	v_add_nc_u32_e32 v28, v28, v29
	ds_store_b32 v23, v28
.LBB369_64:                             ;   in Loop: Header=BB369_2 Depth=1
	s_or_b32 exec_lo, exec_lo, s9
	v_mov_b32_e32 v28, 0
	s_waitcnt lgkmcnt(0)
	s_barrier
	buffer_gl0_inv
	s_and_saveexec_b32 s9, s6
	s_cbranch_execz .LBB369_1
; %bb.65:                               ;   in Loop: Header=BB369_2 Depth=1
	ds_load_b32 v28, v24
	s_branch .LBB369_1
.LBB369_66:
	s_waitcnt lgkmcnt(0)
	v_add3_u32 v0, v13, v15, 0x80000000
	v_add3_u32 v1, v14, v16, 0x80000000
	v_lshlrev_b32_e32 v2, 3, v8
	s_add_u32 s0, s18, s12
	s_addc_u32 s1, s19, s13
	global_store_b64 v2, v[0:1], s[0:1]
	s_nop 0
	s_sendmsg sendmsg(MSG_DEALLOC_VGPRS)
	s_endpgm
	.section	.rodata,"a",@progbits
	.p2align	6, 0x0
	.amdhsa_kernel _Z17sort_pairs_kernelI22helper_blocked_stripedN15benchmark_utils11custom_typeIiiEELj320ELj1ELj10EEvPKT0_PS4_
		.amdhsa_group_segment_fixed_size 10288
		.amdhsa_private_segment_fixed_size 0
		.amdhsa_kernarg_size 272
		.amdhsa_user_sgpr_count 15
		.amdhsa_user_sgpr_dispatch_ptr 0
		.amdhsa_user_sgpr_queue_ptr 0
		.amdhsa_user_sgpr_kernarg_segment_ptr 1
		.amdhsa_user_sgpr_dispatch_id 0
		.amdhsa_user_sgpr_private_segment_size 0
		.amdhsa_wavefront_size32 1
		.amdhsa_uses_dynamic_stack 0
		.amdhsa_enable_private_segment 0
		.amdhsa_system_sgpr_workgroup_id_x 1
		.amdhsa_system_sgpr_workgroup_id_y 0
		.amdhsa_system_sgpr_workgroup_id_z 0
		.amdhsa_system_sgpr_workgroup_info 0
		.amdhsa_system_vgpr_workitem_id 2
		.amdhsa_next_free_vgpr 30
		.amdhsa_next_free_sgpr 22
		.amdhsa_reserve_vcc 1
		.amdhsa_float_round_mode_32 0
		.amdhsa_float_round_mode_16_64 0
		.amdhsa_float_denorm_mode_32 3
		.amdhsa_float_denorm_mode_16_64 3
		.amdhsa_dx10_clamp 1
		.amdhsa_ieee_mode 1
		.amdhsa_fp16_overflow 0
		.amdhsa_workgroup_processor_mode 1
		.amdhsa_memory_ordered 1
		.amdhsa_forward_progress 0
		.amdhsa_shared_vgpr_count 0
		.amdhsa_exception_fp_ieee_invalid_op 0
		.amdhsa_exception_fp_denorm_src 0
		.amdhsa_exception_fp_ieee_div_zero 0
		.amdhsa_exception_fp_ieee_overflow 0
		.amdhsa_exception_fp_ieee_underflow 0
		.amdhsa_exception_fp_ieee_inexact 0
		.amdhsa_exception_int_div_zero 0
	.end_amdhsa_kernel
	.section	.text._Z17sort_pairs_kernelI22helper_blocked_stripedN15benchmark_utils11custom_typeIiiEELj320ELj1ELj10EEvPKT0_PS4_,"axG",@progbits,_Z17sort_pairs_kernelI22helper_blocked_stripedN15benchmark_utils11custom_typeIiiEELj320ELj1ELj10EEvPKT0_PS4_,comdat
.Lfunc_end369:
	.size	_Z17sort_pairs_kernelI22helper_blocked_stripedN15benchmark_utils11custom_typeIiiEELj320ELj1ELj10EEvPKT0_PS4_, .Lfunc_end369-_Z17sort_pairs_kernelI22helper_blocked_stripedN15benchmark_utils11custom_typeIiiEELj320ELj1ELj10EEvPKT0_PS4_
                                        ; -- End function
	.section	.AMDGPU.csdata,"",@progbits
; Kernel info:
; codeLenInByte = 8724
; NumSgprs: 24
; NumVgprs: 30
; ScratchSize: 0
; MemoryBound: 0
; FloatMode: 240
; IeeeMode: 1
; LDSByteSize: 10288 bytes/workgroup (compile time only)
; SGPRBlocks: 2
; VGPRBlocks: 3
; NumSGPRsForWavesPerEU: 24
; NumVGPRsForWavesPerEU: 30
; Occupancy: 15
; WaveLimiterHint : 0
; COMPUTE_PGM_RSRC2:SCRATCH_EN: 0
; COMPUTE_PGM_RSRC2:USER_SGPR: 15
; COMPUTE_PGM_RSRC2:TRAP_HANDLER: 0
; COMPUTE_PGM_RSRC2:TGID_X_EN: 1
; COMPUTE_PGM_RSRC2:TGID_Y_EN: 0
; COMPUTE_PGM_RSRC2:TGID_Z_EN: 0
; COMPUTE_PGM_RSRC2:TIDIG_COMP_CNT: 2
	.section	.text._Z16sort_keys_kernelI22helper_blocked_stripedN15benchmark_utils11custom_typeIiiEELj320ELj3ELj10EEvPKT0_PS4_,"axG",@progbits,_Z16sort_keys_kernelI22helper_blocked_stripedN15benchmark_utils11custom_typeIiiEELj320ELj3ELj10EEvPKT0_PS4_,comdat
	.protected	_Z16sort_keys_kernelI22helper_blocked_stripedN15benchmark_utils11custom_typeIiiEELj320ELj3ELj10EEvPKT0_PS4_ ; -- Begin function _Z16sort_keys_kernelI22helper_blocked_stripedN15benchmark_utils11custom_typeIiiEELj320ELj3ELj10EEvPKT0_PS4_
	.globl	_Z16sort_keys_kernelI22helper_blocked_stripedN15benchmark_utils11custom_typeIiiEELj320ELj3ELj10EEvPKT0_PS4_
	.p2align	8
	.type	_Z16sort_keys_kernelI22helper_blocked_stripedN15benchmark_utils11custom_typeIiiEELj320ELj3ELj10EEvPKT0_PS4_,@function
_Z16sort_keys_kernelI22helper_blocked_stripedN15benchmark_utils11custom_typeIiiEELj320ELj3ELj10EEvPKT0_PS4_: ; @_Z16sort_keys_kernelI22helper_blocked_stripedN15benchmark_utils11custom_typeIiiEELj320ELj3ELj10EEvPKT0_PS4_
; %bb.0:
	s_clause 0x1
	s_load_b128 s[16:19], s[0:1], 0x0
	s_load_b32 s2, s[0:1], 0x1c
	s_mov_b32 s13, 0
	s_mul_i32 s12, s15, 0x3c0
	v_mbcnt_lo_u32_b32 v12, -1, 0
	s_lshl_b64 s[14:15], s[12:13], 3
	s_mov_b32 s12, s13
	v_and_b32_e32 v8, 0x3ff, v0
	v_bfe_u32 v9, v0, 10, 10
	v_add_nc_u32_e32 v14, -1, v12
	v_bfe_u32 v0, v0, 20, 10
	s_mov_b32 s10, s13
	v_mul_u32_u24_e32 v1, 3, v8
	s_mov_b32 s11, s13
	v_cmp_gt_i32_e32 vcc_lo, 0, v14
	v_cmp_eq_u32_e64 s8, 0, v12
	s_delay_alu instid0(VALU_DEP_3)
	v_lshlrev_b32_e32 v7, 3, v1
	s_waitcnt lgkmcnt(0)
	s_add_u32 s0, s16, s14
	s_addc_u32 s1, s17, s15
	s_clause 0x2
	global_load_b64 v[5:6], v7, s[0:1] offset:16
	global_load_b128 v[1:4], v7, s[0:1]
	global_load_b64 v[1:2], v7, s[0:1]
	v_lshrrev_b32_e32 v7, 5, v8
	s_lshr_b32 s0, s2, 16
	s_delay_alu instid0(SALU_CYCLE_1) | instskip(SKIP_1) | instid1(VALU_DEP_2)
	v_mad_u32_u24 v0, v0, s0, v9
	s_and_b32 s0, s2, 0xffff
	v_mul_u32_u24_e32 v11, 0x60, v7
	v_lshlrev_b32_e32 v25, 2, v7
	s_delay_alu instid0(VALU_DEP_3) | instskip(NEXT) | instid1(VALU_DEP_3)
	v_mad_u64_u32 v[9:10], null, v0, s0, v[8:9]
	v_lshlrev_b32_e32 v13, 3, v11
	v_or_b32_e32 v0, v12, v11
	v_and_b32_e32 v11, 0x1e0, v8
	v_and_b32_e32 v10, 15, v12
	v_add_nc_u32_e32 v27, -4, v25
	s_delay_alu instid0(VALU_DEP_4) | instskip(NEXT) | instid1(VALU_DEP_4)
	v_lshlrev_b32_e32 v22, 3, v0
	v_min_u32_e32 v0, 0x120, v11
	s_delay_alu instid0(VALU_DEP_4)
	v_cmp_eq_u32_e64 s0, 0, v10
	v_cmp_lt_u32_e64 s1, 1, v10
	v_cmp_lt_u32_e64 s2, 3, v10
	;; [unrolled: 1-line block ×3, first 2 shown]
	v_or_b32_e32 v0, 31, v0
	v_cndmask_b32_e32 v10, v14, v12, vcc_lo
	v_lshrrev_b32_e32 v9, 5, v9
	s_delay_alu instid0(VALU_DEP_3) | instskip(SKIP_1) | instid1(VALU_DEP_4)
	v_cmp_eq_u32_e64 s5, v0, v8
	v_mul_u32_u24_e32 v0, 3, v11
	v_lshlrev_b32_e32 v24, 2, v10
	v_mov_b32_e32 v10, s12
	v_mad_u32_u24 v21, v12, 24, v13
	v_and_b32_e32 v13, 16, v12
	v_or_b32_e32 v0, v12, v0
	v_dual_mov_b32 v11, s13 :: v_dual_lshlrev_b32 v20, 5, v8
	v_cmp_gt_u32_e64 s6, 10, v8
	s_delay_alu instid0(VALU_DEP_4) | instskip(NEXT) | instid1(VALU_DEP_4)
	v_cmp_eq_u32_e64 s4, 0, v13
	v_dual_mov_b32 v13, s11 :: v_dual_lshlrev_b32 v28, 3, v0
	s_delay_alu instid0(VALU_DEP_4) | instskip(SKIP_4) | instid1(VALU_DEP_4)
	v_mad_i32_i24 v26, 0xffffffe4, v8, v20
	v_lshlrev_b32_e32 v0, 2, v8
	v_add_nc_u32_e32 v23, 40, v20
	v_cmp_lt_u32_e64 s7, 31, v8
	v_cmp_eq_u32_e64 s9, 0, v8
	v_dual_mov_b32 v12, s10 :: v_dual_add_nc_u32 v29, v26, v0
	s_branch .LBB370_2
.LBB370_1:                              ;   in Loop: Header=BB370_2 Depth=1
	s_barrier
	buffer_gl0_inv
	ds_store_b64 v6, v[14:15]
	ds_store_b64 v7, v[18:19]
	;; [unrolled: 1-line block ×3, first 2 shown]
	s_waitcnt lgkmcnt(0)
	s_barrier
	buffer_gl0_inv
	ds_load_2addr_stride64_b64 v[1:4], v29 offset1:5
	ds_load_b64 v[5:6], v29 offset:5120
	s_add_i32 s13, s13, 1
	s_delay_alu instid0(SALU_CYCLE_1)
	s_cmp_eq_u32 s13, 10
	s_waitcnt lgkmcnt(1)
	v_xor_b32_e32 v1, 0x80000000, v1
	v_xor_b32_e32 v2, 0x80000000, v2
	;; [unrolled: 1-line block ×4, first 2 shown]
	s_waitcnt lgkmcnt(0)
	v_xor_b32_e32 v5, 0x80000000, v5
	v_xor_b32_e32 v6, 0x80000000, v6
	s_cbranch_scc1 .LBB370_18
.LBB370_2:                              ; =>This Loop Header: Depth=1
                                        ;     Child Loop BB370_4 Depth 2
	s_waitcnt vmcnt(0)
	v_xor_b32_e32 v2, 0x80000000, v2
	v_xor_b32_e32 v1, 0x80000000, v1
	v_xor_b32_e32 v4, 0x80000000, v4
	v_xor_b32_e32 v3, 0x80000000, v3
	v_xor_b32_e32 v6, 0x80000000, v6
	v_xor_b32_e32 v5, 0x80000000, v5
	ds_store_2addr_b64 v21, v[1:2], v[3:4] offset1:1
	ds_store_b64 v21, v[5:6] offset:16
	; wave barrier
	ds_load_2addr_b64 v[0:3], v22 offset1:32
	ds_load_b64 v[4:5], v22 offset:512
	s_mov_b32 s16, 8
	s_mov_b32 s17, 32
	;; [unrolled: 1-line block ×3, first 2 shown]
	s_waitcnt lgkmcnt(0)
	s_barrier
	buffer_gl0_inv
	; wave barrier
	s_barrier
	s_branch .LBB370_4
.LBB370_3:                              ;   in Loop: Header=BB370_4 Depth=2
	s_barrier
	buffer_gl0_inv
	ds_store_b64 v6, v[14:15]
	ds_store_b64 v7, v[18:19]
	;; [unrolled: 1-line block ×3, first 2 shown]
	s_waitcnt lgkmcnt(0)
	s_barrier
	buffer_gl0_inv
	ds_load_2addr_b64 v[0:3], v28 offset1:32
	ds_load_b64 v[4:5], v28 offset:512
	s_add_i32 s17, s17, -8
	s_add_i32 s16, s16, 8
	s_add_i32 s20, s20, 8
	s_waitcnt lgkmcnt(0)
	s_barrier
	s_cbranch_execz .LBB370_1
.LBB370_4:                              ;   Parent Loop BB370_2 Depth=1
                                        ; =>  This Inner Loop Header: Depth=2
	s_min_i32 s11, s16, 32
	s_cmp_lt_u32 s20, 32
	v_dual_mov_b32 v15, v1 :: v_dual_mov_b32 v14, v0
	s_cselect_b32 vcc_lo, -1, 0
	s_cmp_gt_u32 s20, 24
	buffer_gl0_inv
	s_cselect_b32 s10, -1, 0
	s_sub_i32 s11, s11, 32
	v_lshrrev_b32_e32 v1, s20, v15
	s_add_i32 s12, s11, s17
	ds_store_2addr_b64 v20, v[10:11], v[12:13] offset0:5 offset1:6
	ds_store_2addr_b64 v23, v[10:11], v[12:13] offset0:2 offset1:3
	s_lshl_b32 s12, -1, s12
	s_waitcnt lgkmcnt(0)
	s_not_b32 s12, s12
	s_cmp_lg_u32 s11, s20
	s_barrier
	s_cselect_b32 s21, s12, -1
	s_max_i32 s22, s17, 0
	s_max_i32 s11, s20, 32
	v_and_b32_e32 v1, s21, v1
	s_sub_i32 s12, s11, s22
	s_sub_i32 s23, s11, 32
	;; [unrolled: 1-line block ×3, first 2 shown]
	v_lshrrev_b32_e32 v0, s23, v14
	s_min_i32 s11, s12, 32
	buffer_gl0_inv
	s_sub_i32 s11, s11, s23
	s_delay_alu instid0(SALU_CYCLE_1) | instskip(NEXT) | instid1(SALU_CYCLE_1)
	s_lshl_b32 s12, -1, s11
	; wave barrier
	s_not_b32 s12, s12
	s_cmp_lg_u32 s11, 32
	v_cndmask_b32_e32 v1, 0, v1, vcc_lo
	s_cselect_b32 s24, s12, -1
	s_delay_alu instid0(SALU_CYCLE_1) | instskip(NEXT) | instid1(VALU_DEP_1)
	v_and_b32_e32 v0, s24, v0
	v_lshlrev_b32_e32 v0, s22, v0
	s_delay_alu instid0(VALU_DEP_1) | instskip(NEXT) | instid1(VALU_DEP_1)
	v_cndmask_b32_e64 v0, 0, v0, s10
	v_or_b32_e32 v6, v1, v0
	s_delay_alu instid0(VALU_DEP_1)
	v_and_b32_e32 v0, 1, v6
	v_lshlrev_b32_e32 v1, 30, v6
	v_lshlrev_b32_e32 v7, 29, v6
	;; [unrolled: 1-line block ×4, first 2 shown]
	v_add_co_u32 v0, s11, v0, -1
	s_delay_alu instid0(VALU_DEP_1)
	v_cndmask_b32_e64 v17, 0, 1, s11
	v_not_b32_e32 v31, v1
	v_cmp_gt_i32_e64 s12, 0, v1
	v_not_b32_e32 v1, v7
	v_lshlrev_b32_e32 v19, 26, v6
	v_cmp_ne_u32_e64 s11, 0, v17
	v_ashrrev_i32_e32 v31, 31, v31
	v_lshlrev_b32_e32 v30, 25, v6
	v_ashrrev_i32_e32 v1, 31, v1
	v_lshlrev_b32_e32 v17, 24, v6
	v_xor_b32_e32 v0, s11, v0
	v_cmp_gt_i32_e64 s11, 0, v7
	v_not_b32_e32 v7, v16
	v_xor_b32_e32 v31, s12, v31
	v_cmp_gt_i32_e64 s12, 0, v16
	v_and_b32_e32 v0, exec_lo, v0
	v_not_b32_e32 v16, v18
	v_ashrrev_i32_e32 v7, 31, v7
	v_xor_b32_e32 v1, s11, v1
	v_cmp_gt_i32_e64 s11, 0, v18
	v_and_b32_e32 v0, v0, v31
	v_not_b32_e32 v18, v19
	v_ashrrev_i32_e32 v16, 31, v16
	v_xor_b32_e32 v7, s12, v7
	v_cmp_gt_i32_e64 s12, 0, v19
	v_and_b32_e32 v0, v0, v1
	;; [unrolled: 5-line block ×4, first 2 shown]
	v_ashrrev_i32_e32 v7, 31, v7
	v_xor_b32_e32 v1, s11, v1
	v_dual_mov_b32 v17, v5 :: v_dual_mov_b32 v16, v4
	s_delay_alu instid0(VALU_DEP_4) | instskip(NEXT) | instid1(VALU_DEP_4)
	v_and_b32_e32 v0, v0, v18
	v_xor_b32_e32 v7, s12, v7
	v_dual_mov_b32 v19, v3 :: v_dual_mov_b32 v18, v2
	s_delay_alu instid0(VALU_DEP_3) | instskip(SKIP_1) | instid1(VALU_DEP_2)
	v_and_b32_e32 v0, v0, v1
	v_mad_u64_u32 v[1:2], null, v6, 10, v[9:10]
	v_and_b32_e32 v0, v0, v7
	s_delay_alu instid0(VALU_DEP_2) | instskip(NEXT) | instid1(VALU_DEP_2)
	v_lshl_add_u32 v31, v1, 2, 40
	v_mbcnt_lo_u32_b32 v30, v0, 0
	v_cmp_ne_u32_e64 s12, 0, v0
	s_delay_alu instid0(VALU_DEP_2) | instskip(NEXT) | instid1(VALU_DEP_1)
	v_cmp_eq_u32_e64 s11, 0, v30
	s_and_b32 s12, s11, s12
	s_delay_alu instid0(SALU_CYCLE_1)
	s_and_saveexec_b32 s11, s12
	s_cbranch_execz .LBB370_6
; %bb.5:                                ;   in Loop: Header=BB370_4 Depth=2
	v_bcnt_u32_b32 v0, v0, 0
	ds_store_b32 v31, v0
.LBB370_6:                              ;   in Loop: Header=BB370_4 Depth=2
	s_or_b32 exec_lo, exec_lo, s11
	v_lshrrev_b32_e32 v0, s23, v18
	v_lshrrev_b32_e32 v1, s20, v19
	; wave barrier
	s_delay_alu instid0(VALU_DEP_1) | instskip(NEXT) | instid1(VALU_DEP_1)
	v_and_b32_e32 v1, s21, v1
	v_dual_cndmask_b32 v1, 0, v1 :: v_dual_and_b32 v0, s24, v0
	s_delay_alu instid0(VALU_DEP_1) | instskip(NEXT) | instid1(VALU_DEP_1)
	v_lshlrev_b32_e32 v0, s22, v0
	v_cndmask_b32_e64 v0, 0, v0, s10
	s_delay_alu instid0(VALU_DEP_1) | instskip(NEXT) | instid1(VALU_DEP_1)
	v_or_b32_e32 v0, v1, v0
	v_and_b32_e32 v2, 1, v0
	v_lshlrev_b32_e32 v3, 30, v0
	v_lshlrev_b32_e32 v4, 29, v0
	;; [unrolled: 1-line block ×4, first 2 shown]
	v_add_co_u32 v2, s11, v2, -1
	s_delay_alu instid0(VALU_DEP_1)
	v_cndmask_b32_e64 v6, 0, 1, s11
	v_not_b32_e32 v34, v3
	v_cmp_gt_i32_e64 s12, 0, v3
	v_not_b32_e32 v3, v4
	v_lshlrev_b32_e32 v32, 26, v0
	v_cmp_ne_u32_e64 s11, 0, v6
	v_ashrrev_i32_e32 v6, 31, v34
	v_lshlrev_b32_e32 v33, 25, v0
	v_ashrrev_i32_e32 v3, 31, v3
	v_mul_lo_u32 v1, v0, 10
	v_xor_b32_e32 v2, s11, v2
	v_cmp_gt_i32_e64 s11, 0, v4
	v_not_b32_e32 v4, v5
	v_xor_b32_e32 v6, s12, v6
	v_cmp_gt_i32_e64 s12, 0, v5
	v_and_b32_e32 v2, exec_lo, v2
	v_not_b32_e32 v5, v7
	v_ashrrev_i32_e32 v4, 31, v4
	v_xor_b32_e32 v3, s11, v3
	v_cmp_gt_i32_e64 s11, 0, v7
	v_and_b32_e32 v2, v2, v6
	v_not_b32_e32 v6, v32
	v_ashrrev_i32_e32 v5, 31, v5
	v_xor_b32_e32 v4, s12, v4
	v_lshlrev_b32_e32 v0, 24, v0
	v_and_b32_e32 v2, v2, v3
	v_cmp_gt_i32_e64 s12, 0, v32
	v_not_b32_e32 v3, v33
	v_ashrrev_i32_e32 v6, 31, v6
	v_xor_b32_e32 v5, s11, v5
	v_and_b32_e32 v2, v2, v4
	v_cmp_gt_i32_e64 s11, 0, v33
	v_not_b32_e32 v4, v0
	v_ashrrev_i32_e32 v3, 31, v3
	v_xor_b32_e32 v6, s12, v6
	v_and_b32_e32 v2, v2, v5
	v_cmp_gt_i32_e64 s12, 0, v0
	v_ashrrev_i32_e32 v0, 31, v4
	v_xor_b32_e32 v3, s11, v3
	v_add_lshl_u32 v1, v1, v9, 2
	v_and_b32_e32 v2, v2, v6
	s_delay_alu instid0(VALU_DEP_4) | instskip(SKIP_3) | instid1(VALU_DEP_2)
	v_xor_b32_e32 v0, s12, v0
	ds_load_b32 v32, v1 offset:40
	v_and_b32_e32 v2, v2, v3
	v_add_nc_u32_e32 v34, 40, v1
	; wave barrier
	v_and_b32_e32 v0, v2, v0
	s_delay_alu instid0(VALU_DEP_1) | instskip(SKIP_1) | instid1(VALU_DEP_2)
	v_mbcnt_lo_u32_b32 v33, v0, 0
	v_cmp_ne_u32_e64 s12, 0, v0
	v_cmp_eq_u32_e64 s11, 0, v33
	s_delay_alu instid0(VALU_DEP_1) | instskip(NEXT) | instid1(SALU_CYCLE_1)
	s_and_b32 s12, s11, s12
	s_and_saveexec_b32 s11, s12
	s_cbranch_execz .LBB370_8
; %bb.7:                                ;   in Loop: Header=BB370_4 Depth=2
	s_waitcnt lgkmcnt(0)
	v_bcnt_u32_b32 v0, v0, v32
	ds_store_b32 v34, v0
.LBB370_8:                              ;   in Loop: Header=BB370_4 Depth=2
	s_or_b32 exec_lo, exec_lo, s11
	v_lshrrev_b32_e32 v0, s23, v16
	v_lshrrev_b32_e32 v1, s20, v17
	; wave barrier
	s_delay_alu instid0(VALU_DEP_1) | instskip(NEXT) | instid1(VALU_DEP_1)
	v_and_b32_e32 v1, s21, v1
	v_dual_cndmask_b32 v1, 0, v1 :: v_dual_and_b32 v0, s24, v0
	s_delay_alu instid0(VALU_DEP_1) | instskip(NEXT) | instid1(VALU_DEP_1)
	v_lshlrev_b32_e32 v0, s22, v0
	v_cndmask_b32_e64 v0, 0, v0, s10
	s_delay_alu instid0(VALU_DEP_1) | instskip(NEXT) | instid1(VALU_DEP_1)
	v_or_b32_e32 v0, v1, v0
	v_and_b32_e32 v2, 1, v0
	v_lshlrev_b32_e32 v3, 30, v0
	v_lshlrev_b32_e32 v4, 29, v0
	;; [unrolled: 1-line block ×4, first 2 shown]
	v_add_co_u32 v2, s10, v2, -1
	s_delay_alu instid0(VALU_DEP_1)
	v_cndmask_b32_e64 v6, 0, 1, s10
	v_not_b32_e32 v37, v3
	v_cmp_gt_i32_e64 s10, 0, v3
	v_not_b32_e32 v3, v4
	v_lshlrev_b32_e32 v35, 26, v0
	v_cmp_ne_u32_e32 vcc_lo, 0, v6
	v_ashrrev_i32_e32 v6, 31, v37
	v_lshlrev_b32_e32 v36, 25, v0
	v_ashrrev_i32_e32 v3, 31, v3
	v_mul_lo_u32 v1, v0, 10
	v_xor_b32_e32 v2, vcc_lo, v2
	v_cmp_gt_i32_e32 vcc_lo, 0, v4
	v_not_b32_e32 v4, v5
	v_xor_b32_e32 v6, s10, v6
	v_cmp_gt_i32_e64 s10, 0, v5
	v_and_b32_e32 v2, exec_lo, v2
	v_not_b32_e32 v5, v7
	v_ashrrev_i32_e32 v4, 31, v4
	v_xor_b32_e32 v3, vcc_lo, v3
	v_cmp_gt_i32_e32 vcc_lo, 0, v7
	v_and_b32_e32 v2, v2, v6
	v_not_b32_e32 v6, v35
	v_ashrrev_i32_e32 v5, 31, v5
	v_xor_b32_e32 v4, s10, v4
	v_lshlrev_b32_e32 v0, 24, v0
	v_and_b32_e32 v2, v2, v3
	v_cmp_gt_i32_e64 s10, 0, v35
	v_not_b32_e32 v3, v36
	v_ashrrev_i32_e32 v6, 31, v6
	v_xor_b32_e32 v5, vcc_lo, v5
	v_and_b32_e32 v2, v2, v4
	v_cmp_gt_i32_e32 vcc_lo, 0, v36
	v_not_b32_e32 v4, v0
	v_ashrrev_i32_e32 v3, 31, v3
	v_xor_b32_e32 v6, s10, v6
	v_and_b32_e32 v2, v2, v5
	v_cmp_gt_i32_e64 s10, 0, v0
	v_ashrrev_i32_e32 v0, 31, v4
	v_xor_b32_e32 v3, vcc_lo, v3
	v_add_lshl_u32 v1, v1, v9, 2
	v_and_b32_e32 v2, v2, v6
	s_delay_alu instid0(VALU_DEP_4) | instskip(SKIP_3) | instid1(VALU_DEP_2)
	v_xor_b32_e32 v0, s10, v0
	ds_load_b32 v35, v1 offset:40
	v_and_b32_e32 v2, v2, v3
	v_add_nc_u32_e32 v37, 40, v1
	; wave barrier
	v_and_b32_e32 v0, v2, v0
	s_delay_alu instid0(VALU_DEP_1) | instskip(SKIP_1) | instid1(VALU_DEP_2)
	v_mbcnt_lo_u32_b32 v36, v0, 0
	v_cmp_ne_u32_e64 s10, 0, v0
	v_cmp_eq_u32_e32 vcc_lo, 0, v36
	s_delay_alu instid0(VALU_DEP_2) | instskip(NEXT) | instid1(SALU_CYCLE_1)
	s_and_b32 s11, vcc_lo, s10
	s_and_saveexec_b32 s10, s11
	s_cbranch_execz .LBB370_10
; %bb.9:                                ;   in Loop: Header=BB370_4 Depth=2
	s_waitcnt lgkmcnt(0)
	v_bcnt_u32_b32 v0, v0, v35
	ds_store_b32 v37, v0
.LBB370_10:                             ;   in Loop: Header=BB370_4 Depth=2
	s_or_b32 exec_lo, exec_lo, s10
	; wave barrier
	s_waitcnt lgkmcnt(0)
	s_barrier
	buffer_gl0_inv
	ds_load_2addr_b64 v[4:7], v20 offset0:5 offset1:6
	ds_load_2addr_b64 v[0:3], v23 offset0:2 offset1:3
	s_waitcnt lgkmcnt(1)
	v_add_nc_u32_e32 v38, v5, v4
	s_delay_alu instid0(VALU_DEP_1) | instskip(SKIP_1) | instid1(VALU_DEP_1)
	v_add3_u32 v38, v38, v6, v7
	s_waitcnt lgkmcnt(0)
	v_add3_u32 v38, v38, v0, v1
	s_delay_alu instid0(VALU_DEP_1) | instskip(NEXT) | instid1(VALU_DEP_1)
	v_add3_u32 v3, v38, v2, v3
	v_mov_b32_dpp v38, v3 row_shr:1 row_mask:0xf bank_mask:0xf
	s_delay_alu instid0(VALU_DEP_1) | instskip(NEXT) | instid1(VALU_DEP_1)
	v_cndmask_b32_e64 v38, v38, 0, s0
	v_add_nc_u32_e32 v3, v38, v3
	s_delay_alu instid0(VALU_DEP_1) | instskip(NEXT) | instid1(VALU_DEP_1)
	v_mov_b32_dpp v38, v3 row_shr:2 row_mask:0xf bank_mask:0xf
	v_cndmask_b32_e64 v38, 0, v38, s1
	s_delay_alu instid0(VALU_DEP_1) | instskip(NEXT) | instid1(VALU_DEP_1)
	v_add_nc_u32_e32 v3, v3, v38
	v_mov_b32_dpp v38, v3 row_shr:4 row_mask:0xf bank_mask:0xf
	s_delay_alu instid0(VALU_DEP_1) | instskip(NEXT) | instid1(VALU_DEP_1)
	v_cndmask_b32_e64 v38, 0, v38, s2
	v_add_nc_u32_e32 v3, v3, v38
	s_delay_alu instid0(VALU_DEP_1) | instskip(NEXT) | instid1(VALU_DEP_1)
	v_mov_b32_dpp v38, v3 row_shr:8 row_mask:0xf bank_mask:0xf
	v_cndmask_b32_e64 v38, 0, v38, s3
	s_delay_alu instid0(VALU_DEP_1) | instskip(SKIP_3) | instid1(VALU_DEP_1)
	v_add_nc_u32_e32 v3, v3, v38
	ds_swizzle_b32 v38, v3 offset:swizzle(BROADCAST,32,15)
	s_waitcnt lgkmcnt(0)
	v_cndmask_b32_e64 v38, v38, 0, s4
	v_add_nc_u32_e32 v3, v3, v38
	s_and_saveexec_b32 s10, s5
	s_cbranch_execz .LBB370_12
; %bb.11:                               ;   in Loop: Header=BB370_4 Depth=2
	ds_store_b32 v25, v3
.LBB370_12:                             ;   in Loop: Header=BB370_4 Depth=2
	s_or_b32 exec_lo, exec_lo, s10
	s_waitcnt lgkmcnt(0)
	s_barrier
	buffer_gl0_inv
	s_and_saveexec_b32 s10, s6
	s_cbranch_execz .LBB370_14
; %bb.13:                               ;   in Loop: Header=BB370_4 Depth=2
	ds_load_b32 v38, v26
	s_waitcnt lgkmcnt(0)
	v_mov_b32_dpp v39, v38 row_shr:1 row_mask:0xf bank_mask:0xf
	s_delay_alu instid0(VALU_DEP_1) | instskip(NEXT) | instid1(VALU_DEP_1)
	v_cndmask_b32_e64 v39, v39, 0, s0
	v_add_nc_u32_e32 v38, v39, v38
	s_delay_alu instid0(VALU_DEP_1) | instskip(NEXT) | instid1(VALU_DEP_1)
	v_mov_b32_dpp v39, v38 row_shr:2 row_mask:0xf bank_mask:0xf
	v_cndmask_b32_e64 v39, 0, v39, s1
	s_delay_alu instid0(VALU_DEP_1) | instskip(NEXT) | instid1(VALU_DEP_1)
	v_add_nc_u32_e32 v38, v38, v39
	v_mov_b32_dpp v39, v38 row_shr:4 row_mask:0xf bank_mask:0xf
	s_delay_alu instid0(VALU_DEP_1) | instskip(NEXT) | instid1(VALU_DEP_1)
	v_cndmask_b32_e64 v39, 0, v39, s2
	v_add_nc_u32_e32 v38, v38, v39
	s_delay_alu instid0(VALU_DEP_1) | instskip(NEXT) | instid1(VALU_DEP_1)
	v_mov_b32_dpp v39, v38 row_shr:8 row_mask:0xf bank_mask:0xf
	v_cndmask_b32_e64 v39, 0, v39, s3
	s_delay_alu instid0(VALU_DEP_1)
	v_add_nc_u32_e32 v38, v38, v39
	ds_store_b32 v26, v38
.LBB370_14:                             ;   in Loop: Header=BB370_4 Depth=2
	s_or_b32 exec_lo, exec_lo, s10
	v_mov_b32_e32 v38, 0
	s_waitcnt lgkmcnt(0)
	s_barrier
	buffer_gl0_inv
	s_and_saveexec_b32 s10, s7
	s_cbranch_execz .LBB370_16
; %bb.15:                               ;   in Loop: Header=BB370_4 Depth=2
	ds_load_b32 v38, v27
.LBB370_16:                             ;   in Loop: Header=BB370_4 Depth=2
	s_or_b32 exec_lo, exec_lo, s10
	s_waitcnt lgkmcnt(0)
	v_add_nc_u32_e32 v3, v38, v3
	s_cmp_gt_u32 s20, 55
	ds_bpermute_b32 v3, v24, v3
	s_waitcnt lgkmcnt(0)
	v_cndmask_b32_e64 v3, v3, v38, s8
	s_delay_alu instid0(VALU_DEP_1) | instskip(NEXT) | instid1(VALU_DEP_1)
	v_cndmask_b32_e64 v3, v3, 0, s9
	v_add_nc_u32_e32 v4, v3, v4
	s_delay_alu instid0(VALU_DEP_1) | instskip(NEXT) | instid1(VALU_DEP_1)
	v_add_nc_u32_e32 v5, v4, v5
	v_add_nc_u32_e32 v6, v5, v6
	s_delay_alu instid0(VALU_DEP_1) | instskip(NEXT) | instid1(VALU_DEP_1)
	v_add_nc_u32_e32 v38, v6, v7
	;; [unrolled: 3-line block ×3, first 2 shown]
	v_add_nc_u32_e32 v1, v0, v2
	ds_store_2addr_b64 v20, v[3:4], v[5:6] offset0:5 offset1:6
	ds_store_2addr_b64 v23, v[38:39], v[0:1] offset0:2 offset1:3
	s_waitcnt lgkmcnt(0)
	s_barrier
	buffer_gl0_inv
	ds_load_b32 v0, v34
	ds_load_b32 v1, v37
	ds_load_b32 v2, v31
	v_lshlrev_b32_e32 v3, 3, v30
	v_lshlrev_b32_e32 v4, 3, v33
	;; [unrolled: 1-line block ×5, first 2 shown]
	s_waitcnt lgkmcnt(0)
	v_lshlrev_b32_e32 v0, 3, v0
	v_lshlrev_b32_e32 v1, 3, v1
	v_lshl_add_u32 v6, v2, 3, v3
	s_delay_alu instid0(VALU_DEP_3) | instskip(NEXT) | instid1(VALU_DEP_3)
	v_add3_u32 v7, v4, v5, v0
	v_add3_u32 v30, v30, v31, v1
	s_cbranch_scc0 .LBB370_3
; %bb.17:                               ;   in Loop: Header=BB370_2 Depth=1
                                        ; implicit-def: $sgpr20
                                        ; implicit-def: $vgpr0_vgpr1
                                        ; implicit-def: $vgpr4_vgpr5
                                        ; implicit-def: $sgpr17
                                        ; implicit-def: $sgpr16
	s_branch .LBB370_1
.LBB370_18:
	v_lshlrev_b32_e32 v0, 3, v8
	s_add_u32 s0, s18, s14
	s_addc_u32 s1, s19, s15
	s_delay_alu instid0(VALU_DEP_1) | instskip(NEXT) | instid1(VALU_DEP_1)
	v_add_co_u32 v7, s2, s0, v0
	v_add_co_ci_u32_e64 v8, null, s1, 0, s2
	s_delay_alu instid0(VALU_DEP_2) | instskip(NEXT) | instid1(VALU_DEP_2)
	v_add_co_u32 v7, vcc_lo, 0x1000, v7
	v_add_co_ci_u32_e32 v8, vcc_lo, 0, v8, vcc_lo
	s_clause 0x2
	global_store_b64 v0, v[1:2], s[0:1]
	global_store_b64 v0, v[3:4], s[0:1] offset:2560
	global_store_b64 v[7:8], v[5:6], off offset:1024
	s_nop 0
	s_sendmsg sendmsg(MSG_DEALLOC_VGPRS)
	s_endpgm
	.section	.rodata,"a",@progbits
	.p2align	6, 0x0
	.amdhsa_kernel _Z16sort_keys_kernelI22helper_blocked_stripedN15benchmark_utils11custom_typeIiiEELj320ELj3ELj10EEvPKT0_PS4_
		.amdhsa_group_segment_fixed_size 10288
		.amdhsa_private_segment_fixed_size 0
		.amdhsa_kernarg_size 272
		.amdhsa_user_sgpr_count 15
		.amdhsa_user_sgpr_dispatch_ptr 0
		.amdhsa_user_sgpr_queue_ptr 0
		.amdhsa_user_sgpr_kernarg_segment_ptr 1
		.amdhsa_user_sgpr_dispatch_id 0
		.amdhsa_user_sgpr_private_segment_size 0
		.amdhsa_wavefront_size32 1
		.amdhsa_uses_dynamic_stack 0
		.amdhsa_enable_private_segment 0
		.amdhsa_system_sgpr_workgroup_id_x 1
		.amdhsa_system_sgpr_workgroup_id_y 0
		.amdhsa_system_sgpr_workgroup_id_z 0
		.amdhsa_system_sgpr_workgroup_info 0
		.amdhsa_system_vgpr_workitem_id 2
		.amdhsa_next_free_vgpr 40
		.amdhsa_next_free_sgpr 25
		.amdhsa_reserve_vcc 1
		.amdhsa_float_round_mode_32 0
		.amdhsa_float_round_mode_16_64 0
		.amdhsa_float_denorm_mode_32 3
		.amdhsa_float_denorm_mode_16_64 3
		.amdhsa_dx10_clamp 1
		.amdhsa_ieee_mode 1
		.amdhsa_fp16_overflow 0
		.amdhsa_workgroup_processor_mode 1
		.amdhsa_memory_ordered 1
		.amdhsa_forward_progress 0
		.amdhsa_shared_vgpr_count 0
		.amdhsa_exception_fp_ieee_invalid_op 0
		.amdhsa_exception_fp_denorm_src 0
		.amdhsa_exception_fp_ieee_div_zero 0
		.amdhsa_exception_fp_ieee_overflow 0
		.amdhsa_exception_fp_ieee_underflow 0
		.amdhsa_exception_fp_ieee_inexact 0
		.amdhsa_exception_int_div_zero 0
	.end_amdhsa_kernel
	.section	.text._Z16sort_keys_kernelI22helper_blocked_stripedN15benchmark_utils11custom_typeIiiEELj320ELj3ELj10EEvPKT0_PS4_,"axG",@progbits,_Z16sort_keys_kernelI22helper_blocked_stripedN15benchmark_utils11custom_typeIiiEELj320ELj3ELj10EEvPKT0_PS4_,comdat
.Lfunc_end370:
	.size	_Z16sort_keys_kernelI22helper_blocked_stripedN15benchmark_utils11custom_typeIiiEELj320ELj3ELj10EEvPKT0_PS4_, .Lfunc_end370-_Z16sort_keys_kernelI22helper_blocked_stripedN15benchmark_utils11custom_typeIiiEELj320ELj3ELj10EEvPKT0_PS4_
                                        ; -- End function
	.section	.AMDGPU.csdata,"",@progbits
; Kernel info:
; codeLenInByte = 2764
; NumSgprs: 27
; NumVgprs: 40
; ScratchSize: 0
; MemoryBound: 0
; FloatMode: 240
; IeeeMode: 1
; LDSByteSize: 10288 bytes/workgroup (compile time only)
; SGPRBlocks: 3
; VGPRBlocks: 4
; NumSGPRsForWavesPerEU: 27
; NumVGPRsForWavesPerEU: 40
; Occupancy: 15
; WaveLimiterHint : 1
; COMPUTE_PGM_RSRC2:SCRATCH_EN: 0
; COMPUTE_PGM_RSRC2:USER_SGPR: 15
; COMPUTE_PGM_RSRC2:TRAP_HANDLER: 0
; COMPUTE_PGM_RSRC2:TGID_X_EN: 1
; COMPUTE_PGM_RSRC2:TGID_Y_EN: 0
; COMPUTE_PGM_RSRC2:TGID_Z_EN: 0
; COMPUTE_PGM_RSRC2:TIDIG_COMP_CNT: 2
	.section	.text._Z17sort_pairs_kernelI22helper_blocked_stripedN15benchmark_utils11custom_typeIiiEELj320ELj3ELj10EEvPKT0_PS4_,"axG",@progbits,_Z17sort_pairs_kernelI22helper_blocked_stripedN15benchmark_utils11custom_typeIiiEELj320ELj3ELj10EEvPKT0_PS4_,comdat
	.protected	_Z17sort_pairs_kernelI22helper_blocked_stripedN15benchmark_utils11custom_typeIiiEELj320ELj3ELj10EEvPKT0_PS4_ ; -- Begin function _Z17sort_pairs_kernelI22helper_blocked_stripedN15benchmark_utils11custom_typeIiiEELj320ELj3ELj10EEvPKT0_PS4_
	.globl	_Z17sort_pairs_kernelI22helper_blocked_stripedN15benchmark_utils11custom_typeIiiEELj320ELj3ELj10EEvPKT0_PS4_
	.p2align	8
	.type	_Z17sort_pairs_kernelI22helper_blocked_stripedN15benchmark_utils11custom_typeIiiEELj320ELj3ELj10EEvPKT0_PS4_,@function
_Z17sort_pairs_kernelI22helper_blocked_stripedN15benchmark_utils11custom_typeIiiEELj320ELj3ELj10EEvPKT0_PS4_: ; @_Z17sort_pairs_kernelI22helper_blocked_stripedN15benchmark_utils11custom_typeIiiEELj320ELj3ELj10EEvPKT0_PS4_
; %bb.0:
	s_clause 0x1
	s_load_b128 s[16:19], s[0:1], 0x0
	s_load_b32 s9, s[0:1], 0x1c
	v_and_b32_e32 v9, 0x3ff, v0
	s_mov_b32 s13, 0
	s_mul_i32 s12, s15, 0x3c0
	v_mbcnt_lo_u32_b32 v7, -1, 0
	s_lshl_b64 s[14:15], s[12:13], 3
	v_mul_u32_u24_e32 v1, 3, v9
	s_mov_b32 s12, s13
	s_delay_alu instid0(VALU_DEP_2) | instskip(NEXT) | instid1(VALU_DEP_2)
	v_add_nc_u32_e32 v14, -1, v7
	v_dual_mov_b32 v12, s12 :: v_dual_lshlrev_b32 v5, 3, v1
	v_dual_mov_b32 v13, s13 :: v_dual_and_b32 v8, 16, v7
	s_delay_alu instid0(VALU_DEP_3) | instskip(SKIP_1) | instid1(VALU_DEP_3)
	v_cmp_gt_i32_e32 vcc_lo, 0, v14
	v_and_b32_e32 v6, 15, v7
	v_cmp_eq_u32_e64 s5, 0, v8
	s_waitcnt lgkmcnt(0)
	s_add_u32 s0, s16, s14
	s_addc_u32 s1, s17, s15
	s_clause 0x1
	global_load_b128 v[1:4], v5, s[0:1]
	global_load_b64 v[15:16], v5, s[0:1] offset:16
	s_mov_b32 s1, s13
	s_mov_b32 s0, s13
	v_mov_b32_e32 v11, s1
	v_bfe_u32 v5, v0, 10, 10
	v_bfe_u32 v0, v0, 20, 10
	v_mov_b32_e32 v10, s0
	v_lshrrev_b32_e32 v17, 5, v9
	v_dual_cndmask_b32 v8, v14, v7 :: v_dual_lshlrev_b32 v31, 5, v9
	v_cmp_eq_u32_e64 s1, 0, v6
	v_cmp_lt_u32_e64 s2, 1, v6
	v_cmp_lt_u32_e64 s3, 3, v6
	;; [unrolled: 1-line block ×3, first 2 shown]
	v_and_b32_e32 v6, 0x1e0, v9
	s_lshr_b32 s10, s9, 16
	v_mul_u32_u24_e32 v14, 0x60, v17
	v_mad_u32_u24 v0, v0, s10, v5
	v_lshlrev_b32_e32 v33, 2, v8
	v_min_u32_e32 v18, 0x120, v6
	v_mul_u32_u24_e32 v8, 3, v6
	s_and_b32 s9, s9, 0xffff
	v_lshlrev_b32_e32 v19, 2, v9
	v_mad_u64_u32 v[5:6], null, v0, s9, v[9:10]
	v_lshlrev_b32_e32 v34, 2, v17
	v_mad_i32_i24 v35, 0xffffffe4, v9, v31
	v_lshlrev_b32_e32 v17, 3, v14
	v_or_b32_e32 v14, v7, v14
	v_or_b32_e32 v0, 31, v18
	;; [unrolled: 1-line block ×3, first 2 shown]
	v_cmp_eq_u32_e64 s0, 0, v7
	v_cmp_gt_u32_e64 s6, 10, v9
	v_cmp_lt_u32_e64 s7, 31, v9
	v_cmp_eq_u32_e64 s8, 0, v9
	v_add_nc_u32_e32 v32, 40, v31
	v_add_nc_u32_e32 v36, -4, v34
	v_mad_u32_u24 v37, v7, 24, v17
	v_lshlrev_b32_e32 v38, 3, v14
	v_cmp_eq_u32_e64 s9, v0, v9
	v_lshlrev_b32_e32 v39, 3, v6
	v_lshrrev_b32_e32 v14, 5, v5
	v_add_nc_u32_e32 v40, v35, v19
	s_waitcnt vmcnt(1)
	v_add_nc_u32_e32 v6, 1, v2
	v_add_nc_u32_e32 v5, 1, v1
	;; [unrolled: 1-line block ×4, first 2 shown]
	s_waitcnt vmcnt(0)
	v_add_nc_u32_e32 v18, 1, v16
	v_add_nc_u32_e32 v17, 1, v15
	s_branch .LBB371_2
.LBB371_1:                              ;   in Loop: Header=BB371_2 Depth=1
	s_barrier
	buffer_gl0_inv
	ds_store_b64 v8, v[15:16]
	ds_store_b64 v41, v[25:26]
	;; [unrolled: 1-line block ×3, first 2 shown]
	s_waitcnt lgkmcnt(0)
	s_barrier
	buffer_gl0_inv
	ds_load_2addr_stride64_b64 v[1:4], v40 offset1:5
	ds_load_b64 v[15:16], v40 offset:5120
	s_waitcnt lgkmcnt(0)
	s_barrier
	buffer_gl0_inv
	ds_store_b64 v8, v[21:22]
	ds_store_b64 v41, v[19:20]
	;; [unrolled: 1-line block ×3, first 2 shown]
	s_waitcnt lgkmcnt(0)
	s_barrier
	buffer_gl0_inv
	ds_load_2addr_stride64_b64 v[5:8], v40 offset1:5
	ds_load_b64 v[17:18], v40 offset:5120
	s_add_i32 s13, s13, 1
	s_delay_alu instid0(SALU_CYCLE_1)
	s_cmp_lg_u32 s13, 10
	v_xor_b32_e32 v1, 0x80000000, v1
	v_xor_b32_e32 v2, 0x80000000, v2
	;; [unrolled: 1-line block ×6, first 2 shown]
	s_cbranch_scc0 .LBB371_18
.LBB371_2:                              ; =>This Loop Header: Depth=1
                                        ;     Child Loop BB371_4 Depth 2
	v_xor_b32_e32 v2, 0x80000000, v2
	v_xor_b32_e32 v1, 0x80000000, v1
	;; [unrolled: 1-line block ×6, first 2 shown]
	ds_store_2addr_b64 v37, v[1:2], v[3:4] offset1:1
	ds_store_b64 v37, v[15:16] offset:16
	; wave barrier
	ds_load_2addr_b64 v[0:3], v38 offset1:32
	ds_load_b64 v[27:28], v38 offset:512
	; wave barrier
	s_waitcnt lgkmcnt(5)
	ds_store_2addr_b64 v37, v[5:6], v[7:8] offset1:1
	s_waitcnt lgkmcnt(5)
	ds_store_b64 v37, v[17:18] offset:16
	; wave barrier
	ds_load_2addr_b64 v[4:7], v38 offset1:32
	ds_load_b64 v[29:30], v38 offset:512
	s_mov_b32 s16, 8
	s_mov_b32 s17, 32
	;; [unrolled: 1-line block ×3, first 2 shown]
	s_waitcnt lgkmcnt(0)
	s_barrier
	s_branch .LBB371_4
.LBB371_3:                              ;   in Loop: Header=BB371_4 Depth=2
	s_barrier
	buffer_gl0_inv
	ds_store_b64 v8, v[15:16]
	ds_store_b64 v41, v[25:26]
	;; [unrolled: 1-line block ×3, first 2 shown]
	s_waitcnt lgkmcnt(0)
	s_barrier
	buffer_gl0_inv
	ds_load_2addr_b64 v[0:3], v39 offset1:32
	ds_load_b64 v[27:28], v39 offset:512
	s_waitcnt lgkmcnt(0)
	s_barrier
	buffer_gl0_inv
	ds_store_b64 v8, v[21:22]
	ds_store_b64 v41, v[19:20]
	ds_store_b64 v42, v[17:18]
	s_waitcnt lgkmcnt(0)
	s_barrier
	buffer_gl0_inv
	ds_load_2addr_b64 v[4:7], v39 offset1:32
	ds_load_b64 v[29:30], v39 offset:512
	s_add_i32 s17, s17, -8
	s_add_i32 s16, s16, 8
	s_add_i32 s20, s20, 8
	s_waitcnt lgkmcnt(0)
	s_barrier
	s_cbranch_execz .LBB371_1
.LBB371_4:                              ;   Parent Loop BB371_2 Depth=1
                                        ; =>  This Inner Loop Header: Depth=2
	s_min_i32 s11, s16, 32
	s_cmp_lt_u32 s20, 32
	v_dual_mov_b32 v16, v1 :: v_dual_mov_b32 v15, v0
	s_cselect_b32 vcc_lo, -1, 0
	s_cmp_gt_u32 s20, 24
	buffer_gl0_inv
	s_cselect_b32 s10, -1, 0
	s_sub_i32 s11, s11, 32
	v_lshrrev_b32_e32 v1, s20, v16
	s_add_i32 s12, s11, s17
	ds_store_2addr_b64 v31, v[12:13], v[10:11] offset0:5 offset1:6
	ds_store_2addr_b64 v32, v[12:13], v[10:11] offset0:2 offset1:3
	s_lshl_b32 s12, -1, s12
	s_waitcnt lgkmcnt(0)
	s_not_b32 s12, s12
	s_cmp_lg_u32 s11, s20
	s_barrier
	s_cselect_b32 s21, s12, -1
	s_max_i32 s22, s17, 0
	s_max_i32 s11, s20, 32
	v_and_b32_e32 v1, s21, v1
	s_sub_i32 s12, s11, s22
	s_sub_i32 s23, s11, 32
	;; [unrolled: 1-line block ×3, first 2 shown]
	v_lshrrev_b32_e32 v0, s23, v15
	s_min_i32 s11, s12, 32
	buffer_gl0_inv
	s_sub_i32 s11, s11, s23
	s_delay_alu instid0(SALU_CYCLE_1) | instskip(NEXT) | instid1(SALU_CYCLE_1)
	s_lshl_b32 s12, -1, s11
	; wave barrier
	s_not_b32 s12, s12
	s_cmp_lg_u32 s11, 32
	v_cndmask_b32_e32 v1, 0, v1, vcc_lo
	s_cselect_b32 s24, s12, -1
	v_mov_b32_e32 v26, v3
	v_dual_mov_b32 v25, v2 :: v_dual_and_b32 v0, s24, v0
	s_delay_alu instid0(VALU_DEP_1) | instskip(NEXT) | instid1(VALU_DEP_1)
	v_lshlrev_b32_e32 v0, s22, v0
	v_cndmask_b32_e64 v0, 0, v0, s10
	s_delay_alu instid0(VALU_DEP_1) | instskip(NEXT) | instid1(VALU_DEP_1)
	v_or_b32_e32 v8, v1, v0
	v_and_b32_e32 v0, 1, v8
	v_lshlrev_b32_e32 v1, 30, v8
	v_lshlrev_b32_e32 v17, 29, v8
	;; [unrolled: 1-line block ×4, first 2 shown]
	v_add_co_u32 v0, s11, v0, -1
	s_delay_alu instid0(VALU_DEP_1)
	v_cndmask_b32_e64 v19, 0, 1, s11
	v_not_b32_e32 v23, v1
	v_cmp_gt_i32_e64 s12, 0, v1
	v_not_b32_e32 v1, v17
	v_lshlrev_b32_e32 v20, 27, v8
	v_cmp_ne_u32_e64 s11, 0, v19
	v_ashrrev_i32_e32 v23, 31, v23
	v_lshlrev_b32_e32 v22, 25, v8
	v_ashrrev_i32_e32 v1, 31, v1
	v_lshlrev_b32_e32 v19, 24, v8
	v_xor_b32_e32 v0, s11, v0
	v_cmp_gt_i32_e64 s11, 0, v17
	v_not_b32_e32 v17, v18
	v_xor_b32_e32 v23, s12, v23
	v_cmp_gt_i32_e64 s12, 0, v18
	v_and_b32_e32 v0, exec_lo, v0
	v_not_b32_e32 v18, v20
	v_ashrrev_i32_e32 v17, 31, v17
	v_xor_b32_e32 v1, s11, v1
	v_cmp_gt_i32_e64 s11, 0, v20
	v_and_b32_e32 v0, v0, v23
	v_not_b32_e32 v20, v21
	v_ashrrev_i32_e32 v18, 31, v18
	v_xor_b32_e32 v17, s12, v17
	v_cmp_gt_i32_e64 s12, 0, v21
	v_and_b32_e32 v0, v0, v1
	;; [unrolled: 5-line block ×4, first 2 shown]
	v_ashrrev_i32_e32 v17, 31, v17
	v_xor_b32_e32 v1, s11, v1
	v_dual_mov_b32 v22, v5 :: v_dual_mov_b32 v21, v4
	s_delay_alu instid0(VALU_DEP_4) | instskip(NEXT) | instid1(VALU_DEP_4)
	v_and_b32_e32 v0, v0, v20
	v_xor_b32_e32 v23, s12, v17
	v_dual_mov_b32 v20, v7 :: v_dual_mov_b32 v17, v29
	s_delay_alu instid0(VALU_DEP_3) | instskip(SKIP_2) | instid1(VALU_DEP_3)
	v_dual_mov_b32 v19, v6 :: v_dual_and_b32 v0, v0, v1
	v_mad_u64_u32 v[1:2], null, v8, 10, v[14:15]
	v_mov_b32_e32 v18, v30
	v_dual_mov_b32 v23, v27 :: v_dual_and_b32 v0, v0, v23
	v_mov_b32_e32 v24, v28
	s_delay_alu instid0(VALU_DEP_4) | instskip(NEXT) | instid1(VALU_DEP_3)
	v_lshl_add_u32 v27, v1, 2, 40
	v_mbcnt_lo_u32_b32 v8, v0, 0
	v_cmp_ne_u32_e64 s12, 0, v0
	s_delay_alu instid0(VALU_DEP_2) | instskip(NEXT) | instid1(VALU_DEP_1)
	v_cmp_eq_u32_e64 s11, 0, v8
	s_and_b32 s12, s11, s12
	s_delay_alu instid0(SALU_CYCLE_1)
	s_and_saveexec_b32 s11, s12
	s_cbranch_execz .LBB371_6
; %bb.5:                                ;   in Loop: Header=BB371_4 Depth=2
	v_bcnt_u32_b32 v0, v0, 0
	ds_store_b32 v27, v0
.LBB371_6:                              ;   in Loop: Header=BB371_4 Depth=2
	s_or_b32 exec_lo, exec_lo, s11
	v_lshrrev_b32_e32 v0, s23, v25
	v_lshrrev_b32_e32 v1, s20, v26
	; wave barrier
	s_delay_alu instid0(VALU_DEP_1) | instskip(NEXT) | instid1(VALU_DEP_1)
	v_and_b32_e32 v1, s21, v1
	v_dual_cndmask_b32 v1, 0, v1 :: v_dual_and_b32 v0, s24, v0
	s_delay_alu instid0(VALU_DEP_1) | instskip(NEXT) | instid1(VALU_DEP_1)
	v_lshlrev_b32_e32 v0, s22, v0
	v_cndmask_b32_e64 v0, 0, v0, s10
	s_delay_alu instid0(VALU_DEP_1) | instskip(NEXT) | instid1(VALU_DEP_1)
	v_or_b32_e32 v0, v1, v0
	v_and_b32_e32 v2, 1, v0
	v_lshlrev_b32_e32 v3, 30, v0
	v_lshlrev_b32_e32 v4, 29, v0
	;; [unrolled: 1-line block ×4, first 2 shown]
	v_add_co_u32 v2, s11, v2, -1
	s_delay_alu instid0(VALU_DEP_1)
	v_cndmask_b32_e64 v6, 0, 1, s11
	v_not_b32_e32 v30, v3
	v_cmp_gt_i32_e64 s12, 0, v3
	v_not_b32_e32 v3, v4
	v_lshlrev_b32_e32 v28, 26, v0
	v_cmp_ne_u32_e64 s11, 0, v6
	v_ashrrev_i32_e32 v6, 31, v30
	v_lshlrev_b32_e32 v29, 25, v0
	v_ashrrev_i32_e32 v3, 31, v3
	v_mul_lo_u32 v1, v0, 10
	v_xor_b32_e32 v2, s11, v2
	v_cmp_gt_i32_e64 s11, 0, v4
	v_not_b32_e32 v4, v5
	v_xor_b32_e32 v6, s12, v6
	v_cmp_gt_i32_e64 s12, 0, v5
	v_and_b32_e32 v2, exec_lo, v2
	v_not_b32_e32 v5, v7
	v_ashrrev_i32_e32 v4, 31, v4
	v_xor_b32_e32 v3, s11, v3
	v_cmp_gt_i32_e64 s11, 0, v7
	v_and_b32_e32 v2, v2, v6
	v_not_b32_e32 v6, v28
	v_ashrrev_i32_e32 v5, 31, v5
	v_xor_b32_e32 v4, s12, v4
	v_lshlrev_b32_e32 v0, 24, v0
	v_and_b32_e32 v2, v2, v3
	v_cmp_gt_i32_e64 s12, 0, v28
	v_not_b32_e32 v3, v29
	v_ashrrev_i32_e32 v6, 31, v6
	v_xor_b32_e32 v5, s11, v5
	v_and_b32_e32 v2, v2, v4
	v_cmp_gt_i32_e64 s11, 0, v29
	v_not_b32_e32 v4, v0
	v_ashrrev_i32_e32 v3, 31, v3
	v_xor_b32_e32 v6, s12, v6
	v_and_b32_e32 v2, v2, v5
	v_cmp_gt_i32_e64 s12, 0, v0
	v_ashrrev_i32_e32 v0, 31, v4
	v_xor_b32_e32 v3, s11, v3
	v_add_lshl_u32 v1, v1, v14, 2
	v_and_b32_e32 v2, v2, v6
	s_delay_alu instid0(VALU_DEP_4) | instskip(SKIP_3) | instid1(VALU_DEP_2)
	v_xor_b32_e32 v0, s12, v0
	ds_load_b32 v28, v1 offset:40
	v_and_b32_e32 v2, v2, v3
	v_add_nc_u32_e32 v30, 40, v1
	; wave barrier
	v_and_b32_e32 v0, v2, v0
	s_delay_alu instid0(VALU_DEP_1) | instskip(SKIP_1) | instid1(VALU_DEP_2)
	v_mbcnt_lo_u32_b32 v29, v0, 0
	v_cmp_ne_u32_e64 s12, 0, v0
	v_cmp_eq_u32_e64 s11, 0, v29
	s_delay_alu instid0(VALU_DEP_1) | instskip(NEXT) | instid1(SALU_CYCLE_1)
	s_and_b32 s12, s11, s12
	s_and_saveexec_b32 s11, s12
	s_cbranch_execz .LBB371_8
; %bb.7:                                ;   in Loop: Header=BB371_4 Depth=2
	s_waitcnt lgkmcnt(0)
	v_bcnt_u32_b32 v0, v0, v28
	ds_store_b32 v30, v0
.LBB371_8:                              ;   in Loop: Header=BB371_4 Depth=2
	s_or_b32 exec_lo, exec_lo, s11
	v_lshrrev_b32_e32 v0, s23, v23
	v_lshrrev_b32_e32 v1, s20, v24
	; wave barrier
	s_delay_alu instid0(VALU_DEP_1) | instskip(NEXT) | instid1(VALU_DEP_1)
	v_and_b32_e32 v1, s21, v1
	v_dual_cndmask_b32 v1, 0, v1 :: v_dual_and_b32 v0, s24, v0
	s_delay_alu instid0(VALU_DEP_1) | instskip(NEXT) | instid1(VALU_DEP_1)
	v_lshlrev_b32_e32 v0, s22, v0
	v_cndmask_b32_e64 v0, 0, v0, s10
	s_delay_alu instid0(VALU_DEP_1) | instskip(NEXT) | instid1(VALU_DEP_1)
	v_or_b32_e32 v0, v1, v0
	v_and_b32_e32 v2, 1, v0
	v_lshlrev_b32_e32 v3, 30, v0
	v_lshlrev_b32_e32 v4, 29, v0
	;; [unrolled: 1-line block ×4, first 2 shown]
	v_add_co_u32 v2, s10, v2, -1
	s_delay_alu instid0(VALU_DEP_1)
	v_cndmask_b32_e64 v6, 0, 1, s10
	v_not_b32_e32 v43, v3
	v_cmp_gt_i32_e64 s10, 0, v3
	v_not_b32_e32 v3, v4
	v_lshlrev_b32_e32 v41, 26, v0
	v_cmp_ne_u32_e32 vcc_lo, 0, v6
	v_ashrrev_i32_e32 v6, 31, v43
	v_lshlrev_b32_e32 v42, 25, v0
	v_ashrrev_i32_e32 v3, 31, v3
	v_mul_lo_u32 v1, v0, 10
	v_xor_b32_e32 v2, vcc_lo, v2
	v_cmp_gt_i32_e32 vcc_lo, 0, v4
	v_not_b32_e32 v4, v5
	v_xor_b32_e32 v6, s10, v6
	v_cmp_gt_i32_e64 s10, 0, v5
	v_and_b32_e32 v2, exec_lo, v2
	v_not_b32_e32 v5, v7
	v_ashrrev_i32_e32 v4, 31, v4
	v_xor_b32_e32 v3, vcc_lo, v3
	v_cmp_gt_i32_e32 vcc_lo, 0, v7
	v_and_b32_e32 v2, v2, v6
	v_not_b32_e32 v6, v41
	v_ashrrev_i32_e32 v5, 31, v5
	v_xor_b32_e32 v4, s10, v4
	v_lshlrev_b32_e32 v0, 24, v0
	v_and_b32_e32 v2, v2, v3
	v_cmp_gt_i32_e64 s10, 0, v41
	v_not_b32_e32 v3, v42
	v_ashrrev_i32_e32 v6, 31, v6
	v_xor_b32_e32 v5, vcc_lo, v5
	v_and_b32_e32 v2, v2, v4
	v_cmp_gt_i32_e32 vcc_lo, 0, v42
	v_not_b32_e32 v4, v0
	v_ashrrev_i32_e32 v3, 31, v3
	v_xor_b32_e32 v6, s10, v6
	v_and_b32_e32 v2, v2, v5
	v_cmp_gt_i32_e64 s10, 0, v0
	v_ashrrev_i32_e32 v0, 31, v4
	v_xor_b32_e32 v3, vcc_lo, v3
	v_add_lshl_u32 v1, v1, v14, 2
	v_and_b32_e32 v2, v2, v6
	s_delay_alu instid0(VALU_DEP_4) | instskip(SKIP_3) | instid1(VALU_DEP_2)
	v_xor_b32_e32 v0, s10, v0
	ds_load_b32 v41, v1 offset:40
	v_and_b32_e32 v2, v2, v3
	v_add_nc_u32_e32 v43, 40, v1
	; wave barrier
	v_and_b32_e32 v0, v2, v0
	s_delay_alu instid0(VALU_DEP_1) | instskip(SKIP_1) | instid1(VALU_DEP_2)
	v_mbcnt_lo_u32_b32 v42, v0, 0
	v_cmp_ne_u32_e64 s10, 0, v0
	v_cmp_eq_u32_e32 vcc_lo, 0, v42
	s_delay_alu instid0(VALU_DEP_2) | instskip(NEXT) | instid1(SALU_CYCLE_1)
	s_and_b32 s11, vcc_lo, s10
	s_and_saveexec_b32 s10, s11
	s_cbranch_execz .LBB371_10
; %bb.9:                                ;   in Loop: Header=BB371_4 Depth=2
	s_waitcnt lgkmcnt(0)
	v_bcnt_u32_b32 v0, v0, v41
	ds_store_b32 v43, v0
.LBB371_10:                             ;   in Loop: Header=BB371_4 Depth=2
	s_or_b32 exec_lo, exec_lo, s10
	; wave barrier
	s_waitcnt lgkmcnt(0)
	s_barrier
	buffer_gl0_inv
	ds_load_2addr_b64 v[4:7], v31 offset0:5 offset1:6
	ds_load_2addr_b64 v[0:3], v32 offset0:2 offset1:3
	s_waitcnt lgkmcnt(1)
	v_add_nc_u32_e32 v44, v5, v4
	s_delay_alu instid0(VALU_DEP_1) | instskip(SKIP_1) | instid1(VALU_DEP_1)
	v_add3_u32 v44, v44, v6, v7
	s_waitcnt lgkmcnt(0)
	v_add3_u32 v44, v44, v0, v1
	s_delay_alu instid0(VALU_DEP_1) | instskip(NEXT) | instid1(VALU_DEP_1)
	v_add3_u32 v3, v44, v2, v3
	v_mov_b32_dpp v44, v3 row_shr:1 row_mask:0xf bank_mask:0xf
	s_delay_alu instid0(VALU_DEP_1) | instskip(NEXT) | instid1(VALU_DEP_1)
	v_cndmask_b32_e64 v44, v44, 0, s1
	v_add_nc_u32_e32 v3, v44, v3
	s_delay_alu instid0(VALU_DEP_1) | instskip(NEXT) | instid1(VALU_DEP_1)
	v_mov_b32_dpp v44, v3 row_shr:2 row_mask:0xf bank_mask:0xf
	v_cndmask_b32_e64 v44, 0, v44, s2
	s_delay_alu instid0(VALU_DEP_1) | instskip(NEXT) | instid1(VALU_DEP_1)
	v_add_nc_u32_e32 v3, v3, v44
	v_mov_b32_dpp v44, v3 row_shr:4 row_mask:0xf bank_mask:0xf
	s_delay_alu instid0(VALU_DEP_1) | instskip(NEXT) | instid1(VALU_DEP_1)
	v_cndmask_b32_e64 v44, 0, v44, s3
	v_add_nc_u32_e32 v3, v3, v44
	s_delay_alu instid0(VALU_DEP_1) | instskip(NEXT) | instid1(VALU_DEP_1)
	v_mov_b32_dpp v44, v3 row_shr:8 row_mask:0xf bank_mask:0xf
	v_cndmask_b32_e64 v44, 0, v44, s4
	s_delay_alu instid0(VALU_DEP_1) | instskip(SKIP_3) | instid1(VALU_DEP_1)
	v_add_nc_u32_e32 v3, v3, v44
	ds_swizzle_b32 v44, v3 offset:swizzle(BROADCAST,32,15)
	s_waitcnt lgkmcnt(0)
	v_cndmask_b32_e64 v44, v44, 0, s5
	v_add_nc_u32_e32 v3, v3, v44
	s_and_saveexec_b32 s10, s9
	s_cbranch_execz .LBB371_12
; %bb.11:                               ;   in Loop: Header=BB371_4 Depth=2
	ds_store_b32 v34, v3
.LBB371_12:                             ;   in Loop: Header=BB371_4 Depth=2
	s_or_b32 exec_lo, exec_lo, s10
	s_waitcnt lgkmcnt(0)
	s_barrier
	buffer_gl0_inv
	s_and_saveexec_b32 s10, s6
	s_cbranch_execz .LBB371_14
; %bb.13:                               ;   in Loop: Header=BB371_4 Depth=2
	ds_load_b32 v44, v35
	s_waitcnt lgkmcnt(0)
	v_mov_b32_dpp v45, v44 row_shr:1 row_mask:0xf bank_mask:0xf
	s_delay_alu instid0(VALU_DEP_1) | instskip(NEXT) | instid1(VALU_DEP_1)
	v_cndmask_b32_e64 v45, v45, 0, s1
	v_add_nc_u32_e32 v44, v45, v44
	s_delay_alu instid0(VALU_DEP_1) | instskip(NEXT) | instid1(VALU_DEP_1)
	v_mov_b32_dpp v45, v44 row_shr:2 row_mask:0xf bank_mask:0xf
	v_cndmask_b32_e64 v45, 0, v45, s2
	s_delay_alu instid0(VALU_DEP_1) | instskip(NEXT) | instid1(VALU_DEP_1)
	v_add_nc_u32_e32 v44, v44, v45
	v_mov_b32_dpp v45, v44 row_shr:4 row_mask:0xf bank_mask:0xf
	s_delay_alu instid0(VALU_DEP_1) | instskip(NEXT) | instid1(VALU_DEP_1)
	v_cndmask_b32_e64 v45, 0, v45, s3
	v_add_nc_u32_e32 v44, v44, v45
	s_delay_alu instid0(VALU_DEP_1) | instskip(NEXT) | instid1(VALU_DEP_1)
	v_mov_b32_dpp v45, v44 row_shr:8 row_mask:0xf bank_mask:0xf
	v_cndmask_b32_e64 v45, 0, v45, s4
	s_delay_alu instid0(VALU_DEP_1)
	v_add_nc_u32_e32 v44, v44, v45
	ds_store_b32 v35, v44
.LBB371_14:                             ;   in Loop: Header=BB371_4 Depth=2
	s_or_b32 exec_lo, exec_lo, s10
	v_mov_b32_e32 v44, 0
	s_waitcnt lgkmcnt(0)
	s_barrier
	buffer_gl0_inv
	s_and_saveexec_b32 s10, s7
	s_cbranch_execz .LBB371_16
; %bb.15:                               ;   in Loop: Header=BB371_4 Depth=2
	ds_load_b32 v44, v36
.LBB371_16:                             ;   in Loop: Header=BB371_4 Depth=2
	s_or_b32 exec_lo, exec_lo, s10
	s_waitcnt lgkmcnt(0)
	v_add_nc_u32_e32 v3, v44, v3
	s_cmp_gt_u32 s20, 55
	ds_bpermute_b32 v3, v33, v3
	s_waitcnt lgkmcnt(0)
	v_cndmask_b32_e64 v3, v3, v44, s0
	s_delay_alu instid0(VALU_DEP_1) | instskip(NEXT) | instid1(VALU_DEP_1)
	v_cndmask_b32_e64 v3, v3, 0, s8
	v_add_nc_u32_e32 v4, v3, v4
	s_delay_alu instid0(VALU_DEP_1) | instskip(NEXT) | instid1(VALU_DEP_1)
	v_add_nc_u32_e32 v5, v4, v5
	v_add_nc_u32_e32 v6, v5, v6
	s_delay_alu instid0(VALU_DEP_1) | instskip(SKIP_1) | instid1(VALU_DEP_2)
	v_add_nc_u32_e32 v44, v6, v7
	v_lshlrev_b32_e32 v7, 3, v41
	v_add_nc_u32_e32 v45, v44, v0
	s_delay_alu instid0(VALU_DEP_1) | instskip(NEXT) | instid1(VALU_DEP_1)
	v_add_nc_u32_e32 v0, v45, v1
	v_add_nc_u32_e32 v1, v0, v2
	ds_store_2addr_b64 v31, v[3:4], v[5:6] offset0:5 offset1:6
	ds_store_2addr_b64 v32, v[44:45], v[0:1] offset0:2 offset1:3
	s_waitcnt lgkmcnt(0)
	s_barrier
	buffer_gl0_inv
	ds_load_b32 v0, v30
	ds_load_b32 v1, v43
	;; [unrolled: 1-line block ×3, first 2 shown]
	v_lshlrev_b32_e32 v3, 3, v8
	v_lshlrev_b32_e32 v4, 3, v29
	;; [unrolled: 1-line block ×4, first 2 shown]
	s_waitcnt lgkmcnt(0)
	v_lshlrev_b32_e32 v0, 3, v0
	v_lshlrev_b32_e32 v1, 3, v1
	v_lshl_add_u32 v8, v2, 3, v3
	s_delay_alu instid0(VALU_DEP_3) | instskip(NEXT) | instid1(VALU_DEP_3)
	v_add3_u32 v41, v4, v5, v0
	v_add3_u32 v42, v6, v7, v1
	s_cbranch_scc0 .LBB371_3
; %bb.17:                               ;   in Loop: Header=BB371_2 Depth=1
                                        ; implicit-def: $sgpr20
                                        ; implicit-def: $vgpr4_vgpr5
                                        ; implicit-def: $vgpr29_vgpr30
                                        ; implicit-def: $vgpr0_vgpr1
                                        ; implicit-def: $vgpr27_vgpr28
                                        ; implicit-def: $sgpr17
                                        ; implicit-def: $sgpr16
	s_branch .LBB371_1
.LBB371_18:
	s_waitcnt lgkmcnt(1)
	v_add_nc_u32_e32 v0, v1, v5
	v_add_nc_u32_e32 v1, v2, v6
	;; [unrolled: 1-line block ×4, first 2 shown]
	v_lshlrev_b32_e32 v8, 3, v9
	s_add_u32 s0, s18, s14
	s_addc_u32 s1, s19, s15
	s_waitcnt lgkmcnt(0)
	v_add_nc_u32_e32 v4, v15, v17
	v_add_nc_u32_e32 v5, v16, v18
	v_add_co_u32 v6, s2, s0, v8
	s_delay_alu instid0(VALU_DEP_1) | instskip(NEXT) | instid1(VALU_DEP_2)
	v_add_co_ci_u32_e64 v7, null, s1, 0, s2
	v_add_co_u32 v6, vcc_lo, 0x1000, v6
	s_delay_alu instid0(VALU_DEP_2)
	v_add_co_ci_u32_e32 v7, vcc_lo, 0, v7, vcc_lo
	s_clause 0x2
	global_store_b64 v8, v[0:1], s[0:1]
	global_store_b64 v8, v[2:3], s[0:1] offset:2560
	global_store_b64 v[6:7], v[4:5], off offset:1024
	s_nop 0
	s_sendmsg sendmsg(MSG_DEALLOC_VGPRS)
	s_endpgm
	.section	.rodata,"a",@progbits
	.p2align	6, 0x0
	.amdhsa_kernel _Z17sort_pairs_kernelI22helper_blocked_stripedN15benchmark_utils11custom_typeIiiEELj320ELj3ELj10EEvPKT0_PS4_
		.amdhsa_group_segment_fixed_size 10288
		.amdhsa_private_segment_fixed_size 0
		.amdhsa_kernarg_size 272
		.amdhsa_user_sgpr_count 15
		.amdhsa_user_sgpr_dispatch_ptr 0
		.amdhsa_user_sgpr_queue_ptr 0
		.amdhsa_user_sgpr_kernarg_segment_ptr 1
		.amdhsa_user_sgpr_dispatch_id 0
		.amdhsa_user_sgpr_private_segment_size 0
		.amdhsa_wavefront_size32 1
		.amdhsa_uses_dynamic_stack 0
		.amdhsa_enable_private_segment 0
		.amdhsa_system_sgpr_workgroup_id_x 1
		.amdhsa_system_sgpr_workgroup_id_y 0
		.amdhsa_system_sgpr_workgroup_id_z 0
		.amdhsa_system_sgpr_workgroup_info 0
		.amdhsa_system_vgpr_workitem_id 2
		.amdhsa_next_free_vgpr 46
		.amdhsa_next_free_sgpr 25
		.amdhsa_reserve_vcc 1
		.amdhsa_float_round_mode_32 0
		.amdhsa_float_round_mode_16_64 0
		.amdhsa_float_denorm_mode_32 3
		.amdhsa_float_denorm_mode_16_64 3
		.amdhsa_dx10_clamp 1
		.amdhsa_ieee_mode 1
		.amdhsa_fp16_overflow 0
		.amdhsa_workgroup_processor_mode 1
		.amdhsa_memory_ordered 1
		.amdhsa_forward_progress 0
		.amdhsa_shared_vgpr_count 0
		.amdhsa_exception_fp_ieee_invalid_op 0
		.amdhsa_exception_fp_denorm_src 0
		.amdhsa_exception_fp_ieee_div_zero 0
		.amdhsa_exception_fp_ieee_overflow 0
		.amdhsa_exception_fp_ieee_underflow 0
		.amdhsa_exception_fp_ieee_inexact 0
		.amdhsa_exception_int_div_zero 0
	.end_amdhsa_kernel
	.section	.text._Z17sort_pairs_kernelI22helper_blocked_stripedN15benchmark_utils11custom_typeIiiEELj320ELj3ELj10EEvPKT0_PS4_,"axG",@progbits,_Z17sort_pairs_kernelI22helper_blocked_stripedN15benchmark_utils11custom_typeIiiEELj320ELj3ELj10EEvPKT0_PS4_,comdat
.Lfunc_end371:
	.size	_Z17sort_pairs_kernelI22helper_blocked_stripedN15benchmark_utils11custom_typeIiiEELj320ELj3ELj10EEvPKT0_PS4_, .Lfunc_end371-_Z17sort_pairs_kernelI22helper_blocked_stripedN15benchmark_utils11custom_typeIiiEELj320ELj3ELj10EEvPKT0_PS4_
                                        ; -- End function
	.section	.AMDGPU.csdata,"",@progbits
; Kernel info:
; codeLenInByte = 2976
; NumSgprs: 27
; NumVgprs: 46
; ScratchSize: 0
; MemoryBound: 0
; FloatMode: 240
; IeeeMode: 1
; LDSByteSize: 10288 bytes/workgroup (compile time only)
; SGPRBlocks: 3
; VGPRBlocks: 5
; NumSGPRsForWavesPerEU: 27
; NumVGPRsForWavesPerEU: 46
; Occupancy: 15
; WaveLimiterHint : 1
; COMPUTE_PGM_RSRC2:SCRATCH_EN: 0
; COMPUTE_PGM_RSRC2:USER_SGPR: 15
; COMPUTE_PGM_RSRC2:TRAP_HANDLER: 0
; COMPUTE_PGM_RSRC2:TGID_X_EN: 1
; COMPUTE_PGM_RSRC2:TGID_Y_EN: 0
; COMPUTE_PGM_RSRC2:TGID_Z_EN: 0
; COMPUTE_PGM_RSRC2:TIDIG_COMP_CNT: 2
	.section	.text._Z16sort_keys_kernelI22helper_blocked_stripedN15benchmark_utils11custom_typeIiiEELj320ELj4ELj10EEvPKT0_PS4_,"axG",@progbits,_Z16sort_keys_kernelI22helper_blocked_stripedN15benchmark_utils11custom_typeIiiEELj320ELj4ELj10EEvPKT0_PS4_,comdat
	.protected	_Z16sort_keys_kernelI22helper_blocked_stripedN15benchmark_utils11custom_typeIiiEELj320ELj4ELj10EEvPKT0_PS4_ ; -- Begin function _Z16sort_keys_kernelI22helper_blocked_stripedN15benchmark_utils11custom_typeIiiEELj320ELj4ELj10EEvPKT0_PS4_
	.globl	_Z16sort_keys_kernelI22helper_blocked_stripedN15benchmark_utils11custom_typeIiiEELj320ELj4ELj10EEvPKT0_PS4_
	.p2align	8
	.type	_Z16sort_keys_kernelI22helper_blocked_stripedN15benchmark_utils11custom_typeIiiEELj320ELj4ELj10EEvPKT0_PS4_,@function
_Z16sort_keys_kernelI22helper_blocked_stripedN15benchmark_utils11custom_typeIiiEELj320ELj4ELj10EEvPKT0_PS4_: ; @_Z16sort_keys_kernelI22helper_blocked_stripedN15benchmark_utils11custom_typeIiiEELj320ELj4ELj10EEvPKT0_PS4_
; %bb.0:
	s_clause 0x1
	s_load_b128 s[16:19], s[0:1], 0x0
	s_load_b32 s3, s[0:1], 0x1c
	v_mbcnt_lo_u32_b32 v12, -1, 0
	s_mov_b32 s23, 0
	s_mul_i32 s22, s15, 0x500
	v_bfe_u32 v10, v0, 10, 10
	s_lshl_b64 s[20:21], s[22:23], 3
	v_add_nc_u32_e32 v14, -1, v12
	s_mov_b32 s22, s23
	v_and_b32_e32 v9, 0x3ff, v0
	v_bfe_u32 v0, v0, 20, 10
	s_mov_b32 s14, s23
	v_cmp_gt_i32_e32 vcc_lo, 0, v14
	s_mov_b32 s15, s23
	v_lshlrev_b32_e32 v23, 5, v9
	v_and_b32_e32 v13, 3, v12
	v_lshlrev_b32_e32 v24, 2, v9
	v_and_b32_e32 v25, 28, v12
	v_cmp_eq_u32_e64 s12, 0, v12
	s_delay_alu instid0(VALU_DEP_4)
	v_cmp_eq_u32_e64 s2, 2, v13
	s_waitcnt lgkmcnt(0)
	s_add_u32 s0, s16, s20
	s_addc_u32 s1, s17, s21
	s_clause 0x2
	global_load_b128 v[1:4], v23, s[0:1] offset:16
	global_load_b128 v[5:8], v23, s[0:1]
	global_load_b64 v[5:6], v23, s[0:1]
	s_lshr_b32 s1, s3, 16
	s_and_b32 s3, s3, 0xffff
	v_mad_u32_u24 v0, v0, s1, v10
	v_cmp_eq_u32_e64 s0, 0, v13
	v_cmp_eq_u32_e64 s1, 1, v13
	v_or_b32_e32 v26, 32, v25
	v_or_b32_e32 v27, 64, v25
	v_mad_u64_u32 v[10:11], null, v0, s3, v[9:10]
	v_and_b32_e32 v11, 0x1e0, v9
	v_and_b32_e32 v0, 15, v12
	v_cmp_eq_u32_e64 s3, 3, v13
	v_and_b32_e32 v13, 16, v12
	v_or_b32_e32 v28, 0x60, v25
	v_min_u32_e32 v11, 0x120, v11
	v_cmp_eq_u32_e64 s4, 0, v0
	v_cmp_lt_u32_e64 s5, 1, v0
	v_cmp_lt_u32_e64 s6, 3, v0
	;; [unrolled: 1-line block ×3, first 2 shown]
	v_or_b32_e32 v11, 31, v11
	v_cndmask_b32_e32 v0, v14, v12, vcc_lo
	v_cmp_eq_u32_e64 s8, 0, v13
	v_add_nc_u32_e32 v29, 40, v23
	v_lshrrev_b32_e32 v10, 5, v10
	v_cmp_eq_u32_e64 s9, v11, v9
	v_lshrrev_b32_e32 v11, 3, v9
	v_lshlrev_b32_e32 v30, 2, v0
	v_and_b32_e32 v0, 0x780, v24
	s_delay_alu instid0(VALU_DEP_3) | instskip(NEXT) | instid1(VALU_DEP_2)
	v_and_b32_e32 v31, 60, v11
	v_or_b32_e32 v11, 32, v0
	v_or_b32_e32 v13, 64, v0
	v_or_b32_e32 v14, 0x60, v0
	v_or_b32_e32 v12, v12, v0
	v_lshrrev_b32_e32 v0, 5, v0
	v_lshrrev_b32_e32 v11, 5, v11
	;; [unrolled: 1-line block ×4, first 2 shown]
	v_add_nc_u32_e32 v33, -4, v31
	v_add_lshl_u32 v34, v0, v12, 3
	v_add_lshl_u32 v35, v11, v12, 3
	;; [unrolled: 1-line block ×4, first 2 shown]
	v_mov_b32_e32 v13, s14
	v_dual_mov_b32 v11, s22 :: v_dual_mov_b32 v12, s23
	v_cmp_gt_u32_e64 s10, 10, v9
	v_cmp_lt_u32_e64 s11, 31, v9
	v_cmp_eq_u32_e64 s13, 0, v9
	v_mad_i32_i24 v32, 0xffffffe4, v9, v23
	v_mov_b32_e32 v14, s15
	s_branch .LBB372_2
.LBB372_1:                              ;   in Loop: Header=BB372_2 Depth=1
	v_lshlrev_b32_e32 v0, 3, v41
	s_delay_alu instid0(VALU_DEP_2)
	v_lshlrev_b32_e32 v3, 3, v8
	v_add_nc_u32_e32 v4, v32, v24
	v_lshlrev_b32_e32 v1, 3, v39
	v_lshlrev_b32_e32 v2, 3, v38
	s_barrier
	buffer_gl0_inv
	ds_store_b64 v0, v[15:16]
	ds_store_b64 v1, v[19:20]
	;; [unrolled: 1-line block ×4, first 2 shown]
	s_waitcnt lgkmcnt(0)
	s_barrier
	buffer_gl0_inv
	ds_load_2addr_stride64_b64 v[0:3], v4 offset1:5
	ds_load_2addr_stride64_b64 v[15:18], v4 offset0:10 offset1:15
	s_add_i32 s23, s23, 1
	s_delay_alu instid0(SALU_CYCLE_1)
	s_cmp_eq_u32 s23, 10
	s_waitcnt lgkmcnt(1)
	v_xor_b32_e32 v5, 0x80000000, v0
	v_xor_b32_e32 v6, 0x80000000, v1
	;; [unrolled: 1-line block ×4, first 2 shown]
	s_waitcnt lgkmcnt(0)
	v_xor_b32_e32 v1, 0x80000000, v15
	v_xor_b32_e32 v2, 0x80000000, v16
	;; [unrolled: 1-line block ×4, first 2 shown]
	s_cbranch_scc1 .LBB372_20
.LBB372_2:                              ; =>This Loop Header: Depth=1
                                        ;     Child Loop BB372_4 Depth 2
	s_waitcnt vmcnt(0)
	v_xor_b32_e32 v5, 0x80000000, v5
	v_xor_b32_e32 v0, 0x80000000, v6
	;; [unrolled: 1-line block ×5, first 2 shown]
	ds_bpermute_b32 v8, v25, v5
	ds_bpermute_b32 v7, v25, v0
	;; [unrolled: 1-line block ×3, first 2 shown]
	v_xor_b32_e32 v3, 0x80000000, v3
	ds_bpermute_b32 v21, v25, v1
	v_xor_b32_e32 v2, 0x80000000, v2
	ds_bpermute_b32 v16, v25, v6
	ds_bpermute_b32 v18, v26, v0
	;; [unrolled: 1-line block ×3, first 2 shown]
	v_xor_b32_e32 v4, 0x80000000, v4
	ds_bpermute_b32 v19, v26, v5
	ds_bpermute_b32 v20, v25, v2
	;; [unrolled: 1-line block ×10, first 2 shown]
	s_waitcnt lgkmcnt(16)
	v_cndmask_b32_e64 v8, 0, v8, s0
	s_waitcnt lgkmcnt(15)
	v_cndmask_b32_e64 v7, 0, v7, s0
	ds_bpermute_b32 v45, v27, v15
	ds_bpermute_b32 v46, v27, v6
	;; [unrolled: 1-line block ×3, first 2 shown]
	s_waitcnt lgkmcnt(17)
	v_cndmask_b32_e64 v8, v8, v17, s1
	s_waitcnt lgkmcnt(15)
	v_cndmask_b32_e64 v7, v7, v16, s1
	;; [unrolled: 2-line block ×3, first 2 shown]
	ds_bpermute_b32 v18, v28, v6
	s_mov_b32 s17, 8
	v_cndmask_b32_e64 v8, v8, v21, s2
	s_waitcnt lgkmcnt(13)
	v_cndmask_b32_e64 v17, 0, v19, s0
	s_waitcnt lgkmcnt(12)
	v_cndmask_b32_e64 v7, v7, v20, s2
	ds_bpermute_b32 v19, v27, v2
	ds_bpermute_b32 v20, v27, v1
	v_cndmask_b32_e64 v6, v8, v22, s3
	ds_bpermute_b32 v8, v28, v15
	ds_bpermute_b32 v15, v26, v4
	ds_bpermute_b32 v2, v28, v2
	ds_bpermute_b32 v21, v28, v1
	s_waitcnt lgkmcnt(17)
	v_cndmask_b32_e64 v16, v16, v38, s1
	s_waitcnt lgkmcnt(16)
	v_cndmask_b32_e64 v17, v17, v39, s1
	;; [unrolled: 2-line block ×3, first 2 shown]
	ds_bpermute_b32 v22, v26, v3
	ds_bpermute_b32 v38, v27, v4
	;; [unrolled: 1-line block ×5, first 2 shown]
	s_waitcnt lgkmcnt(19)
	v_cndmask_b32_e64 v1, v16, v42, s2
	s_waitcnt lgkmcnt(17)
	v_cndmask_b32_e64 v3, 0, v44, s0
	v_cndmask_b32_e64 v16, 0, v43, s0
	s_waitcnt lgkmcnt(15)
	v_cndmask_b32_e64 v0, 0, v0, s0
	;; [unrolled: 3-line block ×3, first 2 shown]
	v_cndmask_b32_e64 v3, v3, v46, s1
	v_cndmask_b32_e64 v16, v16, v45, s1
	s_waitcnt lgkmcnt(11)
	v_cndmask_b32_e64 v0, v0, v18, s1
	s_waitcnt lgkmcnt(8)
	;; [unrolled: 2-line block ×3, first 2 shown]
	v_cndmask_b32_e64 v1, v1, v15, s3
	v_cndmask_b32_e64 v3, v3, v19, s2
	;; [unrolled: 1-line block ×3, first 2 shown]
	s_waitcnt lgkmcnt(6)
	v_cndmask_b32_e64 v15, v0, v2, s2
	s_waitcnt lgkmcnt(5)
	v_cndmask_b32_e64 v16, v5, v21, s2
	;; [unrolled: 2-line block ×7, first 2 shown]
	s_mov_b32 s22, 32
	s_mov_b32 s24, 0
	s_barrier
	s_branch .LBB372_4
.LBB372_3:                              ;   in Loop: Header=BB372_4 Depth=2
	v_lshrrev_b32_e32 v0, 2, v41
	v_lshrrev_b32_e32 v1, 2, v39
	;; [unrolled: 1-line block ×4, first 2 shown]
	s_barrier
	v_and_b32_e32 v0, 0x3ffffff8, v0
	v_and_b32_e32 v1, 0x3ffffff8, v1
	;; [unrolled: 1-line block ×4, first 2 shown]
	buffer_gl0_inv
	v_lshl_add_u32 v0, v41, 3, v0
	v_lshl_add_u32 v1, v39, 3, v1
	;; [unrolled: 1-line block ×4, first 2 shown]
	s_add_i32 s22, s22, -8
	ds_store_b64 v0, v[15:16]
	ds_store_b64 v1, v[19:20]
	;; [unrolled: 1-line block ×4, first 2 shown]
	s_waitcnt lgkmcnt(0)
	s_barrier
	buffer_gl0_inv
	ds_load_b64 v[6:7], v34
	ds_load_b64 v[0:1], v35 offset:256
	ds_load_b64 v[2:3], v36 offset:512
	;; [unrolled: 1-line block ×3, first 2 shown]
	s_add_i32 s17, s17, 8
	s_add_i32 s24, s24, 8
	s_waitcnt lgkmcnt(0)
	s_barrier
	s_cbranch_execz .LBB372_1
.LBB372_4:                              ;   Parent Loop BB372_2 Depth=1
                                        ; =>  This Inner Loop Header: Depth=2
	s_min_i32 s15, s17, 32
	s_cmp_lt_u32 s24, 32
	v_dual_mov_b32 v16, v7 :: v_dual_mov_b32 v15, v6
	s_cselect_b32 vcc_lo, -1, 0
	s_cmp_gt_u32 s24, 24
	buffer_gl0_inv
	s_cselect_b32 s14, -1, 0
	s_sub_i32 s15, s15, 32
	v_lshrrev_b32_e32 v7, s24, v16
	s_add_i32 s16, s15, s22
	ds_store_2addr_b64 v23, v[11:12], v[13:14] offset0:5 offset1:6
	ds_store_2addr_b64 v29, v[11:12], v[13:14] offset0:2 offset1:3
	s_lshl_b32 s16, -1, s16
	s_waitcnt lgkmcnt(0)
	s_not_b32 s16, s16
	s_cmp_lg_u32 s15, s24
	s_barrier
	s_cselect_b32 s25, s16, -1
	s_max_i32 s26, s22, 0
	s_max_i32 s15, s24, 32
	v_and_b32_e32 v7, s25, v7
	s_sub_i32 s16, s15, s26
	s_sub_i32 s27, s15, 32
	;; [unrolled: 1-line block ×3, first 2 shown]
	v_lshrrev_b32_e32 v6, s27, v15
	s_min_i32 s15, s16, 32
	buffer_gl0_inv
	s_sub_i32 s15, s15, s27
	s_delay_alu instid0(SALU_CYCLE_1) | instskip(NEXT) | instid1(SALU_CYCLE_1)
	s_lshl_b32 s16, -1, s15
	; wave barrier
	s_not_b32 s16, s16
	s_cmp_lg_u32 s15, 32
	v_cndmask_b32_e32 v7, 0, v7, vcc_lo
	s_cselect_b32 s28, s16, -1
	s_delay_alu instid0(SALU_CYCLE_1) | instskip(NEXT) | instid1(VALU_DEP_1)
	v_and_b32_e32 v6, s28, v6
	v_lshlrev_b32_e32 v6, s26, v6
	s_delay_alu instid0(VALU_DEP_1) | instskip(NEXT) | instid1(VALU_DEP_1)
	v_cndmask_b32_e64 v6, 0, v6, s14
	v_or_b32_e32 v6, v7, v6
	s_delay_alu instid0(VALU_DEP_1)
	v_and_b32_e32 v7, 1, v6
	v_lshlrev_b32_e32 v8, 30, v6
	v_lshlrev_b32_e32 v17, 29, v6
	;; [unrolled: 1-line block ×4, first 2 shown]
	v_add_co_u32 v7, s15, v7, -1
	s_delay_alu instid0(VALU_DEP_1)
	v_cndmask_b32_e64 v19, 0, 1, s15
	v_not_b32_e32 v38, v8
	v_cmp_gt_i32_e64 s16, 0, v8
	v_not_b32_e32 v8, v17
	v_lshlrev_b32_e32 v21, 26, v6
	v_cmp_ne_u32_e64 s15, 0, v19
	v_ashrrev_i32_e32 v38, 31, v38
	v_lshlrev_b32_e32 v22, 25, v6
	v_ashrrev_i32_e32 v8, 31, v8
	v_lshlrev_b32_e32 v19, 24, v6
	v_xor_b32_e32 v7, s15, v7
	v_cmp_gt_i32_e64 s15, 0, v17
	v_not_b32_e32 v17, v18
	v_xor_b32_e32 v38, s16, v38
	v_cmp_gt_i32_e64 s16, 0, v18
	v_and_b32_e32 v7, exec_lo, v7
	v_not_b32_e32 v18, v20
	v_ashrrev_i32_e32 v17, 31, v17
	v_xor_b32_e32 v8, s15, v8
	v_cmp_gt_i32_e64 s15, 0, v20
	v_and_b32_e32 v7, v7, v38
	v_not_b32_e32 v20, v21
	v_ashrrev_i32_e32 v18, 31, v18
	v_xor_b32_e32 v17, s16, v17
	v_cmp_gt_i32_e64 s16, 0, v21
	v_and_b32_e32 v7, v7, v8
	;; [unrolled: 5-line block ×4, first 2 shown]
	v_ashrrev_i32_e32 v17, 31, v17
	v_xor_b32_e32 v8, s15, v8
	v_dual_mov_b32 v22, v3 :: v_dual_mov_b32 v21, v2
	s_delay_alu instid0(VALU_DEP_4) | instskip(NEXT) | instid1(VALU_DEP_4)
	v_and_b32_e32 v7, v7, v20
	v_xor_b32_e32 v17, s16, v17
	v_dual_mov_b32 v20, v1 :: v_dual_mov_b32 v19, v0
	v_mad_u64_u32 v[1:2], null, v6, 10, v[10:11]
	s_delay_alu instid0(VALU_DEP_4) | instskip(NEXT) | instid1(VALU_DEP_1)
	v_and_b32_e32 v7, v7, v8
	v_and_b32_e32 v0, v7, v17
	v_dual_mov_b32 v18, v5 :: v_dual_mov_b32 v17, v4
	s_delay_alu instid0(VALU_DEP_4) | instskip(NEXT) | instid1(VALU_DEP_3)
	v_lshl_add_u32 v38, v1, 2, 40
	v_mbcnt_lo_u32_b32 v8, v0, 0
	v_cmp_ne_u32_e64 s16, 0, v0
	s_delay_alu instid0(VALU_DEP_2) | instskip(NEXT) | instid1(VALU_DEP_1)
	v_cmp_eq_u32_e64 s15, 0, v8
	s_and_b32 s16, s15, s16
	s_delay_alu instid0(SALU_CYCLE_1)
	s_and_saveexec_b32 s15, s16
	s_cbranch_execz .LBB372_6
; %bb.5:                                ;   in Loop: Header=BB372_4 Depth=2
	v_bcnt_u32_b32 v0, v0, 0
	ds_store_b32 v38, v0
.LBB372_6:                              ;   in Loop: Header=BB372_4 Depth=2
	s_or_b32 exec_lo, exec_lo, s15
	v_lshrrev_b32_e32 v0, s27, v19
	v_lshrrev_b32_e32 v1, s24, v20
	; wave barrier
	s_delay_alu instid0(VALU_DEP_1) | instskip(NEXT) | instid1(VALU_DEP_1)
	v_and_b32_e32 v1, s25, v1
	v_dual_cndmask_b32 v1, 0, v1 :: v_dual_and_b32 v0, s28, v0
	s_delay_alu instid0(VALU_DEP_1) | instskip(NEXT) | instid1(VALU_DEP_1)
	v_lshlrev_b32_e32 v0, s26, v0
	v_cndmask_b32_e64 v0, 0, v0, s14
	s_delay_alu instid0(VALU_DEP_1) | instskip(NEXT) | instid1(VALU_DEP_1)
	v_or_b32_e32 v0, v1, v0
	v_and_b32_e32 v2, 1, v0
	v_lshlrev_b32_e32 v3, 30, v0
	v_lshlrev_b32_e32 v4, 29, v0
	;; [unrolled: 1-line block ×4, first 2 shown]
	v_add_co_u32 v2, s15, v2, -1
	s_delay_alu instid0(VALU_DEP_1)
	v_cndmask_b32_e64 v6, 0, 1, s15
	v_not_b32_e32 v41, v3
	v_cmp_gt_i32_e64 s16, 0, v3
	v_not_b32_e32 v3, v4
	v_lshlrev_b32_e32 v39, 26, v0
	v_cmp_ne_u32_e64 s15, 0, v6
	v_ashrrev_i32_e32 v6, 31, v41
	v_lshlrev_b32_e32 v40, 25, v0
	v_ashrrev_i32_e32 v3, 31, v3
	v_mul_lo_u32 v1, v0, 10
	v_xor_b32_e32 v2, s15, v2
	v_cmp_gt_i32_e64 s15, 0, v4
	v_not_b32_e32 v4, v5
	v_xor_b32_e32 v6, s16, v6
	v_cmp_gt_i32_e64 s16, 0, v5
	v_and_b32_e32 v2, exec_lo, v2
	v_not_b32_e32 v5, v7
	v_ashrrev_i32_e32 v4, 31, v4
	v_xor_b32_e32 v3, s15, v3
	v_cmp_gt_i32_e64 s15, 0, v7
	v_and_b32_e32 v2, v2, v6
	v_not_b32_e32 v6, v39
	v_ashrrev_i32_e32 v5, 31, v5
	v_xor_b32_e32 v4, s16, v4
	v_lshlrev_b32_e32 v0, 24, v0
	v_and_b32_e32 v2, v2, v3
	v_cmp_gt_i32_e64 s16, 0, v39
	v_not_b32_e32 v3, v40
	v_ashrrev_i32_e32 v6, 31, v6
	v_xor_b32_e32 v5, s15, v5
	v_and_b32_e32 v2, v2, v4
	v_cmp_gt_i32_e64 s15, 0, v40
	v_not_b32_e32 v4, v0
	v_ashrrev_i32_e32 v3, 31, v3
	v_xor_b32_e32 v6, s16, v6
	v_and_b32_e32 v2, v2, v5
	v_cmp_gt_i32_e64 s16, 0, v0
	v_ashrrev_i32_e32 v0, 31, v4
	v_xor_b32_e32 v3, s15, v3
	v_add_lshl_u32 v1, v1, v10, 2
	v_and_b32_e32 v2, v2, v6
	s_delay_alu instid0(VALU_DEP_4) | instskip(SKIP_3) | instid1(VALU_DEP_2)
	v_xor_b32_e32 v0, s16, v0
	ds_load_b32 v39, v1 offset:40
	v_and_b32_e32 v2, v2, v3
	v_add_nc_u32_e32 v41, 40, v1
	; wave barrier
	v_and_b32_e32 v0, v2, v0
	s_delay_alu instid0(VALU_DEP_1) | instskip(SKIP_1) | instid1(VALU_DEP_2)
	v_mbcnt_lo_u32_b32 v40, v0, 0
	v_cmp_ne_u32_e64 s16, 0, v0
	v_cmp_eq_u32_e64 s15, 0, v40
	s_delay_alu instid0(VALU_DEP_1) | instskip(NEXT) | instid1(SALU_CYCLE_1)
	s_and_b32 s16, s15, s16
	s_and_saveexec_b32 s15, s16
	s_cbranch_execz .LBB372_8
; %bb.7:                                ;   in Loop: Header=BB372_4 Depth=2
	s_waitcnt lgkmcnt(0)
	v_bcnt_u32_b32 v0, v0, v39
	ds_store_b32 v41, v0
.LBB372_8:                              ;   in Loop: Header=BB372_4 Depth=2
	s_or_b32 exec_lo, exec_lo, s15
	v_lshrrev_b32_e32 v0, s27, v21
	v_lshrrev_b32_e32 v1, s24, v22
	; wave barrier
	s_delay_alu instid0(VALU_DEP_1) | instskip(NEXT) | instid1(VALU_DEP_1)
	v_and_b32_e32 v1, s25, v1
	v_dual_cndmask_b32 v1, 0, v1 :: v_dual_and_b32 v0, s28, v0
	s_delay_alu instid0(VALU_DEP_1) | instskip(NEXT) | instid1(VALU_DEP_1)
	v_lshlrev_b32_e32 v0, s26, v0
	v_cndmask_b32_e64 v0, 0, v0, s14
	s_delay_alu instid0(VALU_DEP_1) | instskip(NEXT) | instid1(VALU_DEP_1)
	v_or_b32_e32 v0, v1, v0
	v_and_b32_e32 v2, 1, v0
	v_lshlrev_b32_e32 v3, 30, v0
	v_lshlrev_b32_e32 v4, 29, v0
	;; [unrolled: 1-line block ×4, first 2 shown]
	v_add_co_u32 v2, s15, v2, -1
	s_delay_alu instid0(VALU_DEP_1)
	v_cndmask_b32_e64 v6, 0, 1, s15
	v_not_b32_e32 v44, v3
	v_cmp_gt_i32_e64 s16, 0, v3
	v_not_b32_e32 v3, v4
	v_lshlrev_b32_e32 v42, 26, v0
	v_cmp_ne_u32_e64 s15, 0, v6
	v_ashrrev_i32_e32 v6, 31, v44
	v_lshlrev_b32_e32 v43, 25, v0
	v_ashrrev_i32_e32 v3, 31, v3
	v_mul_lo_u32 v1, v0, 10
	v_xor_b32_e32 v2, s15, v2
	v_cmp_gt_i32_e64 s15, 0, v4
	v_not_b32_e32 v4, v5
	v_xor_b32_e32 v6, s16, v6
	v_cmp_gt_i32_e64 s16, 0, v5
	v_and_b32_e32 v2, exec_lo, v2
	v_not_b32_e32 v5, v7
	v_ashrrev_i32_e32 v4, 31, v4
	v_xor_b32_e32 v3, s15, v3
	v_cmp_gt_i32_e64 s15, 0, v7
	v_and_b32_e32 v2, v2, v6
	v_not_b32_e32 v6, v42
	v_ashrrev_i32_e32 v5, 31, v5
	v_xor_b32_e32 v4, s16, v4
	v_lshlrev_b32_e32 v0, 24, v0
	v_and_b32_e32 v2, v2, v3
	v_cmp_gt_i32_e64 s16, 0, v42
	v_not_b32_e32 v3, v43
	v_ashrrev_i32_e32 v6, 31, v6
	v_xor_b32_e32 v5, s15, v5
	v_and_b32_e32 v2, v2, v4
	v_cmp_gt_i32_e64 s15, 0, v43
	v_not_b32_e32 v4, v0
	v_ashrrev_i32_e32 v3, 31, v3
	v_xor_b32_e32 v6, s16, v6
	v_and_b32_e32 v2, v2, v5
	v_cmp_gt_i32_e64 s16, 0, v0
	v_ashrrev_i32_e32 v0, 31, v4
	v_xor_b32_e32 v3, s15, v3
	v_add_lshl_u32 v1, v1, v10, 2
	v_and_b32_e32 v2, v2, v6
	s_delay_alu instid0(VALU_DEP_4) | instskip(SKIP_3) | instid1(VALU_DEP_2)
	v_xor_b32_e32 v0, s16, v0
	ds_load_b32 v42, v1 offset:40
	v_and_b32_e32 v2, v2, v3
	v_add_nc_u32_e32 v44, 40, v1
	; wave barrier
	v_and_b32_e32 v0, v2, v0
	s_delay_alu instid0(VALU_DEP_1) | instskip(SKIP_1) | instid1(VALU_DEP_2)
	v_mbcnt_lo_u32_b32 v43, v0, 0
	v_cmp_ne_u32_e64 s16, 0, v0
	v_cmp_eq_u32_e64 s15, 0, v43
	s_delay_alu instid0(VALU_DEP_1) | instskip(NEXT) | instid1(SALU_CYCLE_1)
	s_and_b32 s16, s15, s16
	s_and_saveexec_b32 s15, s16
	s_cbranch_execz .LBB372_10
; %bb.9:                                ;   in Loop: Header=BB372_4 Depth=2
	s_waitcnt lgkmcnt(0)
	v_bcnt_u32_b32 v0, v0, v42
	ds_store_b32 v44, v0
.LBB372_10:                             ;   in Loop: Header=BB372_4 Depth=2
	s_or_b32 exec_lo, exec_lo, s15
	v_lshrrev_b32_e32 v0, s27, v17
	v_lshrrev_b32_e32 v1, s24, v18
	; wave barrier
	s_delay_alu instid0(VALU_DEP_1) | instskip(NEXT) | instid1(VALU_DEP_1)
	v_and_b32_e32 v1, s25, v1
	v_dual_cndmask_b32 v1, 0, v1 :: v_dual_and_b32 v0, s28, v0
	s_delay_alu instid0(VALU_DEP_1) | instskip(NEXT) | instid1(VALU_DEP_1)
	v_lshlrev_b32_e32 v0, s26, v0
	v_cndmask_b32_e64 v0, 0, v0, s14
	s_delay_alu instid0(VALU_DEP_1) | instskip(NEXT) | instid1(VALU_DEP_1)
	v_or_b32_e32 v0, v1, v0
	v_and_b32_e32 v2, 1, v0
	v_lshlrev_b32_e32 v3, 30, v0
	v_lshlrev_b32_e32 v4, 29, v0
	v_lshlrev_b32_e32 v5, 28, v0
	v_lshlrev_b32_e32 v7, 27, v0
	v_add_co_u32 v2, s14, v2, -1
	s_delay_alu instid0(VALU_DEP_1)
	v_cndmask_b32_e64 v6, 0, 1, s14
	v_not_b32_e32 v47, v3
	v_cmp_gt_i32_e64 s14, 0, v3
	v_not_b32_e32 v3, v4
	v_lshlrev_b32_e32 v45, 26, v0
	v_cmp_ne_u32_e32 vcc_lo, 0, v6
	v_ashrrev_i32_e32 v6, 31, v47
	v_lshlrev_b32_e32 v46, 25, v0
	v_ashrrev_i32_e32 v3, 31, v3
	v_mul_lo_u32 v1, v0, 10
	v_xor_b32_e32 v2, vcc_lo, v2
	v_cmp_gt_i32_e32 vcc_lo, 0, v4
	v_not_b32_e32 v4, v5
	v_xor_b32_e32 v6, s14, v6
	v_cmp_gt_i32_e64 s14, 0, v5
	v_and_b32_e32 v2, exec_lo, v2
	v_not_b32_e32 v5, v7
	v_ashrrev_i32_e32 v4, 31, v4
	v_xor_b32_e32 v3, vcc_lo, v3
	v_cmp_gt_i32_e32 vcc_lo, 0, v7
	v_and_b32_e32 v2, v2, v6
	v_not_b32_e32 v6, v45
	v_ashrrev_i32_e32 v5, 31, v5
	v_xor_b32_e32 v4, s14, v4
	v_lshlrev_b32_e32 v0, 24, v0
	v_and_b32_e32 v2, v2, v3
	v_cmp_gt_i32_e64 s14, 0, v45
	v_not_b32_e32 v3, v46
	v_ashrrev_i32_e32 v6, 31, v6
	v_xor_b32_e32 v5, vcc_lo, v5
	v_and_b32_e32 v2, v2, v4
	v_cmp_gt_i32_e32 vcc_lo, 0, v46
	v_not_b32_e32 v4, v0
	v_ashrrev_i32_e32 v3, 31, v3
	v_xor_b32_e32 v6, s14, v6
	v_and_b32_e32 v2, v2, v5
	v_cmp_gt_i32_e64 s14, 0, v0
	v_ashrrev_i32_e32 v0, 31, v4
	v_xor_b32_e32 v3, vcc_lo, v3
	v_add_lshl_u32 v1, v1, v10, 2
	v_and_b32_e32 v2, v2, v6
	s_delay_alu instid0(VALU_DEP_4) | instskip(SKIP_3) | instid1(VALU_DEP_2)
	v_xor_b32_e32 v0, s14, v0
	ds_load_b32 v45, v1 offset:40
	v_and_b32_e32 v2, v2, v3
	v_add_nc_u32_e32 v47, 40, v1
	; wave barrier
	v_and_b32_e32 v0, v2, v0
	s_delay_alu instid0(VALU_DEP_1) | instskip(SKIP_1) | instid1(VALU_DEP_2)
	v_mbcnt_lo_u32_b32 v46, v0, 0
	v_cmp_ne_u32_e64 s14, 0, v0
	v_cmp_eq_u32_e32 vcc_lo, 0, v46
	s_delay_alu instid0(VALU_DEP_2) | instskip(NEXT) | instid1(SALU_CYCLE_1)
	s_and_b32 s15, vcc_lo, s14
	s_and_saveexec_b32 s14, s15
	s_cbranch_execz .LBB372_12
; %bb.11:                               ;   in Loop: Header=BB372_4 Depth=2
	s_waitcnt lgkmcnt(0)
	v_bcnt_u32_b32 v0, v0, v45
	ds_store_b32 v47, v0
.LBB372_12:                             ;   in Loop: Header=BB372_4 Depth=2
	s_or_b32 exec_lo, exec_lo, s14
	; wave barrier
	s_waitcnt lgkmcnt(0)
	s_barrier
	buffer_gl0_inv
	ds_load_2addr_b64 v[4:7], v23 offset0:5 offset1:6
	ds_load_2addr_b64 v[0:3], v29 offset0:2 offset1:3
	s_waitcnt lgkmcnt(1)
	v_add_nc_u32_e32 v48, v5, v4
	s_delay_alu instid0(VALU_DEP_1) | instskip(SKIP_1) | instid1(VALU_DEP_1)
	v_add3_u32 v48, v48, v6, v7
	s_waitcnt lgkmcnt(0)
	v_add3_u32 v48, v48, v0, v1
	s_delay_alu instid0(VALU_DEP_1) | instskip(NEXT) | instid1(VALU_DEP_1)
	v_add3_u32 v3, v48, v2, v3
	v_mov_b32_dpp v48, v3 row_shr:1 row_mask:0xf bank_mask:0xf
	s_delay_alu instid0(VALU_DEP_1) | instskip(NEXT) | instid1(VALU_DEP_1)
	v_cndmask_b32_e64 v48, v48, 0, s4
	v_add_nc_u32_e32 v3, v48, v3
	s_delay_alu instid0(VALU_DEP_1) | instskip(NEXT) | instid1(VALU_DEP_1)
	v_mov_b32_dpp v48, v3 row_shr:2 row_mask:0xf bank_mask:0xf
	v_cndmask_b32_e64 v48, 0, v48, s5
	s_delay_alu instid0(VALU_DEP_1) | instskip(NEXT) | instid1(VALU_DEP_1)
	v_add_nc_u32_e32 v3, v3, v48
	v_mov_b32_dpp v48, v3 row_shr:4 row_mask:0xf bank_mask:0xf
	s_delay_alu instid0(VALU_DEP_1) | instskip(NEXT) | instid1(VALU_DEP_1)
	v_cndmask_b32_e64 v48, 0, v48, s6
	v_add_nc_u32_e32 v3, v3, v48
	s_delay_alu instid0(VALU_DEP_1) | instskip(NEXT) | instid1(VALU_DEP_1)
	v_mov_b32_dpp v48, v3 row_shr:8 row_mask:0xf bank_mask:0xf
	v_cndmask_b32_e64 v48, 0, v48, s7
	s_delay_alu instid0(VALU_DEP_1) | instskip(SKIP_3) | instid1(VALU_DEP_1)
	v_add_nc_u32_e32 v3, v3, v48
	ds_swizzle_b32 v48, v3 offset:swizzle(BROADCAST,32,15)
	s_waitcnt lgkmcnt(0)
	v_cndmask_b32_e64 v48, v48, 0, s8
	v_add_nc_u32_e32 v3, v3, v48
	s_and_saveexec_b32 s14, s9
	s_cbranch_execz .LBB372_14
; %bb.13:                               ;   in Loop: Header=BB372_4 Depth=2
	ds_store_b32 v31, v3
.LBB372_14:                             ;   in Loop: Header=BB372_4 Depth=2
	s_or_b32 exec_lo, exec_lo, s14
	s_waitcnt lgkmcnt(0)
	s_barrier
	buffer_gl0_inv
	s_and_saveexec_b32 s14, s10
	s_cbranch_execz .LBB372_16
; %bb.15:                               ;   in Loop: Header=BB372_4 Depth=2
	ds_load_b32 v48, v32
	s_waitcnt lgkmcnt(0)
	v_mov_b32_dpp v49, v48 row_shr:1 row_mask:0xf bank_mask:0xf
	s_delay_alu instid0(VALU_DEP_1) | instskip(NEXT) | instid1(VALU_DEP_1)
	v_cndmask_b32_e64 v49, v49, 0, s4
	v_add_nc_u32_e32 v48, v49, v48
	s_delay_alu instid0(VALU_DEP_1) | instskip(NEXT) | instid1(VALU_DEP_1)
	v_mov_b32_dpp v49, v48 row_shr:2 row_mask:0xf bank_mask:0xf
	v_cndmask_b32_e64 v49, 0, v49, s5
	s_delay_alu instid0(VALU_DEP_1) | instskip(NEXT) | instid1(VALU_DEP_1)
	v_add_nc_u32_e32 v48, v48, v49
	v_mov_b32_dpp v49, v48 row_shr:4 row_mask:0xf bank_mask:0xf
	s_delay_alu instid0(VALU_DEP_1) | instskip(NEXT) | instid1(VALU_DEP_1)
	v_cndmask_b32_e64 v49, 0, v49, s6
	v_add_nc_u32_e32 v48, v48, v49
	s_delay_alu instid0(VALU_DEP_1) | instskip(NEXT) | instid1(VALU_DEP_1)
	v_mov_b32_dpp v49, v48 row_shr:8 row_mask:0xf bank_mask:0xf
	v_cndmask_b32_e64 v49, 0, v49, s7
	s_delay_alu instid0(VALU_DEP_1)
	v_add_nc_u32_e32 v48, v48, v49
	ds_store_b32 v32, v48
.LBB372_16:                             ;   in Loop: Header=BB372_4 Depth=2
	s_or_b32 exec_lo, exec_lo, s14
	v_mov_b32_e32 v48, 0
	s_waitcnt lgkmcnt(0)
	s_barrier
	buffer_gl0_inv
	s_and_saveexec_b32 s14, s11
	s_cbranch_execz .LBB372_18
; %bb.17:                               ;   in Loop: Header=BB372_4 Depth=2
	ds_load_b32 v48, v33
.LBB372_18:                             ;   in Loop: Header=BB372_4 Depth=2
	s_or_b32 exec_lo, exec_lo, s14
	s_waitcnt lgkmcnt(0)
	v_add_nc_u32_e32 v3, v48, v3
	s_cmp_gt_u32 s24, 55
	ds_bpermute_b32 v3, v30, v3
	s_waitcnt lgkmcnt(0)
	v_cndmask_b32_e64 v3, v3, v48, s12
	s_delay_alu instid0(VALU_DEP_1) | instskip(NEXT) | instid1(VALU_DEP_1)
	v_cndmask_b32_e64 v3, v3, 0, s13
	v_add_nc_u32_e32 v4, v3, v4
	s_delay_alu instid0(VALU_DEP_1) | instskip(NEXT) | instid1(VALU_DEP_1)
	v_add_nc_u32_e32 v5, v4, v5
	v_add_nc_u32_e32 v6, v5, v6
	s_delay_alu instid0(VALU_DEP_1) | instskip(NEXT) | instid1(VALU_DEP_1)
	v_add_nc_u32_e32 v48, v6, v7
	;; [unrolled: 3-line block ×3, first 2 shown]
	v_add_nc_u32_e32 v1, v0, v2
	ds_store_2addr_b64 v23, v[3:4], v[5:6] offset0:5 offset1:6
	ds_store_2addr_b64 v29, v[48:49], v[0:1] offset0:2 offset1:3
	s_waitcnt lgkmcnt(0)
	s_barrier
	buffer_gl0_inv
	ds_load_b32 v0, v38
	ds_load_b32 v1, v41
	;; [unrolled: 1-line block ×4, first 2 shown]
	s_waitcnt lgkmcnt(0)
	v_add_nc_u32_e32 v41, v0, v8
	v_add3_u32 v39, v40, v39, v1
	v_add3_u32 v38, v43, v42, v2
	;; [unrolled: 1-line block ×3, first 2 shown]
	s_cbranch_scc0 .LBB372_3
; %bb.19:                               ;   in Loop: Header=BB372_2 Depth=1
                                        ; implicit-def: $sgpr24
                                        ; implicit-def: $vgpr6_vgpr7
                                        ; implicit-def: $vgpr0_vgpr1
                                        ; implicit-def: $vgpr2_vgpr3
                                        ; implicit-def: $vgpr4_vgpr5
                                        ; implicit-def: $sgpr22
                                        ; implicit-def: $sgpr17
	s_branch .LBB372_1
.LBB372_20:
	v_lshlrev_b32_e32 v0, 3, v9
	s_add_u32 s0, s18, s20
	s_addc_u32 s1, s19, s21
	s_delay_alu instid0(VALU_DEP_1) | instskip(NEXT) | instid1(VALU_DEP_1)
	v_add_co_u32 v9, s2, s0, v0
	v_add_co_ci_u32_e64 v10, null, s1, 0, s2
	s_delay_alu instid0(VALU_DEP_2) | instskip(NEXT) | instid1(VALU_DEP_2)
	v_add_co_u32 v9, vcc_lo, 0x1000, v9
	v_add_co_ci_u32_e32 v10, vcc_lo, 0, v10, vcc_lo
	s_clause 0x3
	global_store_b64 v0, v[5:6], s[0:1]
	global_store_b64 v0, v[7:8], s[0:1] offset:2560
	global_store_b64 v[9:10], v[1:2], off offset:1024
	global_store_b64 v[9:10], v[3:4], off offset:3584
	s_nop 0
	s_sendmsg sendmsg(MSG_DEALLOC_VGPRS)
	s_endpgm
	.section	.rodata,"a",@progbits
	.p2align	6, 0x0
	.amdhsa_kernel _Z16sort_keys_kernelI22helper_blocked_stripedN15benchmark_utils11custom_typeIiiEELj320ELj4ELj10EEvPKT0_PS4_
		.amdhsa_group_segment_fixed_size 10560
		.amdhsa_private_segment_fixed_size 0
		.amdhsa_kernarg_size 272
		.amdhsa_user_sgpr_count 15
		.amdhsa_user_sgpr_dispatch_ptr 0
		.amdhsa_user_sgpr_queue_ptr 0
		.amdhsa_user_sgpr_kernarg_segment_ptr 1
		.amdhsa_user_sgpr_dispatch_id 0
		.amdhsa_user_sgpr_private_segment_size 0
		.amdhsa_wavefront_size32 1
		.amdhsa_uses_dynamic_stack 0
		.amdhsa_enable_private_segment 0
		.amdhsa_system_sgpr_workgroup_id_x 1
		.amdhsa_system_sgpr_workgroup_id_y 0
		.amdhsa_system_sgpr_workgroup_id_z 0
		.amdhsa_system_sgpr_workgroup_info 0
		.amdhsa_system_vgpr_workitem_id 2
		.amdhsa_next_free_vgpr 50
		.amdhsa_next_free_sgpr 29
		.amdhsa_reserve_vcc 1
		.amdhsa_float_round_mode_32 0
		.amdhsa_float_round_mode_16_64 0
		.amdhsa_float_denorm_mode_32 3
		.amdhsa_float_denorm_mode_16_64 3
		.amdhsa_dx10_clamp 1
		.amdhsa_ieee_mode 1
		.amdhsa_fp16_overflow 0
		.amdhsa_workgroup_processor_mode 1
		.amdhsa_memory_ordered 1
		.amdhsa_forward_progress 0
		.amdhsa_shared_vgpr_count 0
		.amdhsa_exception_fp_ieee_invalid_op 0
		.amdhsa_exception_fp_denorm_src 0
		.amdhsa_exception_fp_ieee_div_zero 0
		.amdhsa_exception_fp_ieee_overflow 0
		.amdhsa_exception_fp_ieee_underflow 0
		.amdhsa_exception_fp_ieee_inexact 0
		.amdhsa_exception_int_div_zero 0
	.end_amdhsa_kernel
	.section	.text._Z16sort_keys_kernelI22helper_blocked_stripedN15benchmark_utils11custom_typeIiiEELj320ELj4ELj10EEvPKT0_PS4_,"axG",@progbits,_Z16sort_keys_kernelI22helper_blocked_stripedN15benchmark_utils11custom_typeIiiEELj320ELj4ELj10EEvPKT0_PS4_,comdat
.Lfunc_end372:
	.size	_Z16sort_keys_kernelI22helper_blocked_stripedN15benchmark_utils11custom_typeIiiEELj320ELj4ELj10EEvPKT0_PS4_, .Lfunc_end372-_Z16sort_keys_kernelI22helper_blocked_stripedN15benchmark_utils11custom_typeIiiEELj320ELj4ELj10EEvPKT0_PS4_
                                        ; -- End function
	.section	.AMDGPU.csdata,"",@progbits
; Kernel info:
; codeLenInByte = 3928
; NumSgprs: 31
; NumVgprs: 50
; ScratchSize: 0
; MemoryBound: 0
; FloatMode: 240
; IeeeMode: 1
; LDSByteSize: 10560 bytes/workgroup (compile time only)
; SGPRBlocks: 3
; VGPRBlocks: 6
; NumSGPRsForWavesPerEU: 31
; NumVGPRsForWavesPerEU: 50
; Occupancy: 15
; WaveLimiterHint : 1
; COMPUTE_PGM_RSRC2:SCRATCH_EN: 0
; COMPUTE_PGM_RSRC2:USER_SGPR: 15
; COMPUTE_PGM_RSRC2:TRAP_HANDLER: 0
; COMPUTE_PGM_RSRC2:TGID_X_EN: 1
; COMPUTE_PGM_RSRC2:TGID_Y_EN: 0
; COMPUTE_PGM_RSRC2:TGID_Z_EN: 0
; COMPUTE_PGM_RSRC2:TIDIG_COMP_CNT: 2
	.section	.text._Z17sort_pairs_kernelI22helper_blocked_stripedN15benchmark_utils11custom_typeIiiEELj320ELj4ELj10EEvPKT0_PS4_,"axG",@progbits,_Z17sort_pairs_kernelI22helper_blocked_stripedN15benchmark_utils11custom_typeIiiEELj320ELj4ELj10EEvPKT0_PS4_,comdat
	.protected	_Z17sort_pairs_kernelI22helper_blocked_stripedN15benchmark_utils11custom_typeIiiEELj320ELj4ELj10EEvPKT0_PS4_ ; -- Begin function _Z17sort_pairs_kernelI22helper_blocked_stripedN15benchmark_utils11custom_typeIiiEELj320ELj4ELj10EEvPKT0_PS4_
	.globl	_Z17sort_pairs_kernelI22helper_blocked_stripedN15benchmark_utils11custom_typeIiiEELj320ELj4ELj10EEvPKT0_PS4_
	.p2align	8
	.type	_Z17sort_pairs_kernelI22helper_blocked_stripedN15benchmark_utils11custom_typeIiiEELj320ELj4ELj10EEvPKT0_PS4_,@function
_Z17sort_pairs_kernelI22helper_blocked_stripedN15benchmark_utils11custom_typeIiiEELj320ELj4ELj10EEvPKT0_PS4_: ; @_Z17sort_pairs_kernelI22helper_blocked_stripedN15benchmark_utils11custom_typeIiiEELj320ELj4ELj10EEvPKT0_PS4_
; %bb.0:
	s_clause 0x1
	s_load_b128 s[16:19], s[0:1], 0x0
	s_load_b32 s13, s[0:1], 0x1c
	v_mbcnt_lo_u32_b32 v1, -1, 0
	s_mov_b32 s23, 0
	s_mul_i32 s22, s15, 0x500
	v_bfe_u32 v3, v0, 10, 10
	s_lshl_b64 s[20:21], s[22:23], 3
	v_add_nc_u32_e32 v6, -1, v1
	v_and_b32_e32 v5, 16, v1
	v_and_b32_e32 v4, 15, v1
	;; [unrolled: 1-line block ×4, first 2 shown]
	v_cmp_gt_i32_e32 vcc_lo, 0, v6
	v_and_b32_e32 v16, 0x3ff, v0
	v_cmp_eq_u32_e64 s9, 0, v5
	v_cmp_eq_u32_e64 s5, 0, v4
	v_cmp_lt_u32_e64 s6, 1, v4
	s_delay_alu instid0(VALU_DEP_4)
	v_dual_cndmask_b32 v5, v6, v1 :: v_dual_lshlrev_b32 v36, 5, v16
	v_lshlrev_b32_e32 v38, 2, v16
	s_waitcnt lgkmcnt(0)
	s_add_u32 s0, s16, s20
	s_addc_u32 s1, s17, s21
	v_cmp_lt_u32_e64 s7, 3, v4
	s_clause 0x1
	global_load_b128 v[12:15], v36, s[0:1]
	global_load_b128 v[8:11], v36, s[0:1] offset:16
	v_cmp_lt_u32_e64 s8, 7, v4
	v_lshrrev_b32_e32 v4, 3, v16
	v_bfe_u32 v0, v0, 20, 10
	v_cmp_eq_u32_e64 s0, 0, v1
	v_lshlrev_b32_e32 v44, 2, v5
	v_cmp_eq_u32_e64 s1, 0, v2
	v_and_b32_e32 v43, 60, v4
	v_and_b32_e32 v4, 0x780, v38
	v_cmp_eq_u32_e64 s2, 1, v2
	v_cmp_eq_u32_e64 s3, 2, v2
	;; [unrolled: 1-line block ×3, first 2 shown]
	v_and_b32_e32 v2, 0x1e0, v16
	v_or_b32_e32 v5, v1, v4
	v_or_b32_e32 v1, 32, v4
	s_lshr_b32 s14, s13, 16
	v_lshrrev_b32_e32 v6, 5, v4
	v_mad_u32_u24 v3, v0, s14, v3
	v_min_u32_e32 v2, 0x120, v2
	v_lshrrev_b32_e32 v17, 5, v1
	v_or_b32_e32 v7, 64, v4
	v_or_b32_e32 v4, 0x60, v4
	s_and_b32 s13, s13, 0xffff
	v_or_b32_e32 v2, 31, v2
	v_mad_u64_u32 v[0:1], null, v3, s13, v[16:17]
	v_lshrrev_b32_e32 v1, 5, v7
	v_lshrrev_b32_e32 v3, 5, v4
	v_or_b32_e32 v39, 32, v37
	v_or_b32_e32 v40, 64, v37
	;; [unrolled: 1-line block ×3, first 2 shown]
	v_cmp_gt_u32_e64 s10, 10, v16
	v_cmp_lt_u32_e64 s11, 31, v16
	v_cmp_eq_u32_e64 s12, 0, v16
	v_add_nc_u32_e32 v42, 40, v36
	v_mad_i32_i24 v45, 0xffffffe4, v16, v36
	v_add_nc_u32_e32 v46, -4, v43
	v_cmp_eq_u32_e64 s13, v2, v16
	v_add_lshl_u32 v47, v6, v5, 3
	v_add_lshl_u32 v48, v17, v5, 3
	;; [unrolled: 1-line block ×4, first 2 shown]
	v_lshrrev_b32_e32 v17, 5, v0
	s_mov_b32 s22, s23
	s_mov_b32 s24, s23
	;; [unrolled: 1-line block ×4, first 2 shown]
	s_waitcnt vmcnt(1)
	v_add_nc_u32_e32 v5, 1, v13
	v_add_nc_u32_e32 v4, 1, v12
	;; [unrolled: 1-line block ×4, first 2 shown]
	s_waitcnt vmcnt(0)
	v_add_nc_u32_e32 v1, 1, v9
	v_add_nc_u32_e32 v0, 1, v8
	;; [unrolled: 1-line block ×4, first 2 shown]
	s_branch .LBB373_2
.LBB373_1:                              ;   in Loop: Header=BB373_2 Depth=1
	v_lshlrev_b32_e32 v0, 3, v52
	v_lshlrev_b32_e32 v1, 3, v51
	;; [unrolled: 1-line block ×3, first 2 shown]
	s_barrier
	buffer_gl0_inv
	v_lshlrev_b32_e32 v3, 3, v6
	ds_store_b64 v0, v[8:9]
	ds_store_b64 v1, v[24:25]
	;; [unrolled: 1-line block ×3, first 2 shown]
	v_add_nc_u32_e32 v8, v45, v38
	s_add_i32 s17, s17, 1
	ds_store_b64 v3, v[20:21]
	s_waitcnt lgkmcnt(0)
	s_barrier
	buffer_gl0_inv
	ds_load_2addr_stride64_b64 v[20:23], v8 offset1:5
	ds_load_2addr_stride64_b64 v[24:27], v8 offset0:10 offset1:15
	s_waitcnt lgkmcnt(0)
	s_barrier
	buffer_gl0_inv
	ds_store_b64 v0, v[14:15]
	ds_store_b64 v1, v[12:13]
	;; [unrolled: 1-line block ×4, first 2 shown]
	s_waitcnt lgkmcnt(0)
	s_barrier
	buffer_gl0_inv
	ds_load_2addr_stride64_b64 v[4:7], v8 offset1:5
	ds_load_2addr_stride64_b64 v[0:3], v8 offset0:10 offset1:15
	s_cmp_lg_u32 s17, 10
	v_xor_b32_e32 v12, 0x80000000, v20
	v_xor_b32_e32 v13, 0x80000000, v21
	v_xor_b32_e32 v14, 0x80000000, v22
	v_xor_b32_e32 v15, 0x80000000, v23
	v_xor_b32_e32 v8, 0x80000000, v24
	v_xor_b32_e32 v9, 0x80000000, v25
	v_xor_b32_e32 v10, 0x80000000, v26
	v_xor_b32_e32 v11, 0x80000000, v27
	s_cbranch_scc0 .LBB373_20
.LBB373_2:                              ; =>This Loop Header: Depth=1
                                        ;     Child Loop BB373_4 Depth 2
	v_xor_b32_e32 v13, 0x80000000, v13
	v_xor_b32_e32 v12, 0x80000000, v12
	;; [unrolled: 1-line block ×5, first 2 shown]
	ds_bpermute_b32 v18, v37, v13
	ds_bpermute_b32 v19, v37, v12
	ds_bpermute_b32 v20, v37, v15
	v_xor_b32_e32 v9, 0x80000000, v9
	ds_bpermute_b32 v21, v37, v14
	ds_bpermute_b32 v23, v39, v13
	v_xor_b32_e32 v11, 0x80000000, v11
	ds_bpermute_b32 v22, v37, v8
	ds_bpermute_b32 v24, v37, v9
	;; [unrolled: 1-line block ×5, first 2 shown]
	v_xor_b32_e32 v10, 0x80000000, v10
	ds_bpermute_b32 v27, v37, v11
	ds_bpermute_b32 v29, v39, v14
	;; [unrolled: 1-line block ×7, first 2 shown]
	s_waitcnt lgkmcnt(16)
	v_cndmask_b32_e64 v18, 0, v18, s1
	ds_bpermute_b32 v34, v40, v15
	s_waitcnt lgkmcnt(16)
	v_cndmask_b32_e64 v19, 0, v19, s1
	ds_bpermute_b32 v30, v39, v8
	ds_bpermute_b32 v51, v39, v10
	s_waitcnt lgkmcnt(17)
	v_cndmask_b32_e64 v18, v18, v20, s2
	ds_bpermute_b32 v20, v40, v8
	s_waitcnt lgkmcnt(16)
	v_cndmask_b32_e64 v23, 0, v23, s1
	v_cndmask_b32_e64 v19, v19, v21, s2
	ds_bpermute_b32 v54, v40, v9
	s_waitcnt lgkmcnt(15)
	v_cndmask_b32_e64 v18, v18, v24, s3
	s_waitcnt lgkmcnt(14)
	v_cndmask_b32_e64 v21, 0, v26, s1
	;; [unrolled: 2-line block ×3, first 2 shown]
	v_cndmask_b32_e64 v19, v19, v22, s3
	s_waitcnt lgkmcnt(12)
	v_cndmask_b32_e64 v22, 0, v33, s1
	ds_bpermute_b32 v13, v41, v13
	s_waitcnt lgkmcnt(12)
	v_cndmask_b32_e64 v35, v18, v27, s4
	s_waitcnt lgkmcnt(11)
	v_cndmask_b32_e64 v18, v21, v29, s2
	s_waitcnt lgkmcnt(9)
	v_cndmask_b32_e64 v21, 0, v32, s1
	v_cndmask_b32_e64 v23, v23, v31, s3
	s_waitcnt lgkmcnt(8)
	v_cndmask_b32_e64 v22, v22, v53, s2
	ds_bpermute_b32 v12, v41, v12
	ds_bpermute_b32 v15, v41, v15
	s_waitcnt lgkmcnt(7)
	v_cndmask_b32_e64 v21, v21, v34, s2
	v_cndmask_b32_e64 v34, v19, v25, s4
	;; [unrolled: 1-line block ×3, first 2 shown]
	s_waitcnt lgkmcnt(4)
	v_cndmask_b32_e64 v19, v22, v20, s3
	ds_bpermute_b32 v22, v37, v5
	ds_bpermute_b32 v23, v37, v4
	v_cndmask_b32_e64 v18, v18, v30, s3
	ds_bpermute_b32 v14, v41, v14
	ds_bpermute_b32 v9, v41, v9
	;; [unrolled: 1-line block ×4, first 2 shown]
	v_cndmask_b32_e64 v26, v18, v51, s4
	s_waitcnt lgkmcnt(9)
	v_cndmask_b32_e64 v18, v21, v54, s3
	ds_bpermute_b32 v21, v40, v11
	ds_bpermute_b32 v8, v41, v8
	;; [unrolled: 1-line block ×6, first 2 shown]
	s_waitcnt lgkmcnt(14)
	v_cndmask_b32_e64 v13, 0, v13, s1
	ds_bpermute_b32 v30, v37, v1
	ds_bpermute_b32 v10, v41, v10
	;; [unrolled: 1-line block ×4, first 2 shown]
	s_waitcnt lgkmcnt(17)
	v_cndmask_b32_e64 v12, 0, v12, s1
	ds_bpermute_b32 v51, v39, v4
	s_waitcnt lgkmcnt(17)
	v_cndmask_b32_e64 v13, v13, v15, s2
	s_waitcnt lgkmcnt(16)
	v_cndmask_b32_e64 v15, 0, v22, s1
	;; [unrolled: 2-line block ×3, first 2 shown]
	ds_bpermute_b32 v52, v37, v3
	ds_bpermute_b32 v55, v39, v6
	s_waitcnt lgkmcnt(16)
	v_cndmask_b32_e64 v12, v12, v14, s2
	s_waitcnt lgkmcnt(15)
	v_cndmask_b32_e64 v9, v13, v9, s3
	;; [unrolled: 2-line block ×4, first 2 shown]
	ds_bpermute_b32 v15, v40, v6
	s_waitcnt lgkmcnt(12)
	v_cndmask_b32_e64 v8, v12, v8, s3
	s_waitcnt lgkmcnt(11)
	v_cndmask_b32_e64 v31, v9, v11, s4
	;; [unrolled: 2-line block ×6, first 2 shown]
	ds_bpermute_b32 v14, v40, v7
	s_waitcnt lgkmcnt(6)
	v_cndmask_b32_e64 v32, v11, v53, s4
	s_waitcnt lgkmcnt(5)
	v_cndmask_b32_e64 v8, v12, v54, s2
	ds_bpermute_b32 v11, v40, v5
	ds_bpermute_b32 v12, v40, v4
	;; [unrolled: 1-line block ×4, first 2 shown]
	s_waitcnt lgkmcnt(8)
	v_cndmask_b32_e64 v13, 0, v51, s1
	ds_bpermute_b32 v7, v41, v7
	ds_bpermute_b32 v6, v41, v6
	v_cndmask_b32_e64 v29, v18, v21, s4
	v_cndmask_b32_e64 v28, v19, v20, s4
	s_waitcnt lgkmcnt(9)
	v_cndmask_b32_e64 v33, v9, v52, s4
	s_waitcnt lgkmcnt(8)
	v_cndmask_b32_e64 v9, v13, v55, s2
	ds_bpermute_b32 v10, v39, v1
	ds_bpermute_b32 v13, v39, v0
	;; [unrolled: 1-line block ×12, first 2 shown]
	s_waitcnt lgkmcnt(17)
	v_cndmask_b32_e64 v2, 0, v11, s1
	s_waitcnt lgkmcnt(16)
	v_cndmask_b32_e64 v3, 0, v12, s1
	;; [unrolled: 2-line block ×4, first 2 shown]
	s_mov_b32 s26, 8
	v_cndmask_b32_e64 v2, v2, v14, s2
	v_cndmask_b32_e64 v3, v3, v15, s2
	s_waitcnt lgkmcnt(13)
	v_cndmask_b32_e64 v5, v5, v7, s2
	s_waitcnt lgkmcnt(12)
	;; [unrolled: 2-line block ×14, first 2 shown]
	v_cndmask_b32_e64 v4, v4, v51, s4
	s_mov_b32 s27, 32
	s_mov_b32 s28, 0
	s_barrier
	s_branch .LBB373_4
.LBB373_3:                              ;   in Loop: Header=BB373_4 Depth=2
	v_lshrrev_b32_e32 v0, 2, v52
	v_lshrrev_b32_e32 v1, 2, v51
	;; [unrolled: 1-line block ×4, first 2 shown]
	s_barrier
	v_and_b32_e32 v0, 0x3ffffff8, v0
	v_and_b32_e32 v1, 0x3ffffff8, v1
	;; [unrolled: 1-line block ×4, first 2 shown]
	buffer_gl0_inv
	v_lshl_add_u32 v0, v52, 3, v0
	v_lshl_add_u32 v1, v51, 3, v1
	;; [unrolled: 1-line block ×4, first 2 shown]
	s_add_i32 s27, s27, -8
	ds_store_b64 v0, v[8:9]
	ds_store_b64 v1, v[24:25]
	;; [unrolled: 1-line block ×4, first 2 shown]
	s_waitcnt lgkmcnt(0)
	s_barrier
	buffer_gl0_inv
	ds_load_b64 v[34:35], v47
	ds_load_b64 v[26:27], v48 offset:256
	ds_load_b64 v[28:29], v49 offset:512
	;; [unrolled: 1-line block ×3, first 2 shown]
	s_waitcnt lgkmcnt(0)
	s_barrier
	buffer_gl0_inv
	ds_store_b64 v0, v[14:15]
	ds_store_b64 v1, v[12:13]
	;; [unrolled: 1-line block ×4, first 2 shown]
	s_waitcnt lgkmcnt(0)
	s_barrier
	buffer_gl0_inv
	ds_load_b64 v[32:33], v47
	ds_load_b64 v[0:1], v48 offset:256
	ds_load_b64 v[2:3], v49 offset:512
	;; [unrolled: 1-line block ×3, first 2 shown]
	s_add_i32 s26, s26, 8
	s_add_i32 s28, s28, 8
	s_waitcnt lgkmcnt(0)
	s_barrier
	s_cbranch_execz .LBB373_1
.LBB373_4:                              ;   Parent Loop BB373_2 Depth=1
                                        ; =>  This Inner Loop Header: Depth=2
	s_min_i32 s15, s26, 32
	s_cmp_lt_u32 s28, 32
	v_dual_mov_b32 v8, v34 :: v_dual_mov_b32 v9, v35
	s_cselect_b32 vcc_lo, -1, 0
	s_cmp_gt_u32 s28, 24
	v_mov_b32_e32 v24, v26
	s_cselect_b32 s14, -1, 0
	s_sub_i32 s15, s15, 32
	v_lshrrev_b32_e32 v7, s28, v9
	s_add_i32 s16, s15, s27
	v_mov_b32_e32 v20, v30
	s_lshl_b32 s16, -1, s16
	v_mov_b32_e32 v22, v28
	s_not_b32 s16, s16
	s_cmp_lg_u32 s15, s28
	buffer_gl0_inv
	s_cselect_b32 s29, s16, -1
	s_max_i32 s30, s27, 0
	s_max_i32 s15, s28, 32
	v_and_b32_e32 v7, s29, v7
	s_sub_i32 s16, s15, s30
	s_sub_i32 s31, s15, 32
	;; [unrolled: 1-line block ×3, first 2 shown]
	v_lshrrev_b32_e32 v6, s31, v8
	s_min_i32 s15, s16, 32
	v_cndmask_b32_e32 v7, 0, v7, vcc_lo
	s_sub_i32 s15, s15, s31
	v_mov_b32_e32 v25, v27
	s_lshl_b32 s16, -1, s15
	v_mov_b32_e32 v23, v29
	s_not_b32 s16, s16
	s_cmp_lg_u32 s15, 32
	v_mov_b32_e32 v21, v31
	s_cselect_b32 s33, s16, -1
	s_delay_alu instid0(SALU_CYCLE_1) | instskip(NEXT) | instid1(VALU_DEP_1)
	v_and_b32_e32 v6, s33, v6
	v_lshlrev_b32_e32 v6, s30, v6
	s_delay_alu instid0(VALU_DEP_1) | instskip(NEXT) | instid1(VALU_DEP_1)
	v_cndmask_b32_e64 v6, 0, v6, s14
	v_or_b32_e32 v7, v7, v6
	s_delay_alu instid0(VALU_DEP_1)
	v_and_b32_e32 v6, 1, v7
	v_lshlrev_b32_e32 v10, 30, v7
	v_lshlrev_b32_e32 v11, 29, v7
	;; [unrolled: 1-line block ×4, first 2 shown]
	v_add_co_u32 v6, s15, v6, -1
	s_delay_alu instid0(VALU_DEP_1)
	v_cndmask_b32_e64 v13, 0, 1, s15
	v_not_b32_e32 v19, v10
	v_cmp_gt_i32_e64 s16, 0, v10
	v_not_b32_e32 v10, v11
	v_lshlrev_b32_e32 v18, 25, v7
	v_cmp_ne_u32_e64 s15, 0, v13
	v_ashrrev_i32_e32 v19, 31, v19
	v_lshlrev_b32_e32 v13, 24, v7
	v_ashrrev_i32_e32 v10, 31, v10
	v_lshlrev_b32_e32 v15, 26, v7
	v_xor_b32_e32 v6, s15, v6
	v_cmp_gt_i32_e64 s15, 0, v11
	v_not_b32_e32 v11, v12
	v_xor_b32_e32 v19, s16, v19
	v_cmp_gt_i32_e64 s16, 0, v12
	v_and_b32_e32 v6, exec_lo, v6
	v_not_b32_e32 v12, v14
	v_ashrrev_i32_e32 v11, 31, v11
	v_xor_b32_e32 v10, s15, v10
	v_cmp_gt_i32_e64 s15, 0, v14
	v_and_b32_e32 v6, v6, v19
	v_ashrrev_i32_e32 v12, 31, v12
	v_xor_b32_e32 v11, s16, v11
	s_delay_alu instid0(VALU_DEP_3) | instskip(SKIP_1) | instid1(VALU_DEP_4)
	v_and_b32_e32 v6, v6, v10
	v_not_b32_e32 v10, v18
	v_xor_b32_e32 v12, s15, v12
	v_cmp_gt_i32_e64 s15, 0, v18
	s_delay_alu instid0(VALU_DEP_4) | instskip(SKIP_2) | instid1(VALU_DEP_3)
	v_and_b32_e32 v6, v6, v11
	v_not_b32_e32 v11, v13
	v_ashrrev_i32_e32 v10, 31, v10
	v_and_b32_e32 v6, v6, v12
	s_delay_alu instid0(VALU_DEP_3) | instskip(NEXT) | instid1(VALU_DEP_3)
	v_ashrrev_i32_e32 v18, 31, v11
	v_xor_b32_e32 v19, s15, v10
	v_dual_mov_b32 v11, v3 :: v_dual_mov_b32 v10, v2
	v_not_b32_e32 v14, v15
	v_cmp_gt_i32_e64 s16, 0, v15
	s_delay_alu instid0(VALU_DEP_2) | instskip(NEXT) | instid1(VALU_DEP_1)
	v_ashrrev_i32_e32 v14, 31, v14
	v_xor_b32_e32 v14, s16, v14
	v_cmp_gt_i32_e64 s16, 0, v13
	v_dual_mov_b32 v13, v1 :: v_dual_mov_b32 v12, v0
	s_delay_alu instid0(VALU_DEP_3) | instskip(NEXT) | instid1(VALU_DEP_3)
	v_and_b32_e32 v6, v6, v14
	v_xor_b32_e32 v0, s16, v18
	v_dual_mov_b32 v14, v32 :: v_dual_mov_b32 v15, v33
	s_delay_alu instid0(VALU_DEP_3) | instskip(SKIP_2) | instid1(VALU_DEP_3)
	v_and_b32_e32 v1, v6, v19
	v_dual_mov_b32 v19, v5 :: v_dual_mov_b32 v18, v4
	v_dual_mov_b32 v3, s24 :: v_dual_mov_b32 v4, s25
	v_dual_mov_b32 v1, s22 :: v_dual_and_b32 v0, v1, v0
	v_mov_b32_e32 v2, s23
	s_delay_alu instid0(VALU_DEP_4) | instskip(NEXT) | instid1(VALU_DEP_3)
	v_mad_u64_u32 v[5:6], null, v7, 10, v[17:18]
	v_mbcnt_lo_u32_b32 v26, v0, 0
	v_cmp_ne_u32_e64 s16, 0, v0
	ds_store_2addr_b64 v36, v[1:2], v[3:4] offset0:5 offset1:6
	ds_store_2addr_b64 v42, v[1:2], v[3:4] offset0:2 offset1:3
	s_waitcnt lgkmcnt(0)
	s_barrier
	v_cmp_eq_u32_e64 s15, 0, v26
	v_lshl_add_u32 v27, v5, 2, 40
	buffer_gl0_inv
	; wave barrier
	s_and_b32 s16, s15, s16
	s_delay_alu instid0(SALU_CYCLE_1)
	s_and_saveexec_b32 s15, s16
	s_cbranch_execz .LBB373_6
; %bb.5:                                ;   in Loop: Header=BB373_4 Depth=2
	v_bcnt_u32_b32 v0, v0, 0
	ds_store_b32 v27, v0
.LBB373_6:                              ;   in Loop: Header=BB373_4 Depth=2
	s_or_b32 exec_lo, exec_lo, s15
	v_lshrrev_b32_e32 v0, s31, v24
	v_lshrrev_b32_e32 v1, s28, v25
	; wave barrier
	s_delay_alu instid0(VALU_DEP_1) | instskip(NEXT) | instid1(VALU_DEP_1)
	v_and_b32_e32 v1, s29, v1
	v_dual_cndmask_b32 v1, 0, v1 :: v_dual_and_b32 v0, s33, v0
	s_delay_alu instid0(VALU_DEP_1) | instskip(NEXT) | instid1(VALU_DEP_1)
	v_lshlrev_b32_e32 v0, s30, v0
	v_cndmask_b32_e64 v0, 0, v0, s14
	s_delay_alu instid0(VALU_DEP_1) | instskip(NEXT) | instid1(VALU_DEP_1)
	v_or_b32_e32 v0, v1, v0
	v_and_b32_e32 v2, 1, v0
	v_lshlrev_b32_e32 v3, 30, v0
	v_lshlrev_b32_e32 v4, 29, v0
	;; [unrolled: 1-line block ×4, first 2 shown]
	v_add_co_u32 v2, s15, v2, -1
	s_delay_alu instid0(VALU_DEP_1)
	v_cndmask_b32_e64 v6, 0, 1, s15
	v_not_b32_e32 v30, v3
	v_cmp_gt_i32_e64 s16, 0, v3
	v_not_b32_e32 v3, v4
	v_lshlrev_b32_e32 v28, 26, v0
	v_cmp_ne_u32_e64 s15, 0, v6
	v_ashrrev_i32_e32 v6, 31, v30
	v_lshlrev_b32_e32 v29, 25, v0
	v_ashrrev_i32_e32 v3, 31, v3
	v_mul_lo_u32 v1, v0, 10
	v_xor_b32_e32 v2, s15, v2
	v_cmp_gt_i32_e64 s15, 0, v4
	v_not_b32_e32 v4, v5
	v_xor_b32_e32 v6, s16, v6
	v_cmp_gt_i32_e64 s16, 0, v5
	v_and_b32_e32 v2, exec_lo, v2
	v_not_b32_e32 v5, v7
	v_ashrrev_i32_e32 v4, 31, v4
	v_xor_b32_e32 v3, s15, v3
	v_cmp_gt_i32_e64 s15, 0, v7
	v_and_b32_e32 v2, v2, v6
	v_not_b32_e32 v6, v28
	v_ashrrev_i32_e32 v5, 31, v5
	v_xor_b32_e32 v4, s16, v4
	v_lshlrev_b32_e32 v0, 24, v0
	v_and_b32_e32 v2, v2, v3
	v_cmp_gt_i32_e64 s16, 0, v28
	v_not_b32_e32 v3, v29
	v_ashrrev_i32_e32 v6, 31, v6
	v_xor_b32_e32 v5, s15, v5
	v_and_b32_e32 v2, v2, v4
	v_cmp_gt_i32_e64 s15, 0, v29
	v_not_b32_e32 v4, v0
	v_ashrrev_i32_e32 v3, 31, v3
	v_xor_b32_e32 v6, s16, v6
	v_and_b32_e32 v2, v2, v5
	v_cmp_gt_i32_e64 s16, 0, v0
	v_ashrrev_i32_e32 v0, 31, v4
	v_xor_b32_e32 v3, s15, v3
	v_add_lshl_u32 v1, v1, v17, 2
	v_and_b32_e32 v2, v2, v6
	s_delay_alu instid0(VALU_DEP_4) | instskip(SKIP_3) | instid1(VALU_DEP_2)
	v_xor_b32_e32 v0, s16, v0
	ds_load_b32 v28, v1 offset:40
	v_and_b32_e32 v2, v2, v3
	v_add_nc_u32_e32 v30, 40, v1
	; wave barrier
	v_and_b32_e32 v0, v2, v0
	s_delay_alu instid0(VALU_DEP_1) | instskip(SKIP_1) | instid1(VALU_DEP_2)
	v_mbcnt_lo_u32_b32 v29, v0, 0
	v_cmp_ne_u32_e64 s16, 0, v0
	v_cmp_eq_u32_e64 s15, 0, v29
	s_delay_alu instid0(VALU_DEP_1) | instskip(NEXT) | instid1(SALU_CYCLE_1)
	s_and_b32 s16, s15, s16
	s_and_saveexec_b32 s15, s16
	s_cbranch_execz .LBB373_8
; %bb.7:                                ;   in Loop: Header=BB373_4 Depth=2
	s_waitcnt lgkmcnt(0)
	v_bcnt_u32_b32 v0, v0, v28
	ds_store_b32 v30, v0
.LBB373_8:                              ;   in Loop: Header=BB373_4 Depth=2
	s_or_b32 exec_lo, exec_lo, s15
	v_lshrrev_b32_e32 v0, s31, v22
	v_lshrrev_b32_e32 v1, s28, v23
	; wave barrier
	s_delay_alu instid0(VALU_DEP_1) | instskip(NEXT) | instid1(VALU_DEP_1)
	v_and_b32_e32 v1, s29, v1
	v_dual_cndmask_b32 v1, 0, v1 :: v_dual_and_b32 v0, s33, v0
	s_delay_alu instid0(VALU_DEP_1) | instskip(NEXT) | instid1(VALU_DEP_1)
	v_lshlrev_b32_e32 v0, s30, v0
	v_cndmask_b32_e64 v0, 0, v0, s14
	s_delay_alu instid0(VALU_DEP_1) | instskip(NEXT) | instid1(VALU_DEP_1)
	v_or_b32_e32 v0, v1, v0
	v_and_b32_e32 v2, 1, v0
	v_lshlrev_b32_e32 v3, 30, v0
	v_lshlrev_b32_e32 v4, 29, v0
	;; [unrolled: 1-line block ×4, first 2 shown]
	v_add_co_u32 v2, s15, v2, -1
	s_delay_alu instid0(VALU_DEP_1)
	v_cndmask_b32_e64 v6, 0, 1, s15
	v_not_b32_e32 v33, v3
	v_cmp_gt_i32_e64 s16, 0, v3
	v_not_b32_e32 v3, v4
	v_lshlrev_b32_e32 v31, 26, v0
	v_cmp_ne_u32_e64 s15, 0, v6
	v_ashrrev_i32_e32 v6, 31, v33
	v_lshlrev_b32_e32 v32, 25, v0
	v_ashrrev_i32_e32 v3, 31, v3
	v_mul_lo_u32 v1, v0, 10
	v_xor_b32_e32 v2, s15, v2
	v_cmp_gt_i32_e64 s15, 0, v4
	v_not_b32_e32 v4, v5
	v_xor_b32_e32 v6, s16, v6
	v_cmp_gt_i32_e64 s16, 0, v5
	v_and_b32_e32 v2, exec_lo, v2
	v_not_b32_e32 v5, v7
	v_ashrrev_i32_e32 v4, 31, v4
	v_xor_b32_e32 v3, s15, v3
	v_cmp_gt_i32_e64 s15, 0, v7
	v_and_b32_e32 v2, v2, v6
	v_not_b32_e32 v6, v31
	v_ashrrev_i32_e32 v5, 31, v5
	v_xor_b32_e32 v4, s16, v4
	v_lshlrev_b32_e32 v0, 24, v0
	v_and_b32_e32 v2, v2, v3
	v_cmp_gt_i32_e64 s16, 0, v31
	v_not_b32_e32 v3, v32
	v_ashrrev_i32_e32 v6, 31, v6
	v_xor_b32_e32 v5, s15, v5
	v_and_b32_e32 v2, v2, v4
	v_cmp_gt_i32_e64 s15, 0, v32
	v_not_b32_e32 v4, v0
	v_ashrrev_i32_e32 v3, 31, v3
	v_xor_b32_e32 v6, s16, v6
	v_and_b32_e32 v2, v2, v5
	v_cmp_gt_i32_e64 s16, 0, v0
	v_ashrrev_i32_e32 v0, 31, v4
	v_xor_b32_e32 v3, s15, v3
	v_add_lshl_u32 v1, v1, v17, 2
	v_and_b32_e32 v2, v2, v6
	s_delay_alu instid0(VALU_DEP_4) | instskip(SKIP_3) | instid1(VALU_DEP_2)
	v_xor_b32_e32 v0, s16, v0
	ds_load_b32 v31, v1 offset:40
	v_and_b32_e32 v2, v2, v3
	v_add_nc_u32_e32 v33, 40, v1
	; wave barrier
	v_and_b32_e32 v0, v2, v0
	s_delay_alu instid0(VALU_DEP_1) | instskip(SKIP_1) | instid1(VALU_DEP_2)
	v_mbcnt_lo_u32_b32 v32, v0, 0
	v_cmp_ne_u32_e64 s16, 0, v0
	v_cmp_eq_u32_e64 s15, 0, v32
	s_delay_alu instid0(VALU_DEP_1) | instskip(NEXT) | instid1(SALU_CYCLE_1)
	s_and_b32 s16, s15, s16
	s_and_saveexec_b32 s15, s16
	s_cbranch_execz .LBB373_10
; %bb.9:                                ;   in Loop: Header=BB373_4 Depth=2
	s_waitcnt lgkmcnt(0)
	v_bcnt_u32_b32 v0, v0, v31
	ds_store_b32 v33, v0
.LBB373_10:                             ;   in Loop: Header=BB373_4 Depth=2
	s_or_b32 exec_lo, exec_lo, s15
	v_lshrrev_b32_e32 v0, s31, v20
	v_lshrrev_b32_e32 v1, s28, v21
	; wave barrier
	s_delay_alu instid0(VALU_DEP_1) | instskip(NEXT) | instid1(VALU_DEP_1)
	v_and_b32_e32 v1, s29, v1
	v_dual_cndmask_b32 v1, 0, v1 :: v_dual_and_b32 v0, s33, v0
	s_delay_alu instid0(VALU_DEP_1) | instskip(NEXT) | instid1(VALU_DEP_1)
	v_lshlrev_b32_e32 v0, s30, v0
	v_cndmask_b32_e64 v0, 0, v0, s14
	s_delay_alu instid0(VALU_DEP_1) | instskip(NEXT) | instid1(VALU_DEP_1)
	v_or_b32_e32 v0, v1, v0
	v_and_b32_e32 v2, 1, v0
	v_lshlrev_b32_e32 v3, 30, v0
	v_lshlrev_b32_e32 v4, 29, v0
	;; [unrolled: 1-line block ×4, first 2 shown]
	v_add_co_u32 v2, s14, v2, -1
	s_delay_alu instid0(VALU_DEP_1)
	v_cndmask_b32_e64 v6, 0, 1, s14
	v_not_b32_e32 v51, v3
	v_cmp_gt_i32_e64 s14, 0, v3
	v_not_b32_e32 v3, v4
	v_lshlrev_b32_e32 v34, 26, v0
	v_cmp_ne_u32_e32 vcc_lo, 0, v6
	v_ashrrev_i32_e32 v6, 31, v51
	v_lshlrev_b32_e32 v35, 25, v0
	v_ashrrev_i32_e32 v3, 31, v3
	v_mul_lo_u32 v1, v0, 10
	v_xor_b32_e32 v2, vcc_lo, v2
	v_cmp_gt_i32_e32 vcc_lo, 0, v4
	v_not_b32_e32 v4, v5
	v_xor_b32_e32 v6, s14, v6
	v_cmp_gt_i32_e64 s14, 0, v5
	v_and_b32_e32 v2, exec_lo, v2
	v_not_b32_e32 v5, v7
	v_ashrrev_i32_e32 v4, 31, v4
	v_xor_b32_e32 v3, vcc_lo, v3
	v_cmp_gt_i32_e32 vcc_lo, 0, v7
	v_and_b32_e32 v2, v2, v6
	v_not_b32_e32 v6, v34
	v_ashrrev_i32_e32 v5, 31, v5
	v_xor_b32_e32 v4, s14, v4
	v_lshlrev_b32_e32 v0, 24, v0
	v_and_b32_e32 v2, v2, v3
	v_cmp_gt_i32_e64 s14, 0, v34
	v_not_b32_e32 v3, v35
	v_ashrrev_i32_e32 v6, 31, v6
	v_xor_b32_e32 v5, vcc_lo, v5
	v_and_b32_e32 v2, v2, v4
	v_cmp_gt_i32_e32 vcc_lo, 0, v35
	v_not_b32_e32 v4, v0
	v_ashrrev_i32_e32 v3, 31, v3
	v_xor_b32_e32 v6, s14, v6
	v_and_b32_e32 v2, v2, v5
	v_cmp_gt_i32_e64 s14, 0, v0
	v_ashrrev_i32_e32 v0, 31, v4
	v_xor_b32_e32 v3, vcc_lo, v3
	v_add_lshl_u32 v1, v1, v17, 2
	v_and_b32_e32 v2, v2, v6
	s_delay_alu instid0(VALU_DEP_4) | instskip(SKIP_3) | instid1(VALU_DEP_2)
	v_xor_b32_e32 v0, s14, v0
	ds_load_b32 v34, v1 offset:40
	v_and_b32_e32 v2, v2, v3
	v_add_nc_u32_e32 v51, 40, v1
	; wave barrier
	v_and_b32_e32 v0, v2, v0
	s_delay_alu instid0(VALU_DEP_1) | instskip(SKIP_1) | instid1(VALU_DEP_2)
	v_mbcnt_lo_u32_b32 v35, v0, 0
	v_cmp_ne_u32_e64 s14, 0, v0
	v_cmp_eq_u32_e32 vcc_lo, 0, v35
	s_delay_alu instid0(VALU_DEP_2) | instskip(NEXT) | instid1(SALU_CYCLE_1)
	s_and_b32 s15, vcc_lo, s14
	s_and_saveexec_b32 s14, s15
	s_cbranch_execz .LBB373_12
; %bb.11:                               ;   in Loop: Header=BB373_4 Depth=2
	s_waitcnt lgkmcnt(0)
	v_bcnt_u32_b32 v0, v0, v34
	ds_store_b32 v51, v0
.LBB373_12:                             ;   in Loop: Header=BB373_4 Depth=2
	s_or_b32 exec_lo, exec_lo, s14
	; wave barrier
	s_waitcnt lgkmcnt(0)
	s_barrier
	buffer_gl0_inv
	ds_load_2addr_b64 v[4:7], v36 offset0:5 offset1:6
	ds_load_2addr_b64 v[0:3], v42 offset0:2 offset1:3
	s_waitcnt lgkmcnt(1)
	v_add_nc_u32_e32 v52, v5, v4
	s_delay_alu instid0(VALU_DEP_1) | instskip(SKIP_1) | instid1(VALU_DEP_1)
	v_add3_u32 v52, v52, v6, v7
	s_waitcnt lgkmcnt(0)
	v_add3_u32 v52, v52, v0, v1
	s_delay_alu instid0(VALU_DEP_1) | instskip(NEXT) | instid1(VALU_DEP_1)
	v_add3_u32 v3, v52, v2, v3
	v_mov_b32_dpp v52, v3 row_shr:1 row_mask:0xf bank_mask:0xf
	s_delay_alu instid0(VALU_DEP_1) | instskip(NEXT) | instid1(VALU_DEP_1)
	v_cndmask_b32_e64 v52, v52, 0, s5
	v_add_nc_u32_e32 v3, v52, v3
	s_delay_alu instid0(VALU_DEP_1) | instskip(NEXT) | instid1(VALU_DEP_1)
	v_mov_b32_dpp v52, v3 row_shr:2 row_mask:0xf bank_mask:0xf
	v_cndmask_b32_e64 v52, 0, v52, s6
	s_delay_alu instid0(VALU_DEP_1) | instskip(NEXT) | instid1(VALU_DEP_1)
	v_add_nc_u32_e32 v3, v3, v52
	v_mov_b32_dpp v52, v3 row_shr:4 row_mask:0xf bank_mask:0xf
	s_delay_alu instid0(VALU_DEP_1) | instskip(NEXT) | instid1(VALU_DEP_1)
	v_cndmask_b32_e64 v52, 0, v52, s7
	v_add_nc_u32_e32 v3, v3, v52
	s_delay_alu instid0(VALU_DEP_1) | instskip(NEXT) | instid1(VALU_DEP_1)
	v_mov_b32_dpp v52, v3 row_shr:8 row_mask:0xf bank_mask:0xf
	v_cndmask_b32_e64 v52, 0, v52, s8
	s_delay_alu instid0(VALU_DEP_1) | instskip(SKIP_3) | instid1(VALU_DEP_1)
	v_add_nc_u32_e32 v3, v3, v52
	ds_swizzle_b32 v52, v3 offset:swizzle(BROADCAST,32,15)
	s_waitcnt lgkmcnt(0)
	v_cndmask_b32_e64 v52, v52, 0, s9
	v_add_nc_u32_e32 v3, v3, v52
	s_and_saveexec_b32 s14, s13
	s_cbranch_execz .LBB373_14
; %bb.13:                               ;   in Loop: Header=BB373_4 Depth=2
	ds_store_b32 v43, v3
.LBB373_14:                             ;   in Loop: Header=BB373_4 Depth=2
	s_or_b32 exec_lo, exec_lo, s14
	s_waitcnt lgkmcnt(0)
	s_barrier
	buffer_gl0_inv
	s_and_saveexec_b32 s14, s10
	s_cbranch_execz .LBB373_16
; %bb.15:                               ;   in Loop: Header=BB373_4 Depth=2
	ds_load_b32 v52, v45
	s_waitcnt lgkmcnt(0)
	v_mov_b32_dpp v53, v52 row_shr:1 row_mask:0xf bank_mask:0xf
	s_delay_alu instid0(VALU_DEP_1) | instskip(NEXT) | instid1(VALU_DEP_1)
	v_cndmask_b32_e64 v53, v53, 0, s5
	v_add_nc_u32_e32 v52, v53, v52
	s_delay_alu instid0(VALU_DEP_1) | instskip(NEXT) | instid1(VALU_DEP_1)
	v_mov_b32_dpp v53, v52 row_shr:2 row_mask:0xf bank_mask:0xf
	v_cndmask_b32_e64 v53, 0, v53, s6
	s_delay_alu instid0(VALU_DEP_1) | instskip(NEXT) | instid1(VALU_DEP_1)
	v_add_nc_u32_e32 v52, v52, v53
	v_mov_b32_dpp v53, v52 row_shr:4 row_mask:0xf bank_mask:0xf
	s_delay_alu instid0(VALU_DEP_1) | instskip(NEXT) | instid1(VALU_DEP_1)
	v_cndmask_b32_e64 v53, 0, v53, s7
	v_add_nc_u32_e32 v52, v52, v53
	s_delay_alu instid0(VALU_DEP_1) | instskip(NEXT) | instid1(VALU_DEP_1)
	v_mov_b32_dpp v53, v52 row_shr:8 row_mask:0xf bank_mask:0xf
	v_cndmask_b32_e64 v53, 0, v53, s8
	s_delay_alu instid0(VALU_DEP_1)
	v_add_nc_u32_e32 v52, v52, v53
	ds_store_b32 v45, v52
.LBB373_16:                             ;   in Loop: Header=BB373_4 Depth=2
	s_or_b32 exec_lo, exec_lo, s14
	v_mov_b32_e32 v52, 0
	s_waitcnt lgkmcnt(0)
	s_barrier
	buffer_gl0_inv
	s_and_saveexec_b32 s14, s11
	s_cbranch_execz .LBB373_18
; %bb.17:                               ;   in Loop: Header=BB373_4 Depth=2
	ds_load_b32 v52, v46
.LBB373_18:                             ;   in Loop: Header=BB373_4 Depth=2
	s_or_b32 exec_lo, exec_lo, s14
	s_waitcnt lgkmcnt(0)
	v_add_nc_u32_e32 v3, v52, v3
	s_cmp_gt_u32 s28, 55
	ds_bpermute_b32 v3, v44, v3
	s_waitcnt lgkmcnt(0)
	v_cndmask_b32_e64 v3, v3, v52, s0
	s_delay_alu instid0(VALU_DEP_1) | instskip(NEXT) | instid1(VALU_DEP_1)
	v_cndmask_b32_e64 v3, v3, 0, s12
	v_add_nc_u32_e32 v4, v3, v4
	s_delay_alu instid0(VALU_DEP_1) | instskip(NEXT) | instid1(VALU_DEP_1)
	v_add_nc_u32_e32 v5, v4, v5
	v_add_nc_u32_e32 v6, v5, v6
	s_delay_alu instid0(VALU_DEP_1) | instskip(NEXT) | instid1(VALU_DEP_1)
	v_add_nc_u32_e32 v52, v6, v7
	;; [unrolled: 3-line block ×3, first 2 shown]
	v_add_nc_u32_e32 v1, v0, v2
	ds_store_2addr_b64 v36, v[3:4], v[5:6] offset0:5 offset1:6
	ds_store_2addr_b64 v42, v[52:53], v[0:1] offset0:2 offset1:3
	s_waitcnt lgkmcnt(0)
	s_barrier
	buffer_gl0_inv
	ds_load_b32 v0, v27
	ds_load_b32 v1, v30
	;; [unrolled: 1-line block ×4, first 2 shown]
	s_waitcnt lgkmcnt(0)
	v_add_nc_u32_e32 v52, v0, v26
	v_add3_u32 v51, v29, v28, v1
	v_add3_u32 v7, v32, v31, v2
	;; [unrolled: 1-line block ×3, first 2 shown]
	s_cbranch_scc0 .LBB373_3
; %bb.19:                               ;   in Loop: Header=BB373_2 Depth=1
                                        ; implicit-def: $sgpr28
                                        ; implicit-def: $vgpr32_vgpr33
                                        ; implicit-def: $vgpr0_vgpr1
                                        ; implicit-def: $vgpr2_vgpr3
                                        ; implicit-def: $vgpr4_vgpr5
                                        ; implicit-def: $vgpr34_vgpr35
                                        ; implicit-def: $vgpr26_vgpr27
                                        ; implicit-def: $vgpr28_vgpr29
                                        ; implicit-def: $vgpr30_vgpr31
                                        ; implicit-def: $sgpr27
                                        ; implicit-def: $sgpr26
	s_branch .LBB373_1
.LBB373_20:
	s_waitcnt lgkmcnt(1)
	v_add_nc_u32_e32 v4, v12, v4
	v_lshlrev_b32_e32 v12, 3, v16
	s_add_u32 s0, s18, s20
	s_waitcnt lgkmcnt(0)
	v_add_nc_u32_e32 v0, v8, v0
	s_addc_u32 s1, s19, s21
	v_add_nc_u32_e32 v1, v9, v1
	v_add_co_u32 v8, s2, s0, v12
	s_delay_alu instid0(VALU_DEP_1) | instskip(SKIP_1) | instid1(VALU_DEP_3)
	v_add_co_ci_u32_e64 v9, null, s1, 0, s2
	v_add_nc_u32_e32 v5, v13, v5
	v_add_co_u32 v8, vcc_lo, 0x1000, v8
	v_add_nc_u32_e32 v6, v14, v6
	v_add_nc_u32_e32 v7, v15, v7
	v_add_co_ci_u32_e32 v9, vcc_lo, 0, v9, vcc_lo
	v_add_nc_u32_e32 v2, v10, v2
	v_add_nc_u32_e32 v3, v11, v3
	s_clause 0x3
	global_store_b64 v12, v[4:5], s[0:1]
	global_store_b64 v12, v[6:7], s[0:1] offset:2560
	global_store_b64 v[8:9], v[0:1], off offset:1024
	global_store_b64 v[8:9], v[2:3], off offset:3584
	s_nop 0
	s_sendmsg sendmsg(MSG_DEALLOC_VGPRS)
	s_endpgm
	.section	.rodata,"a",@progbits
	.p2align	6, 0x0
	.amdhsa_kernel _Z17sort_pairs_kernelI22helper_blocked_stripedN15benchmark_utils11custom_typeIiiEELj320ELj4ELj10EEvPKT0_PS4_
		.amdhsa_group_segment_fixed_size 10560
		.amdhsa_private_segment_fixed_size 0
		.amdhsa_kernarg_size 272
		.amdhsa_user_sgpr_count 15
		.amdhsa_user_sgpr_dispatch_ptr 0
		.amdhsa_user_sgpr_queue_ptr 0
		.amdhsa_user_sgpr_kernarg_segment_ptr 1
		.amdhsa_user_sgpr_dispatch_id 0
		.amdhsa_user_sgpr_private_segment_size 0
		.amdhsa_wavefront_size32 1
		.amdhsa_uses_dynamic_stack 0
		.amdhsa_enable_private_segment 0
		.amdhsa_system_sgpr_workgroup_id_x 1
		.amdhsa_system_sgpr_workgroup_id_y 0
		.amdhsa_system_sgpr_workgroup_id_z 0
		.amdhsa_system_sgpr_workgroup_info 0
		.amdhsa_system_vgpr_workitem_id 2
		.amdhsa_next_free_vgpr 56
		.amdhsa_next_free_sgpr 34
		.amdhsa_reserve_vcc 1
		.amdhsa_float_round_mode_32 0
		.amdhsa_float_round_mode_16_64 0
		.amdhsa_float_denorm_mode_32 3
		.amdhsa_float_denorm_mode_16_64 3
		.amdhsa_dx10_clamp 1
		.amdhsa_ieee_mode 1
		.amdhsa_fp16_overflow 0
		.amdhsa_workgroup_processor_mode 1
		.amdhsa_memory_ordered 1
		.amdhsa_forward_progress 0
		.amdhsa_shared_vgpr_count 0
		.amdhsa_exception_fp_ieee_invalid_op 0
		.amdhsa_exception_fp_denorm_src 0
		.amdhsa_exception_fp_ieee_div_zero 0
		.amdhsa_exception_fp_ieee_overflow 0
		.amdhsa_exception_fp_ieee_underflow 0
		.amdhsa_exception_fp_ieee_inexact 0
		.amdhsa_exception_int_div_zero 0
	.end_amdhsa_kernel
	.section	.text._Z17sort_pairs_kernelI22helper_blocked_stripedN15benchmark_utils11custom_typeIiiEELj320ELj4ELj10EEvPKT0_PS4_,"axG",@progbits,_Z17sort_pairs_kernelI22helper_blocked_stripedN15benchmark_utils11custom_typeIiiEELj320ELj4ELj10EEvPKT0_PS4_,comdat
.Lfunc_end373:
	.size	_Z17sort_pairs_kernelI22helper_blocked_stripedN15benchmark_utils11custom_typeIiiEELj320ELj4ELj10EEvPKT0_PS4_, .Lfunc_end373-_Z17sort_pairs_kernelI22helper_blocked_stripedN15benchmark_utils11custom_typeIiiEELj320ELj4ELj10EEvPKT0_PS4_
                                        ; -- End function
	.section	.AMDGPU.csdata,"",@progbits
; Kernel info:
; codeLenInByte = 4820
; NumSgprs: 36
; NumVgprs: 56
; ScratchSize: 0
; MemoryBound: 0
; FloatMode: 240
; IeeeMode: 1
; LDSByteSize: 10560 bytes/workgroup (compile time only)
; SGPRBlocks: 4
; VGPRBlocks: 6
; NumSGPRsForWavesPerEU: 36
; NumVGPRsForWavesPerEU: 56
; Occupancy: 15
; WaveLimiterHint : 1
; COMPUTE_PGM_RSRC2:SCRATCH_EN: 0
; COMPUTE_PGM_RSRC2:USER_SGPR: 15
; COMPUTE_PGM_RSRC2:TRAP_HANDLER: 0
; COMPUTE_PGM_RSRC2:TGID_X_EN: 1
; COMPUTE_PGM_RSRC2:TGID_Y_EN: 0
; COMPUTE_PGM_RSRC2:TGID_Z_EN: 0
; COMPUTE_PGM_RSRC2:TIDIG_COMP_CNT: 2
	.section	.text._Z16sort_keys_kernelI22helper_blocked_stripedN15benchmark_utils11custom_typeIiiEELj320ELj8ELj10EEvPKT0_PS4_,"axG",@progbits,_Z16sort_keys_kernelI22helper_blocked_stripedN15benchmark_utils11custom_typeIiiEELj320ELj8ELj10EEvPKT0_PS4_,comdat
	.protected	_Z16sort_keys_kernelI22helper_blocked_stripedN15benchmark_utils11custom_typeIiiEELj320ELj8ELj10EEvPKT0_PS4_ ; -- Begin function _Z16sort_keys_kernelI22helper_blocked_stripedN15benchmark_utils11custom_typeIiiEELj320ELj8ELj10EEvPKT0_PS4_
	.globl	_Z16sort_keys_kernelI22helper_blocked_stripedN15benchmark_utils11custom_typeIiiEELj320ELj8ELj10EEvPKT0_PS4_
	.p2align	8
	.type	_Z16sort_keys_kernelI22helper_blocked_stripedN15benchmark_utils11custom_typeIiiEELj320ELj8ELj10EEvPKT0_PS4_,@function
_Z16sort_keys_kernelI22helper_blocked_stripedN15benchmark_utils11custom_typeIiiEELj320ELj8ELj10EEvPKT0_PS4_: ; @_Z16sort_keys_kernelI22helper_blocked_stripedN15benchmark_utils11custom_typeIiiEELj320ELj8ELj10EEvPKT0_PS4_
; %bb.0:
	s_clause 0x1
	s_load_b128 s[16:19], s[0:1], 0x0
	s_load_b32 s2, s[0:1], 0x1c
	v_and_b32_e32 v19, 0x3ff, v0
	s_mov_b32 s21, 0
	s_mul_i32 s20, s15, 0xa00
	v_mbcnt_lo_u32_b32 v20, -1, 0
	s_lshl_b64 s[14:15], s[20:21], 3
	v_lshlrev_b32_e32 v17, 6, v19
	v_and_b32_e32 v21, 0x1e0, v19
	v_lshlrev_b32_e32 v34, 3, v19
	v_lshlrev_b32_e32 v41, 5, v19
	v_cmp_gt_u32_e64 s6, 10, v19
	v_cmp_lt_u32_e64 s7, 31, v19
	v_cmp_eq_u32_e64 s8, 0, v20
	v_and_b32_e32 v22, 0xf00, v34
	v_mad_i32_i24 v48, 0xffffffe4, v19, v41
	v_add_nc_u32_e32 v45, 40, v41
	v_cmp_eq_u32_e64 s9, 0, v19
	s_mov_b32 s20, s21
	v_or_b32_e32 v24, 0x60, v22
	s_waitcnt lgkmcnt(0)
	s_add_u32 s0, s16, s14
	s_addc_u32 s1, s17, s15
	v_or_b32_e32 v23, v20, v22
	s_clause 0x4
	global_load_b128 v[1:4], v17, s[0:1] offset:48
	global_load_b128 v[5:8], v17, s[0:1] offset:32
	global_load_b128 v[9:12], v17, s[0:1] offset:16
	global_load_b128 v[13:16], v17, s[0:1]
	global_load_b64 v[17:18], v17, s[0:1]
	s_waitcnt vmcnt(1)
	v_or_b32_e32 v13, v20, v21
	v_or_b32_e32 v26, 0x80, v22
	v_lshrrev_b32_e32 v24, 5, v24
	s_lshr_b32 s0, s2, 16
	v_lshrrev_b32_e32 v25, 5, v22
	v_lshlrev_b32_e32 v14, 1, v13
	s_mov_b32 s16, s21
	v_add_lshl_u32 v39, v24, v23, 3
	v_bfe_u32 v24, v0, 10, 10
	v_bfe_u32 v0, v0, 20, 10
	v_and_b32_e32 v14, 0x3f8, v14
	v_add_lshl_u32 v36, v25, v23, 3
	s_mov_b32 s17, s21
	s_mov_b32 s13, s21
	v_mad_u32_u24 v0, v0, s0, v24
	v_lshl_add_u32 v35, v13, 6, v14
	v_or_b32_e32 v13, 32, v22
	v_or_b32_e32 v14, 64, v22
	s_and_b32 s0, s2, 0xffff
	s_delay_alu instid0(VALU_DEP_2) | instskip(NEXT) | instid1(VALU_DEP_2)
	v_lshrrev_b32_e32 v13, 5, v13
	v_lshrrev_b32_e32 v14, 5, v14
	s_delay_alu instid0(VALU_DEP_2) | instskip(SKIP_1) | instid1(VALU_DEP_3)
	v_add_lshl_u32 v37, v13, v23, 3
	v_lshrrev_b32_e32 v13, 5, v26
	v_add_lshl_u32 v38, v14, v23, 3
	v_or_b32_e32 v14, 0xa0, v22
	s_delay_alu instid0(VALU_DEP_3) | instskip(SKIP_2) | instid1(VALU_DEP_4)
	v_add_lshl_u32 v40, v13, v23, 3
	v_or_b32_e32 v13, 0xc0, v22
	v_or_b32_e32 v22, 0xe0, v22
	v_lshrrev_b32_e32 v25, 5, v14
	s_delay_alu instid0(VALU_DEP_3) | instskip(SKIP_1) | instid1(VALU_DEP_4)
	v_lshrrev_b32_e32 v24, 5, v13
	v_mad_u64_u32 v[13:14], null, v0, s0, v[19:20]
	v_lshrrev_b32_e32 v0, 5, v22
	v_add_nc_u32_e32 v22, -1, v20
	v_and_b32_e32 v14, 15, v20
	v_add_lshl_u32 v42, v25, v23, 3
	v_add_lshl_u32 v43, v24, v23, 3
	;; [unrolled: 1-line block ×3, first 2 shown]
	v_min_u32_e32 v0, 0x120, v21
	v_and_b32_e32 v21, 16, v20
	v_cmp_gt_i32_e32 vcc_lo, 0, v22
	v_cmp_eq_u32_e64 s0, 0, v14
	v_cmp_lt_u32_e64 s1, 1, v14
	v_or_b32_e32 v0, 31, v0
	v_cmp_eq_u32_e64 s4, 0, v21
	v_lshrrev_b32_e32 v21, 3, v19
	v_cmp_lt_u32_e64 s2, 3, v14
	v_cmp_lt_u32_e64 s3, 7, v14
	v_cndmask_b32_e32 v14, v22, v20, vcc_lo
	v_cmp_eq_u32_e64 s5, v0, v19
	v_and_b32_e32 v47, 60, v21
	v_lshlrev_b32_e32 v0, 2, v19
	v_lshrrev_b32_e32 v13, 5, v13
	v_lshlrev_b32_e32 v46, 2, v14
	s_delay_alu instid0(VALU_DEP_4) | instskip(NEXT) | instid1(VALU_DEP_4)
	v_add_nc_u32_e32 v49, -4, v47
	v_add_nc_u32_e32 v50, v48, v0
	s_branch .LBB374_2
.LBB374_1:                              ;   in Loop: Header=BB374_2 Depth=1
	v_lshlrev_b32_e32 v0, 3, v64
	v_lshlrev_b32_e32 v1, 3, v61
	;; [unrolled: 1-line block ×3, first 2 shown]
	s_barrier
	buffer_gl0_inv
	ds_store_b64 v0, v[8:9]
	ds_store_b64 v1, v[24:25]
	;; [unrolled: 1-line block ×3, first 2 shown]
	v_lshlrev_b32_e32 v0, 3, v55
	v_lshlrev_b32_e32 v1, 3, v53
	;; [unrolled: 1-line block ×5, first 2 shown]
	ds_store_b64 v0, v[10:11]
	ds_store_b64 v1, v[20:21]
	;; [unrolled: 1-line block ×5, first 2 shown]
	s_waitcnt lgkmcnt(0)
	s_barrier
	buffer_gl0_inv
	ds_load_2addr_stride64_b64 v[0:3], v50 offset1:5
	ds_load_2addr_stride64_b64 v[4:7], v50 offset0:10 offset1:15
	ds_load_2addr_stride64_b64 v[19:22], v50 offset0:20 offset1:25
	;; [unrolled: 1-line block ×3, first 2 shown]
	s_add_i32 s13, s13, 1
	s_delay_alu instid0(SALU_CYCLE_1)
	s_cmp_eq_u32 s13, 10
	s_waitcnt lgkmcnt(3)
	v_xor_b32_e32 v17, 0x80000000, v0
	v_xor_b32_e32 v18, 0x80000000, v1
	v_xor_b32_e32 v15, 0x80000000, v2
	v_xor_b32_e32 v16, 0x80000000, v3
	s_waitcnt lgkmcnt(2)
	v_xor_b32_e32 v9, 0x80000000, v4
	v_xor_b32_e32 v10, 0x80000000, v5
	v_xor_b32_e32 v11, 0x80000000, v6
	v_xor_b32_e32 v12, 0x80000000, v7
	;; [unrolled: 5-line block ×4, first 2 shown]
	s_cbranch_scc1 .LBB374_28
.LBB374_2:                              ; =>This Loop Header: Depth=1
                                        ;     Child Loop BB374_4 Depth 2
	s_waitcnt vmcnt(0)
	v_xor_b32_e32 v18, 0x80000000, v18
	v_xor_b32_e32 v17, 0x80000000, v17
	;; [unrolled: 1-line block ×16, first 2 shown]
	ds_store_2addr_b64 v35, v[17:18], v[15:16] offset1:1
	ds_store_2addr_b64 v35, v[9:10], v[11:12] offset0:2 offset1:3
	ds_store_2addr_b64 v35, v[5:6], v[7:8] offset0:4 offset1:5
	;; [unrolled: 1-line block ×3, first 2 shown]
	; wave barrier
	ds_load_b64 v[32:33], v36
	ds_load_b64 v[0:1], v37 offset:256
	ds_load_b64 v[2:3], v38 offset:512
	;; [unrolled: 1-line block ×7, first 2 shown]
	s_mov_b32 s22, 8
	s_mov_b32 s23, 32
	;; [unrolled: 1-line block ×3, first 2 shown]
	s_waitcnt lgkmcnt(0)
	s_barrier
	buffer_gl0_inv
	; wave barrier
	s_barrier
	s_branch .LBB374_4
.LBB374_3:                              ;   in Loop: Header=BB374_4 Depth=2
	v_lshrrev_b32_e32 v0, 2, v64
	v_lshrrev_b32_e32 v1, 2, v61
	;; [unrolled: 1-line block ×5, first 2 shown]
	v_and_b32_e32 v0, 0x3ffffff8, v0
	v_and_b32_e32 v1, 0x3ffffff8, v1
	;; [unrolled: 1-line block ×3, first 2 shown]
	s_barrier
	buffer_gl0_inv
	v_lshl_add_u32 v0, v64, 3, v0
	v_lshl_add_u32 v1, v61, 3, v1
	;; [unrolled: 1-line block ×3, first 2 shown]
	v_and_b32_e32 v3, 0x3ffffff8, v3
	v_and_b32_e32 v4, 0x3ffffff8, v4
	ds_store_b64 v0, v[8:9]
	ds_store_b64 v1, v[24:25]
	;; [unrolled: 1-line block ×3, first 2 shown]
	v_lshrrev_b32_e32 v0, 2, v52
	v_lshrrev_b32_e32 v1, 2, v51
	;; [unrolled: 1-line block ×3, first 2 shown]
	v_lshl_add_u32 v3, v55, 3, v3
	v_lshl_add_u32 v4, v53, 3, v4
	v_and_b32_e32 v0, 0x3ffffff8, v0
	v_and_b32_e32 v1, 0x3ffffff8, v1
	;; [unrolled: 1-line block ×3, first 2 shown]
	s_add_i32 s23, s23, -8
	s_add_i32 s22, s22, 8
	v_lshl_add_u32 v0, v52, 3, v0
	v_lshl_add_u32 v1, v51, 3, v1
	;; [unrolled: 1-line block ×3, first 2 shown]
	ds_store_b64 v3, v[10:11]
	ds_store_b64 v4, v[20:21]
	;; [unrolled: 1-line block ×5, first 2 shown]
	s_waitcnt lgkmcnt(0)
	s_barrier
	buffer_gl0_inv
	ds_load_b64 v[32:33], v36
	ds_load_b64 v[0:1], v37 offset:256
	ds_load_b64 v[2:3], v38 offset:512
	;; [unrolled: 1-line block ×7, first 2 shown]
	s_add_i32 s24, s24, 8
	s_waitcnt lgkmcnt(0)
	s_barrier
	s_cbranch_execz .LBB374_1
.LBB374_4:                              ;   Parent Loop BB374_2 Depth=1
                                        ; =>  This Inner Loop Header: Depth=2
	s_min_i32 s11, s22, 32
	s_cmp_lt_u32 s24, 32
	v_dual_mov_b32 v8, v32 :: v_dual_mov_b32 v9, v33
	s_cselect_b32 vcc_lo, -1, 0
	s_cmp_gt_u32 s24, 24
	v_mov_b32_e32 v25, v1
	s_cselect_b32 s10, -1, 0
	s_sub_i32 s11, s11, 32
	v_lshrrev_b32_e32 v11, s24, v9
	s_add_i32 s12, s11, s23
	buffer_gl0_inv
	s_lshl_b32 s12, -1, s12
	v_mov_b32_e32 v24, v0
	s_not_b32 s12, s12
	s_cmp_lg_u32 s11, s24
	v_mov_b32_e32 v23, v3
	s_cselect_b32 s25, s12, -1
	s_max_i32 s26, s23, 0
	s_max_i32 s11, s24, 32
	v_and_b32_e32 v11, s25, v11
	s_sub_i32 s12, s11, s26
	s_sub_i32 s27, s11, 32
	;; [unrolled: 1-line block ×3, first 2 shown]
	v_lshrrev_b32_e32 v10, s27, v8
	s_min_i32 s11, s12, 32
	v_cndmask_b32_e32 v11, 0, v11, vcc_lo
	s_sub_i32 s11, s11, s27
	v_mov_b32_e32 v22, v2
	s_lshl_b32 s12, -1, s11
	s_delay_alu instid0(SALU_CYCLE_1) | instskip(SKIP_2) | instid1(SALU_CYCLE_1)
	s_not_b32 s12, s12
	s_cmp_lg_u32 s11, 32
	s_cselect_b32 s28, s12, -1
	v_and_b32_e32 v10, s28, v10
	s_delay_alu instid0(VALU_DEP_1) | instskip(NEXT) | instid1(VALU_DEP_1)
	v_lshlrev_b32_e32 v10, s26, v10
	v_cndmask_b32_e64 v10, 0, v10, s10
	s_delay_alu instid0(VALU_DEP_1) | instskip(NEXT) | instid1(VALU_DEP_1)
	v_or_b32_e32 v12, v11, v10
	v_and_b32_e32 v10, 1, v12
	v_lshlrev_b32_e32 v11, 30, v12
	v_lshlrev_b32_e32 v14, 29, v12
	;; [unrolled: 1-line block ×4, first 2 shown]
	v_add_co_u32 v10, s11, v10, -1
	s_delay_alu instid0(VALU_DEP_1)
	v_cndmask_b32_e64 v16, 0, 1, s11
	v_not_b32_e32 v20, v11
	v_cmp_gt_i32_e64 s12, 0, v11
	v_not_b32_e32 v11, v14
	v_lshlrev_b32_e32 v18, 26, v12
	v_cmp_ne_u32_e64 s11, 0, v16
	v_ashrrev_i32_e32 v20, 31, v20
	v_lshlrev_b32_e32 v19, 25, v12
	v_ashrrev_i32_e32 v11, 31, v11
	v_lshlrev_b32_e32 v16, 24, v12
	v_xor_b32_e32 v10, s11, v10
	v_xor_b32_e32 v20, s12, v20
	v_cmp_gt_i32_e64 s11, 0, v14
	v_not_b32_e32 v14, v15
	v_cmp_gt_i32_e64 s12, 0, v15
	v_and_b32_e32 v10, exec_lo, v10
	s_delay_alu instid0(VALU_DEP_4) | instskip(NEXT) | instid1(VALU_DEP_4)
	v_xor_b32_e32 v11, s11, v11
	v_ashrrev_i32_e32 v14, 31, v14
	s_delay_alu instid0(VALU_DEP_3)
	v_dual_mov_b32 v21, v5 :: v_dual_and_b32 v10, v10, v20
	v_mov_b32_e32 v20, v4
	v_not_b32_e32 v15, v17
	v_cmp_gt_i32_e64 s11, 0, v17
	v_not_b32_e32 v17, v18
	v_xor_b32_e32 v14, s12, v14
	v_dual_mov_b32 v3, s16 :: v_dual_and_b32 v10, v10, v11
	v_ashrrev_i32_e32 v15, 31, v15
	v_cmp_gt_i32_e64 s12, 0, v18
	v_not_b32_e32 v11, v19
	v_ashrrev_i32_e32 v17, 31, v17
	v_and_b32_e32 v10, v10, v14
	v_xor_b32_e32 v15, s11, v15
	v_cmp_gt_i32_e64 s11, 0, v19
	v_not_b32_e32 v14, v16
	v_ashrrev_i32_e32 v11, 31, v11
	v_xor_b32_e32 v17, s12, v17
	v_and_b32_e32 v10, v10, v15
	v_cmp_gt_i32_e64 s12, 0, v16
	v_ashrrev_i32_e32 v14, 31, v14
	v_xor_b32_e32 v15, s11, v11
	v_mov_b32_e32 v18, v26
	v_dual_mov_b32 v11, v7 :: v_dual_and_b32 v16, v10, v17
	s_delay_alu instid0(VALU_DEP_4) | instskip(SKIP_1) | instid1(VALU_DEP_3)
	v_xor_b32_e32 v0, s12, v14
	v_dual_mov_b32 v10, v6 :: v_dual_mov_b32 v19, v27
	v_dual_mov_b32 v14, v30 :: v_dual_and_b32 v1, v16, v15
	v_dual_mov_b32 v16, v28 :: v_dual_mov_b32 v17, v29
	s_delay_alu instid0(VALU_DEP_2) | instskip(NEXT) | instid1(VALU_DEP_3)
	v_dual_mov_b32 v15, v31 :: v_dual_and_b32 v0, v1, v0
	v_mad_u64_u32 v[5:6], null, v12, 10, v[13:14]
	v_dual_mov_b32 v1, s20 :: v_dual_mov_b32 v2, s21
	s_delay_alu instid0(VALU_DEP_3)
	v_mbcnt_lo_u32_b32 v12, v0, 0
	v_cmp_ne_u32_e64 s12, 0, v0
	v_mov_b32_e32 v4, s17
	ds_store_2addr_b64 v41, v[1:2], v[3:4] offset0:5 offset1:6
	ds_store_2addr_b64 v45, v[1:2], v[3:4] offset0:2 offset1:3
	v_cmp_eq_u32_e64 s11, 0, v12
	v_lshl_add_u32 v26, v5, 2, 40
	s_waitcnt lgkmcnt(0)
	s_barrier
	buffer_gl0_inv
	s_and_b32 s12, s11, s12
	; wave barrier
	s_delay_alu instid0(SALU_CYCLE_1)
	s_and_saveexec_b32 s11, s12
	s_cbranch_execz .LBB374_6
; %bb.5:                                ;   in Loop: Header=BB374_4 Depth=2
	v_bcnt_u32_b32 v0, v0, 0
	ds_store_b32 v26, v0
.LBB374_6:                              ;   in Loop: Header=BB374_4 Depth=2
	s_or_b32 exec_lo, exec_lo, s11
	v_lshrrev_b32_e32 v0, s27, v24
	v_lshrrev_b32_e32 v1, s24, v25
	; wave barrier
	s_delay_alu instid0(VALU_DEP_1) | instskip(NEXT) | instid1(VALU_DEP_1)
	v_and_b32_e32 v1, s25, v1
	v_dual_cndmask_b32 v1, 0, v1 :: v_dual_and_b32 v0, s28, v0
	s_delay_alu instid0(VALU_DEP_1) | instskip(NEXT) | instid1(VALU_DEP_1)
	v_lshlrev_b32_e32 v0, s26, v0
	v_cndmask_b32_e64 v0, 0, v0, s10
	s_delay_alu instid0(VALU_DEP_1) | instskip(NEXT) | instid1(VALU_DEP_1)
	v_or_b32_e32 v0, v1, v0
	v_and_b32_e32 v2, 1, v0
	v_lshlrev_b32_e32 v3, 30, v0
	v_lshlrev_b32_e32 v4, 29, v0
	;; [unrolled: 1-line block ×4, first 2 shown]
	v_add_co_u32 v2, s11, v2, -1
	s_delay_alu instid0(VALU_DEP_1)
	v_cndmask_b32_e64 v6, 0, 1, s11
	v_not_b32_e32 v29, v3
	v_cmp_gt_i32_e64 s12, 0, v3
	v_not_b32_e32 v3, v4
	v_lshlrev_b32_e32 v27, 26, v0
	v_cmp_ne_u32_e64 s11, 0, v6
	v_ashrrev_i32_e32 v6, 31, v29
	v_lshlrev_b32_e32 v28, 25, v0
	v_ashrrev_i32_e32 v3, 31, v3
	v_mul_lo_u32 v1, v0, 10
	v_xor_b32_e32 v2, s11, v2
	v_cmp_gt_i32_e64 s11, 0, v4
	v_not_b32_e32 v4, v5
	v_xor_b32_e32 v6, s12, v6
	v_cmp_gt_i32_e64 s12, 0, v5
	v_and_b32_e32 v2, exec_lo, v2
	v_not_b32_e32 v5, v7
	v_ashrrev_i32_e32 v4, 31, v4
	v_xor_b32_e32 v3, s11, v3
	v_cmp_gt_i32_e64 s11, 0, v7
	v_and_b32_e32 v2, v2, v6
	v_not_b32_e32 v6, v27
	v_ashrrev_i32_e32 v5, 31, v5
	v_xor_b32_e32 v4, s12, v4
	v_lshlrev_b32_e32 v0, 24, v0
	v_and_b32_e32 v2, v2, v3
	v_cmp_gt_i32_e64 s12, 0, v27
	v_not_b32_e32 v3, v28
	v_ashrrev_i32_e32 v6, 31, v6
	v_xor_b32_e32 v5, s11, v5
	v_and_b32_e32 v2, v2, v4
	v_cmp_gt_i32_e64 s11, 0, v28
	v_not_b32_e32 v4, v0
	v_ashrrev_i32_e32 v3, 31, v3
	v_xor_b32_e32 v6, s12, v6
	v_and_b32_e32 v2, v2, v5
	v_cmp_gt_i32_e64 s12, 0, v0
	v_ashrrev_i32_e32 v0, 31, v4
	v_xor_b32_e32 v3, s11, v3
	v_add_lshl_u32 v1, v1, v13, 2
	v_and_b32_e32 v2, v2, v6
	s_delay_alu instid0(VALU_DEP_4) | instskip(SKIP_3) | instid1(VALU_DEP_2)
	v_xor_b32_e32 v0, s12, v0
	ds_load_b32 v27, v1 offset:40
	v_and_b32_e32 v2, v2, v3
	v_add_nc_u32_e32 v29, 40, v1
	; wave barrier
	v_and_b32_e32 v0, v2, v0
	s_delay_alu instid0(VALU_DEP_1) | instskip(SKIP_1) | instid1(VALU_DEP_2)
	v_mbcnt_lo_u32_b32 v28, v0, 0
	v_cmp_ne_u32_e64 s12, 0, v0
	v_cmp_eq_u32_e64 s11, 0, v28
	s_delay_alu instid0(VALU_DEP_1) | instskip(NEXT) | instid1(SALU_CYCLE_1)
	s_and_b32 s12, s11, s12
	s_and_saveexec_b32 s11, s12
	s_cbranch_execz .LBB374_8
; %bb.7:                                ;   in Loop: Header=BB374_4 Depth=2
	s_waitcnt lgkmcnt(0)
	v_bcnt_u32_b32 v0, v0, v27
	ds_store_b32 v29, v0
.LBB374_8:                              ;   in Loop: Header=BB374_4 Depth=2
	s_or_b32 exec_lo, exec_lo, s11
	v_lshrrev_b32_e32 v0, s27, v22
	v_lshrrev_b32_e32 v1, s24, v23
	; wave barrier
	s_delay_alu instid0(VALU_DEP_1) | instskip(NEXT) | instid1(VALU_DEP_1)
	v_and_b32_e32 v1, s25, v1
	v_dual_cndmask_b32 v1, 0, v1 :: v_dual_and_b32 v0, s28, v0
	s_delay_alu instid0(VALU_DEP_1) | instskip(NEXT) | instid1(VALU_DEP_1)
	v_lshlrev_b32_e32 v0, s26, v0
	v_cndmask_b32_e64 v0, 0, v0, s10
	s_delay_alu instid0(VALU_DEP_1) | instskip(NEXT) | instid1(VALU_DEP_1)
	v_or_b32_e32 v0, v1, v0
	v_and_b32_e32 v2, 1, v0
	v_lshlrev_b32_e32 v3, 30, v0
	v_lshlrev_b32_e32 v4, 29, v0
	;; [unrolled: 1-line block ×4, first 2 shown]
	v_add_co_u32 v2, s11, v2, -1
	s_delay_alu instid0(VALU_DEP_1)
	v_cndmask_b32_e64 v6, 0, 1, s11
	v_not_b32_e32 v32, v3
	v_cmp_gt_i32_e64 s12, 0, v3
	v_not_b32_e32 v3, v4
	v_lshlrev_b32_e32 v30, 26, v0
	v_cmp_ne_u32_e64 s11, 0, v6
	v_ashrrev_i32_e32 v6, 31, v32
	v_lshlrev_b32_e32 v31, 25, v0
	v_ashrrev_i32_e32 v3, 31, v3
	v_mul_lo_u32 v1, v0, 10
	v_xor_b32_e32 v2, s11, v2
	v_cmp_gt_i32_e64 s11, 0, v4
	v_not_b32_e32 v4, v5
	v_xor_b32_e32 v6, s12, v6
	v_cmp_gt_i32_e64 s12, 0, v5
	v_and_b32_e32 v2, exec_lo, v2
	v_not_b32_e32 v5, v7
	v_ashrrev_i32_e32 v4, 31, v4
	v_xor_b32_e32 v3, s11, v3
	v_cmp_gt_i32_e64 s11, 0, v7
	v_and_b32_e32 v2, v2, v6
	v_not_b32_e32 v6, v30
	v_ashrrev_i32_e32 v5, 31, v5
	v_xor_b32_e32 v4, s12, v4
	v_lshlrev_b32_e32 v0, 24, v0
	v_and_b32_e32 v2, v2, v3
	v_cmp_gt_i32_e64 s12, 0, v30
	v_not_b32_e32 v3, v31
	v_ashrrev_i32_e32 v6, 31, v6
	v_xor_b32_e32 v5, s11, v5
	v_and_b32_e32 v2, v2, v4
	v_cmp_gt_i32_e64 s11, 0, v31
	v_not_b32_e32 v4, v0
	v_ashrrev_i32_e32 v3, 31, v3
	v_xor_b32_e32 v6, s12, v6
	v_and_b32_e32 v2, v2, v5
	v_cmp_gt_i32_e64 s12, 0, v0
	v_ashrrev_i32_e32 v0, 31, v4
	v_xor_b32_e32 v3, s11, v3
	v_add_lshl_u32 v1, v1, v13, 2
	v_and_b32_e32 v2, v2, v6
	s_delay_alu instid0(VALU_DEP_4) | instskip(SKIP_3) | instid1(VALU_DEP_2)
	v_xor_b32_e32 v0, s12, v0
	ds_load_b32 v30, v1 offset:40
	v_and_b32_e32 v2, v2, v3
	v_add_nc_u32_e32 v32, 40, v1
	; wave barrier
	v_and_b32_e32 v0, v2, v0
	s_delay_alu instid0(VALU_DEP_1) | instskip(SKIP_1) | instid1(VALU_DEP_2)
	v_mbcnt_lo_u32_b32 v31, v0, 0
	v_cmp_ne_u32_e64 s12, 0, v0
	v_cmp_eq_u32_e64 s11, 0, v31
	s_delay_alu instid0(VALU_DEP_1) | instskip(NEXT) | instid1(SALU_CYCLE_1)
	s_and_b32 s12, s11, s12
	s_and_saveexec_b32 s11, s12
	s_cbranch_execz .LBB374_10
; %bb.9:                                ;   in Loop: Header=BB374_4 Depth=2
	s_waitcnt lgkmcnt(0)
	v_bcnt_u32_b32 v0, v0, v30
	ds_store_b32 v32, v0
.LBB374_10:                             ;   in Loop: Header=BB374_4 Depth=2
	s_or_b32 exec_lo, exec_lo, s11
	v_lshrrev_b32_e32 v0, s27, v10
	v_lshrrev_b32_e32 v1, s24, v11
	; wave barrier
	s_delay_alu instid0(VALU_DEP_1) | instskip(NEXT) | instid1(VALU_DEP_1)
	v_and_b32_e32 v1, s25, v1
	v_dual_cndmask_b32 v1, 0, v1 :: v_dual_and_b32 v0, s28, v0
	s_delay_alu instid0(VALU_DEP_1) | instskip(NEXT) | instid1(VALU_DEP_1)
	v_lshlrev_b32_e32 v0, s26, v0
	v_cndmask_b32_e64 v0, 0, v0, s10
	s_delay_alu instid0(VALU_DEP_1) | instskip(NEXT) | instid1(VALU_DEP_1)
	v_or_b32_e32 v0, v1, v0
	v_and_b32_e32 v2, 1, v0
	v_lshlrev_b32_e32 v3, 30, v0
	v_lshlrev_b32_e32 v4, 29, v0
	;; [unrolled: 1-line block ×4, first 2 shown]
	v_add_co_u32 v2, s11, v2, -1
	s_delay_alu instid0(VALU_DEP_1)
	v_cndmask_b32_e64 v6, 0, 1, s11
	v_not_b32_e32 v52, v3
	v_cmp_gt_i32_e64 s12, 0, v3
	v_not_b32_e32 v3, v4
	v_lshlrev_b32_e32 v33, 26, v0
	v_cmp_ne_u32_e64 s11, 0, v6
	v_ashrrev_i32_e32 v6, 31, v52
	v_lshlrev_b32_e32 v51, 25, v0
	v_ashrrev_i32_e32 v3, 31, v3
	v_mul_lo_u32 v1, v0, 10
	v_xor_b32_e32 v2, s11, v2
	v_cmp_gt_i32_e64 s11, 0, v4
	v_not_b32_e32 v4, v5
	v_xor_b32_e32 v6, s12, v6
	v_cmp_gt_i32_e64 s12, 0, v5
	v_and_b32_e32 v2, exec_lo, v2
	v_not_b32_e32 v5, v7
	v_ashrrev_i32_e32 v4, 31, v4
	v_xor_b32_e32 v3, s11, v3
	v_cmp_gt_i32_e64 s11, 0, v7
	v_and_b32_e32 v2, v2, v6
	v_not_b32_e32 v6, v33
	v_ashrrev_i32_e32 v5, 31, v5
	v_xor_b32_e32 v4, s12, v4
	v_lshlrev_b32_e32 v0, 24, v0
	v_and_b32_e32 v2, v2, v3
	v_cmp_gt_i32_e64 s12, 0, v33
	v_not_b32_e32 v3, v51
	v_ashrrev_i32_e32 v6, 31, v6
	v_xor_b32_e32 v5, s11, v5
	v_and_b32_e32 v2, v2, v4
	v_cmp_gt_i32_e64 s11, 0, v51
	v_not_b32_e32 v4, v0
	v_ashrrev_i32_e32 v3, 31, v3
	v_xor_b32_e32 v6, s12, v6
	v_and_b32_e32 v2, v2, v5
	v_cmp_gt_i32_e64 s12, 0, v0
	v_ashrrev_i32_e32 v0, 31, v4
	v_xor_b32_e32 v3, s11, v3
	v_add_lshl_u32 v1, v1, v13, 2
	v_and_b32_e32 v2, v2, v6
	s_delay_alu instid0(VALU_DEP_4) | instskip(SKIP_3) | instid1(VALU_DEP_2)
	v_xor_b32_e32 v0, s12, v0
	ds_load_b32 v33, v1 offset:40
	v_and_b32_e32 v2, v2, v3
	v_add_nc_u32_e32 v52, 40, v1
	; wave barrier
	v_and_b32_e32 v0, v2, v0
	s_delay_alu instid0(VALU_DEP_1) | instskip(SKIP_1) | instid1(VALU_DEP_2)
	v_mbcnt_lo_u32_b32 v51, v0, 0
	v_cmp_ne_u32_e64 s12, 0, v0
	v_cmp_eq_u32_e64 s11, 0, v51
	s_delay_alu instid0(VALU_DEP_1) | instskip(NEXT) | instid1(SALU_CYCLE_1)
	s_and_b32 s12, s11, s12
	s_and_saveexec_b32 s11, s12
	s_cbranch_execz .LBB374_12
; %bb.11:                               ;   in Loop: Header=BB374_4 Depth=2
	s_waitcnt lgkmcnt(0)
	v_bcnt_u32_b32 v0, v0, v33
	ds_store_b32 v52, v0
.LBB374_12:                             ;   in Loop: Header=BB374_4 Depth=2
	s_or_b32 exec_lo, exec_lo, s11
	v_lshrrev_b32_e32 v0, s27, v20
	v_lshrrev_b32_e32 v1, s24, v21
	; wave barrier
	s_delay_alu instid0(VALU_DEP_1) | instskip(NEXT) | instid1(VALU_DEP_1)
	v_and_b32_e32 v1, s25, v1
	v_dual_cndmask_b32 v1, 0, v1 :: v_dual_and_b32 v0, s28, v0
	s_delay_alu instid0(VALU_DEP_1) | instskip(NEXT) | instid1(VALU_DEP_1)
	v_lshlrev_b32_e32 v0, s26, v0
	v_cndmask_b32_e64 v0, 0, v0, s10
	s_delay_alu instid0(VALU_DEP_1) | instskip(NEXT) | instid1(VALU_DEP_1)
	v_or_b32_e32 v0, v1, v0
	v_and_b32_e32 v2, 1, v0
	v_lshlrev_b32_e32 v3, 30, v0
	v_lshlrev_b32_e32 v4, 29, v0
	;; [unrolled: 1-line block ×4, first 2 shown]
	v_add_co_u32 v2, s11, v2, -1
	s_delay_alu instid0(VALU_DEP_1)
	v_cndmask_b32_e64 v6, 0, 1, s11
	v_not_b32_e32 v55, v3
	v_cmp_gt_i32_e64 s12, 0, v3
	v_not_b32_e32 v3, v4
	v_lshlrev_b32_e32 v53, 26, v0
	v_cmp_ne_u32_e64 s11, 0, v6
	v_ashrrev_i32_e32 v6, 31, v55
	v_lshlrev_b32_e32 v54, 25, v0
	v_ashrrev_i32_e32 v3, 31, v3
	v_mul_lo_u32 v1, v0, 10
	v_xor_b32_e32 v2, s11, v2
	v_cmp_gt_i32_e64 s11, 0, v4
	v_not_b32_e32 v4, v5
	v_xor_b32_e32 v6, s12, v6
	v_cmp_gt_i32_e64 s12, 0, v5
	v_and_b32_e32 v2, exec_lo, v2
	v_not_b32_e32 v5, v7
	v_ashrrev_i32_e32 v4, 31, v4
	v_xor_b32_e32 v3, s11, v3
	v_cmp_gt_i32_e64 s11, 0, v7
	v_and_b32_e32 v2, v2, v6
	v_not_b32_e32 v6, v53
	v_ashrrev_i32_e32 v5, 31, v5
	v_xor_b32_e32 v4, s12, v4
	v_lshlrev_b32_e32 v0, 24, v0
	v_and_b32_e32 v2, v2, v3
	v_cmp_gt_i32_e64 s12, 0, v53
	v_not_b32_e32 v3, v54
	v_ashrrev_i32_e32 v6, 31, v6
	v_xor_b32_e32 v5, s11, v5
	v_and_b32_e32 v2, v2, v4
	v_cmp_gt_i32_e64 s11, 0, v54
	v_not_b32_e32 v4, v0
	v_ashrrev_i32_e32 v3, 31, v3
	v_xor_b32_e32 v6, s12, v6
	v_and_b32_e32 v2, v2, v5
	v_cmp_gt_i32_e64 s12, 0, v0
	v_ashrrev_i32_e32 v0, 31, v4
	v_xor_b32_e32 v3, s11, v3
	v_add_lshl_u32 v1, v1, v13, 2
	v_and_b32_e32 v2, v2, v6
	s_delay_alu instid0(VALU_DEP_4) | instskip(SKIP_3) | instid1(VALU_DEP_2)
	v_xor_b32_e32 v0, s12, v0
	ds_load_b32 v53, v1 offset:40
	v_and_b32_e32 v2, v2, v3
	v_add_nc_u32_e32 v55, 40, v1
	; wave barrier
	v_and_b32_e32 v0, v2, v0
	s_delay_alu instid0(VALU_DEP_1) | instskip(SKIP_1) | instid1(VALU_DEP_2)
	v_mbcnt_lo_u32_b32 v54, v0, 0
	v_cmp_ne_u32_e64 s12, 0, v0
	v_cmp_eq_u32_e64 s11, 0, v54
	s_delay_alu instid0(VALU_DEP_1) | instskip(NEXT) | instid1(SALU_CYCLE_1)
	s_and_b32 s12, s11, s12
	s_and_saveexec_b32 s11, s12
	s_cbranch_execz .LBB374_14
; %bb.13:                               ;   in Loop: Header=BB374_4 Depth=2
	s_waitcnt lgkmcnt(0)
	v_bcnt_u32_b32 v0, v0, v53
	ds_store_b32 v55, v0
.LBB374_14:                             ;   in Loop: Header=BB374_4 Depth=2
	s_or_b32 exec_lo, exec_lo, s11
	v_lshrrev_b32_e32 v0, s27, v18
	v_lshrrev_b32_e32 v1, s24, v19
	; wave barrier
	s_delay_alu instid0(VALU_DEP_1) | instskip(NEXT) | instid1(VALU_DEP_1)
	v_and_b32_e32 v1, s25, v1
	v_dual_cndmask_b32 v1, 0, v1 :: v_dual_and_b32 v0, s28, v0
	s_delay_alu instid0(VALU_DEP_1) | instskip(NEXT) | instid1(VALU_DEP_1)
	v_lshlrev_b32_e32 v0, s26, v0
	v_cndmask_b32_e64 v0, 0, v0, s10
	s_delay_alu instid0(VALU_DEP_1) | instskip(NEXT) | instid1(VALU_DEP_1)
	v_or_b32_e32 v0, v1, v0
	v_and_b32_e32 v2, 1, v0
	v_lshlrev_b32_e32 v3, 30, v0
	v_lshlrev_b32_e32 v4, 29, v0
	;; [unrolled: 1-line block ×4, first 2 shown]
	v_add_co_u32 v2, s11, v2, -1
	s_delay_alu instid0(VALU_DEP_1)
	v_cndmask_b32_e64 v6, 0, 1, s11
	v_not_b32_e32 v58, v3
	v_cmp_gt_i32_e64 s12, 0, v3
	v_not_b32_e32 v3, v4
	v_lshlrev_b32_e32 v56, 26, v0
	v_cmp_ne_u32_e64 s11, 0, v6
	v_ashrrev_i32_e32 v6, 31, v58
	v_lshlrev_b32_e32 v57, 25, v0
	v_ashrrev_i32_e32 v3, 31, v3
	v_mul_lo_u32 v1, v0, 10
	v_xor_b32_e32 v2, s11, v2
	v_cmp_gt_i32_e64 s11, 0, v4
	v_not_b32_e32 v4, v5
	v_xor_b32_e32 v6, s12, v6
	v_cmp_gt_i32_e64 s12, 0, v5
	v_and_b32_e32 v2, exec_lo, v2
	v_not_b32_e32 v5, v7
	v_ashrrev_i32_e32 v4, 31, v4
	v_xor_b32_e32 v3, s11, v3
	v_cmp_gt_i32_e64 s11, 0, v7
	v_and_b32_e32 v2, v2, v6
	v_not_b32_e32 v6, v56
	v_ashrrev_i32_e32 v5, 31, v5
	v_xor_b32_e32 v4, s12, v4
	v_lshlrev_b32_e32 v0, 24, v0
	v_and_b32_e32 v2, v2, v3
	v_cmp_gt_i32_e64 s12, 0, v56
	v_not_b32_e32 v3, v57
	v_ashrrev_i32_e32 v6, 31, v6
	v_xor_b32_e32 v5, s11, v5
	v_and_b32_e32 v2, v2, v4
	v_cmp_gt_i32_e64 s11, 0, v57
	v_not_b32_e32 v4, v0
	v_ashrrev_i32_e32 v3, 31, v3
	v_xor_b32_e32 v6, s12, v6
	v_and_b32_e32 v2, v2, v5
	v_cmp_gt_i32_e64 s12, 0, v0
	v_ashrrev_i32_e32 v0, 31, v4
	v_xor_b32_e32 v3, s11, v3
	v_add_lshl_u32 v1, v1, v13, 2
	v_and_b32_e32 v2, v2, v6
	s_delay_alu instid0(VALU_DEP_4) | instskip(SKIP_3) | instid1(VALU_DEP_2)
	v_xor_b32_e32 v0, s12, v0
	ds_load_b32 v56, v1 offset:40
	v_and_b32_e32 v2, v2, v3
	v_add_nc_u32_e32 v58, 40, v1
	; wave barrier
	v_and_b32_e32 v0, v2, v0
	s_delay_alu instid0(VALU_DEP_1) | instskip(SKIP_1) | instid1(VALU_DEP_2)
	v_mbcnt_lo_u32_b32 v57, v0, 0
	v_cmp_ne_u32_e64 s12, 0, v0
	v_cmp_eq_u32_e64 s11, 0, v57
	s_delay_alu instid0(VALU_DEP_1) | instskip(NEXT) | instid1(SALU_CYCLE_1)
	s_and_b32 s12, s11, s12
	s_and_saveexec_b32 s11, s12
	s_cbranch_execz .LBB374_16
; %bb.15:                               ;   in Loop: Header=BB374_4 Depth=2
	s_waitcnt lgkmcnt(0)
	v_bcnt_u32_b32 v0, v0, v56
	ds_store_b32 v58, v0
.LBB374_16:                             ;   in Loop: Header=BB374_4 Depth=2
	s_or_b32 exec_lo, exec_lo, s11
	v_lshrrev_b32_e32 v0, s27, v16
	v_lshrrev_b32_e32 v1, s24, v17
	; wave barrier
	s_delay_alu instid0(VALU_DEP_1) | instskip(NEXT) | instid1(VALU_DEP_1)
	v_and_b32_e32 v1, s25, v1
	v_dual_cndmask_b32 v1, 0, v1 :: v_dual_and_b32 v0, s28, v0
	s_delay_alu instid0(VALU_DEP_1) | instskip(NEXT) | instid1(VALU_DEP_1)
	v_lshlrev_b32_e32 v0, s26, v0
	v_cndmask_b32_e64 v0, 0, v0, s10
	s_delay_alu instid0(VALU_DEP_1) | instskip(NEXT) | instid1(VALU_DEP_1)
	v_or_b32_e32 v0, v1, v0
	v_and_b32_e32 v2, 1, v0
	v_lshlrev_b32_e32 v3, 30, v0
	v_lshlrev_b32_e32 v4, 29, v0
	;; [unrolled: 1-line block ×4, first 2 shown]
	v_add_co_u32 v2, s11, v2, -1
	s_delay_alu instid0(VALU_DEP_1)
	v_cndmask_b32_e64 v6, 0, 1, s11
	v_not_b32_e32 v61, v3
	v_cmp_gt_i32_e64 s12, 0, v3
	v_not_b32_e32 v3, v4
	v_lshlrev_b32_e32 v59, 26, v0
	v_cmp_ne_u32_e64 s11, 0, v6
	v_ashrrev_i32_e32 v6, 31, v61
	v_lshlrev_b32_e32 v60, 25, v0
	v_ashrrev_i32_e32 v3, 31, v3
	v_mul_lo_u32 v1, v0, 10
	v_xor_b32_e32 v2, s11, v2
	v_cmp_gt_i32_e64 s11, 0, v4
	v_not_b32_e32 v4, v5
	v_xor_b32_e32 v6, s12, v6
	v_cmp_gt_i32_e64 s12, 0, v5
	v_and_b32_e32 v2, exec_lo, v2
	v_not_b32_e32 v5, v7
	v_ashrrev_i32_e32 v4, 31, v4
	v_xor_b32_e32 v3, s11, v3
	v_cmp_gt_i32_e64 s11, 0, v7
	v_and_b32_e32 v2, v2, v6
	v_not_b32_e32 v6, v59
	v_ashrrev_i32_e32 v5, 31, v5
	v_xor_b32_e32 v4, s12, v4
	v_lshlrev_b32_e32 v0, 24, v0
	v_and_b32_e32 v2, v2, v3
	v_cmp_gt_i32_e64 s12, 0, v59
	v_not_b32_e32 v3, v60
	v_ashrrev_i32_e32 v6, 31, v6
	v_xor_b32_e32 v5, s11, v5
	v_and_b32_e32 v2, v2, v4
	v_cmp_gt_i32_e64 s11, 0, v60
	v_not_b32_e32 v4, v0
	v_ashrrev_i32_e32 v3, 31, v3
	v_xor_b32_e32 v6, s12, v6
	v_and_b32_e32 v2, v2, v5
	v_cmp_gt_i32_e64 s12, 0, v0
	v_ashrrev_i32_e32 v0, 31, v4
	v_xor_b32_e32 v3, s11, v3
	v_add_lshl_u32 v1, v1, v13, 2
	v_and_b32_e32 v2, v2, v6
	s_delay_alu instid0(VALU_DEP_4) | instskip(SKIP_3) | instid1(VALU_DEP_2)
	v_xor_b32_e32 v0, s12, v0
	ds_load_b32 v59, v1 offset:40
	v_and_b32_e32 v2, v2, v3
	v_add_nc_u32_e32 v61, 40, v1
	; wave barrier
	v_and_b32_e32 v0, v2, v0
	s_delay_alu instid0(VALU_DEP_1) | instskip(SKIP_1) | instid1(VALU_DEP_2)
	v_mbcnt_lo_u32_b32 v60, v0, 0
	v_cmp_ne_u32_e64 s12, 0, v0
	v_cmp_eq_u32_e64 s11, 0, v60
	s_delay_alu instid0(VALU_DEP_1) | instskip(NEXT) | instid1(SALU_CYCLE_1)
	s_and_b32 s12, s11, s12
	s_and_saveexec_b32 s11, s12
	s_cbranch_execz .LBB374_18
; %bb.17:                               ;   in Loop: Header=BB374_4 Depth=2
	s_waitcnt lgkmcnt(0)
	v_bcnt_u32_b32 v0, v0, v59
	ds_store_b32 v61, v0
.LBB374_18:                             ;   in Loop: Header=BB374_4 Depth=2
	s_or_b32 exec_lo, exec_lo, s11
	v_lshrrev_b32_e32 v0, s27, v14
	v_lshrrev_b32_e32 v1, s24, v15
	; wave barrier
	s_delay_alu instid0(VALU_DEP_1) | instskip(NEXT) | instid1(VALU_DEP_1)
	v_and_b32_e32 v1, s25, v1
	v_dual_cndmask_b32 v1, 0, v1 :: v_dual_and_b32 v0, s28, v0
	s_delay_alu instid0(VALU_DEP_1) | instskip(NEXT) | instid1(VALU_DEP_1)
	v_lshlrev_b32_e32 v0, s26, v0
	v_cndmask_b32_e64 v0, 0, v0, s10
	s_delay_alu instid0(VALU_DEP_1) | instskip(NEXT) | instid1(VALU_DEP_1)
	v_or_b32_e32 v0, v1, v0
	v_and_b32_e32 v2, 1, v0
	v_lshlrev_b32_e32 v3, 30, v0
	v_lshlrev_b32_e32 v4, 29, v0
	;; [unrolled: 1-line block ×4, first 2 shown]
	v_add_co_u32 v2, s10, v2, -1
	s_delay_alu instid0(VALU_DEP_1)
	v_cndmask_b32_e64 v6, 0, 1, s10
	v_not_b32_e32 v64, v3
	v_cmp_gt_i32_e64 s10, 0, v3
	v_not_b32_e32 v3, v4
	v_lshlrev_b32_e32 v62, 26, v0
	v_cmp_ne_u32_e32 vcc_lo, 0, v6
	v_ashrrev_i32_e32 v6, 31, v64
	v_lshlrev_b32_e32 v63, 25, v0
	v_ashrrev_i32_e32 v3, 31, v3
	v_mul_lo_u32 v1, v0, 10
	v_xor_b32_e32 v2, vcc_lo, v2
	v_cmp_gt_i32_e32 vcc_lo, 0, v4
	v_not_b32_e32 v4, v5
	v_xor_b32_e32 v6, s10, v6
	v_cmp_gt_i32_e64 s10, 0, v5
	v_and_b32_e32 v2, exec_lo, v2
	v_not_b32_e32 v5, v7
	v_ashrrev_i32_e32 v4, 31, v4
	v_xor_b32_e32 v3, vcc_lo, v3
	v_cmp_gt_i32_e32 vcc_lo, 0, v7
	v_and_b32_e32 v2, v2, v6
	v_not_b32_e32 v6, v62
	v_ashrrev_i32_e32 v5, 31, v5
	v_xor_b32_e32 v4, s10, v4
	v_lshlrev_b32_e32 v0, 24, v0
	v_and_b32_e32 v2, v2, v3
	v_cmp_gt_i32_e64 s10, 0, v62
	v_not_b32_e32 v3, v63
	v_ashrrev_i32_e32 v6, 31, v6
	v_xor_b32_e32 v5, vcc_lo, v5
	v_and_b32_e32 v2, v2, v4
	v_cmp_gt_i32_e32 vcc_lo, 0, v63
	v_not_b32_e32 v4, v0
	v_ashrrev_i32_e32 v3, 31, v3
	v_xor_b32_e32 v6, s10, v6
	v_and_b32_e32 v2, v2, v5
	v_cmp_gt_i32_e64 s10, 0, v0
	v_ashrrev_i32_e32 v0, 31, v4
	v_xor_b32_e32 v3, vcc_lo, v3
	v_add_lshl_u32 v1, v1, v13, 2
	v_and_b32_e32 v2, v2, v6
	s_delay_alu instid0(VALU_DEP_4) | instskip(SKIP_3) | instid1(VALU_DEP_2)
	v_xor_b32_e32 v0, s10, v0
	ds_load_b32 v62, v1 offset:40
	v_and_b32_e32 v2, v2, v3
	v_add_nc_u32_e32 v64, 40, v1
	; wave barrier
	v_and_b32_e32 v0, v2, v0
	s_delay_alu instid0(VALU_DEP_1) | instskip(SKIP_1) | instid1(VALU_DEP_2)
	v_mbcnt_lo_u32_b32 v63, v0, 0
	v_cmp_ne_u32_e64 s10, 0, v0
	v_cmp_eq_u32_e32 vcc_lo, 0, v63
	s_delay_alu instid0(VALU_DEP_2) | instskip(NEXT) | instid1(SALU_CYCLE_1)
	s_and_b32 s11, vcc_lo, s10
	s_and_saveexec_b32 s10, s11
	s_cbranch_execz .LBB374_20
; %bb.19:                               ;   in Loop: Header=BB374_4 Depth=2
	s_waitcnt lgkmcnt(0)
	v_bcnt_u32_b32 v0, v0, v62
	ds_store_b32 v64, v0
.LBB374_20:                             ;   in Loop: Header=BB374_4 Depth=2
	s_or_b32 exec_lo, exec_lo, s10
	; wave barrier
	s_waitcnt lgkmcnt(0)
	s_barrier
	buffer_gl0_inv
	ds_load_2addr_b64 v[4:7], v41 offset0:5 offset1:6
	ds_load_2addr_b64 v[0:3], v45 offset0:2 offset1:3
	s_waitcnt lgkmcnt(1)
	v_add_nc_u32_e32 v65, v5, v4
	s_delay_alu instid0(VALU_DEP_1) | instskip(SKIP_1) | instid1(VALU_DEP_1)
	v_add3_u32 v65, v65, v6, v7
	s_waitcnt lgkmcnt(0)
	v_add3_u32 v65, v65, v0, v1
	s_delay_alu instid0(VALU_DEP_1) | instskip(NEXT) | instid1(VALU_DEP_1)
	v_add3_u32 v3, v65, v2, v3
	v_mov_b32_dpp v65, v3 row_shr:1 row_mask:0xf bank_mask:0xf
	s_delay_alu instid0(VALU_DEP_1) | instskip(NEXT) | instid1(VALU_DEP_1)
	v_cndmask_b32_e64 v65, v65, 0, s0
	v_add_nc_u32_e32 v3, v65, v3
	s_delay_alu instid0(VALU_DEP_1) | instskip(NEXT) | instid1(VALU_DEP_1)
	v_mov_b32_dpp v65, v3 row_shr:2 row_mask:0xf bank_mask:0xf
	v_cndmask_b32_e64 v65, 0, v65, s1
	s_delay_alu instid0(VALU_DEP_1) | instskip(NEXT) | instid1(VALU_DEP_1)
	v_add_nc_u32_e32 v3, v3, v65
	v_mov_b32_dpp v65, v3 row_shr:4 row_mask:0xf bank_mask:0xf
	s_delay_alu instid0(VALU_DEP_1) | instskip(NEXT) | instid1(VALU_DEP_1)
	v_cndmask_b32_e64 v65, 0, v65, s2
	v_add_nc_u32_e32 v3, v3, v65
	s_delay_alu instid0(VALU_DEP_1) | instskip(NEXT) | instid1(VALU_DEP_1)
	v_mov_b32_dpp v65, v3 row_shr:8 row_mask:0xf bank_mask:0xf
	v_cndmask_b32_e64 v65, 0, v65, s3
	s_delay_alu instid0(VALU_DEP_1) | instskip(SKIP_3) | instid1(VALU_DEP_1)
	v_add_nc_u32_e32 v3, v3, v65
	ds_swizzle_b32 v65, v3 offset:swizzle(BROADCAST,32,15)
	s_waitcnt lgkmcnt(0)
	v_cndmask_b32_e64 v65, v65, 0, s4
	v_add_nc_u32_e32 v3, v3, v65
	s_and_saveexec_b32 s10, s5
	s_cbranch_execz .LBB374_22
; %bb.21:                               ;   in Loop: Header=BB374_4 Depth=2
	ds_store_b32 v47, v3
.LBB374_22:                             ;   in Loop: Header=BB374_4 Depth=2
	s_or_b32 exec_lo, exec_lo, s10
	s_waitcnt lgkmcnt(0)
	s_barrier
	buffer_gl0_inv
	s_and_saveexec_b32 s10, s6
	s_cbranch_execz .LBB374_24
; %bb.23:                               ;   in Loop: Header=BB374_4 Depth=2
	ds_load_b32 v65, v48
	s_waitcnt lgkmcnt(0)
	v_mov_b32_dpp v66, v65 row_shr:1 row_mask:0xf bank_mask:0xf
	s_delay_alu instid0(VALU_DEP_1) | instskip(NEXT) | instid1(VALU_DEP_1)
	v_cndmask_b32_e64 v66, v66, 0, s0
	v_add_nc_u32_e32 v65, v66, v65
	s_delay_alu instid0(VALU_DEP_1) | instskip(NEXT) | instid1(VALU_DEP_1)
	v_mov_b32_dpp v66, v65 row_shr:2 row_mask:0xf bank_mask:0xf
	v_cndmask_b32_e64 v66, 0, v66, s1
	s_delay_alu instid0(VALU_DEP_1) | instskip(NEXT) | instid1(VALU_DEP_1)
	v_add_nc_u32_e32 v65, v65, v66
	v_mov_b32_dpp v66, v65 row_shr:4 row_mask:0xf bank_mask:0xf
	s_delay_alu instid0(VALU_DEP_1) | instskip(NEXT) | instid1(VALU_DEP_1)
	v_cndmask_b32_e64 v66, 0, v66, s2
	v_add_nc_u32_e32 v65, v65, v66
	s_delay_alu instid0(VALU_DEP_1) | instskip(NEXT) | instid1(VALU_DEP_1)
	v_mov_b32_dpp v66, v65 row_shr:8 row_mask:0xf bank_mask:0xf
	v_cndmask_b32_e64 v66, 0, v66, s3
	s_delay_alu instid0(VALU_DEP_1)
	v_add_nc_u32_e32 v65, v65, v66
	ds_store_b32 v48, v65
.LBB374_24:                             ;   in Loop: Header=BB374_4 Depth=2
	s_or_b32 exec_lo, exec_lo, s10
	v_mov_b32_e32 v65, 0
	s_waitcnt lgkmcnt(0)
	s_barrier
	buffer_gl0_inv
	s_and_saveexec_b32 s10, s7
	s_cbranch_execz .LBB374_26
; %bb.25:                               ;   in Loop: Header=BB374_4 Depth=2
	ds_load_b32 v65, v49
.LBB374_26:                             ;   in Loop: Header=BB374_4 Depth=2
	s_or_b32 exec_lo, exec_lo, s10
	s_waitcnt lgkmcnt(0)
	v_add_nc_u32_e32 v3, v65, v3
	s_cmp_gt_u32 s24, 55
	ds_bpermute_b32 v3, v46, v3
	s_waitcnt lgkmcnt(0)
	v_cndmask_b32_e64 v3, v3, v65, s8
	s_delay_alu instid0(VALU_DEP_1) | instskip(NEXT) | instid1(VALU_DEP_1)
	v_cndmask_b32_e64 v3, v3, 0, s9
	v_add_nc_u32_e32 v4, v3, v4
	s_delay_alu instid0(VALU_DEP_1) | instskip(NEXT) | instid1(VALU_DEP_1)
	v_add_nc_u32_e32 v5, v4, v5
	v_add_nc_u32_e32 v6, v5, v6
	s_delay_alu instid0(VALU_DEP_1) | instskip(NEXT) | instid1(VALU_DEP_1)
	v_add_nc_u32_e32 v65, v6, v7
	;; [unrolled: 3-line block ×3, first 2 shown]
	v_add_nc_u32_e32 v1, v0, v2
	ds_store_2addr_b64 v41, v[3:4], v[5:6] offset0:5 offset1:6
	ds_store_2addr_b64 v45, v[65:66], v[0:1] offset0:2 offset1:3
	s_waitcnt lgkmcnt(0)
	s_barrier
	buffer_gl0_inv
	ds_load_b32 v0, v26
	ds_load_b32 v1, v29
	;; [unrolled: 1-line block ×8, first 2 shown]
	s_waitcnt lgkmcnt(0)
	v_add_nc_u32_e32 v64, v0, v12
	v_add3_u32 v61, v28, v27, v1
	v_add3_u32 v58, v31, v30, v2
	;; [unrolled: 1-line block ×7, first 2 shown]
	s_cbranch_scc0 .LBB374_3
; %bb.27:                               ;   in Loop: Header=BB374_2 Depth=1
                                        ; implicit-def: $sgpr24
                                        ; implicit-def: $vgpr32_vgpr33
                                        ; implicit-def: $vgpr0_vgpr1
                                        ; implicit-def: $vgpr2_vgpr3
                                        ; implicit-def: $vgpr6_vgpr7
                                        ; implicit-def: $vgpr4_vgpr5
                                        ; implicit-def: $vgpr26_vgpr27
                                        ; implicit-def: $vgpr28_vgpr29
                                        ; implicit-def: $vgpr30_vgpr31
                                        ; implicit-def: $sgpr23
                                        ; implicit-def: $sgpr22
	s_branch .LBB374_1
.LBB374_28:
	s_add_u32 s0, s18, s14
	s_addc_u32 s1, s19, s15
	v_add_co_u32 v0, s2, s0, v34
	s_delay_alu instid0(VALU_DEP_1) | instskip(NEXT) | instid1(VALU_DEP_2)
	v_add_co_ci_u32_e64 v24, null, s1, 0, s2
	v_add_co_u32 v13, vcc_lo, 0x1000, v0
	s_delay_alu instid0(VALU_DEP_2)
	v_add_co_ci_u32_e32 v14, vcc_lo, 0, v24, vcc_lo
	v_add_co_u32 v19, vcc_lo, 0x2000, v0
	v_add_co_ci_u32_e32 v20, vcc_lo, 0, v24, vcc_lo
	v_add_co_u32 v21, vcc_lo, 0x3000, v0
	;; [unrolled: 2-line block ×3, first 2 shown]
	v_add_co_ci_u32_e32 v24, vcc_lo, 0, v24, vcc_lo
	s_clause 0x7
	global_store_b64 v34, v[17:18], s[0:1]
	global_store_b64 v34, v[15:16], s[0:1] offset:2560
	global_store_b64 v[13:14], v[9:10], off offset:1024
	global_store_b64 v[13:14], v[11:12], off offset:3584
	;; [unrolled: 1-line block ×6, first 2 shown]
	s_nop 0
	s_sendmsg sendmsg(MSG_DEALLOC_VGPRS)
	s_endpgm
	.section	.rodata,"a",@progbits
	.p2align	6, 0x0
	.amdhsa_kernel _Z16sort_keys_kernelI22helper_blocked_stripedN15benchmark_utils11custom_typeIiiEELj320ELj8ELj10EEvPKT0_PS4_
		.amdhsa_group_segment_fixed_size 21120
		.amdhsa_private_segment_fixed_size 0
		.amdhsa_kernarg_size 272
		.amdhsa_user_sgpr_count 15
		.amdhsa_user_sgpr_dispatch_ptr 0
		.amdhsa_user_sgpr_queue_ptr 0
		.amdhsa_user_sgpr_kernarg_segment_ptr 1
		.amdhsa_user_sgpr_dispatch_id 0
		.amdhsa_user_sgpr_private_segment_size 0
		.amdhsa_wavefront_size32 1
		.amdhsa_uses_dynamic_stack 0
		.amdhsa_enable_private_segment 0
		.amdhsa_system_sgpr_workgroup_id_x 1
		.amdhsa_system_sgpr_workgroup_id_y 0
		.amdhsa_system_sgpr_workgroup_id_z 0
		.amdhsa_system_sgpr_workgroup_info 0
		.amdhsa_system_vgpr_workitem_id 2
		.amdhsa_next_free_vgpr 67
		.amdhsa_next_free_sgpr 29
		.amdhsa_reserve_vcc 1
		.amdhsa_float_round_mode_32 0
		.amdhsa_float_round_mode_16_64 0
		.amdhsa_float_denorm_mode_32 3
		.amdhsa_float_denorm_mode_16_64 3
		.amdhsa_dx10_clamp 1
		.amdhsa_ieee_mode 1
		.amdhsa_fp16_overflow 0
		.amdhsa_workgroup_processor_mode 1
		.amdhsa_memory_ordered 1
		.amdhsa_forward_progress 0
		.amdhsa_shared_vgpr_count 0
		.amdhsa_exception_fp_ieee_invalid_op 0
		.amdhsa_exception_fp_denorm_src 0
		.amdhsa_exception_fp_ieee_div_zero 0
		.amdhsa_exception_fp_ieee_overflow 0
		.amdhsa_exception_fp_ieee_underflow 0
		.amdhsa_exception_fp_ieee_inexact 0
		.amdhsa_exception_int_div_zero 0
	.end_amdhsa_kernel
	.section	.text._Z16sort_keys_kernelI22helper_blocked_stripedN15benchmark_utils11custom_typeIiiEELj320ELj8ELj10EEvPKT0_PS4_,"axG",@progbits,_Z16sort_keys_kernelI22helper_blocked_stripedN15benchmark_utils11custom_typeIiiEELj320ELj8ELj10EEvPKT0_PS4_,comdat
.Lfunc_end374:
	.size	_Z16sort_keys_kernelI22helper_blocked_stripedN15benchmark_utils11custom_typeIiiEELj320ELj8ELj10EEvPKT0_PS4_, .Lfunc_end374-_Z16sort_keys_kernelI22helper_blocked_stripedN15benchmark_utils11custom_typeIiiEELj320ELj8ELj10EEvPKT0_PS4_
                                        ; -- End function
	.section	.AMDGPU.csdata,"",@progbits
; Kernel info:
; codeLenInByte = 5572
; NumSgprs: 31
; NumVgprs: 67
; ScratchSize: 0
; MemoryBound: 0
; FloatMode: 240
; IeeeMode: 1
; LDSByteSize: 21120 bytes/workgroup (compile time only)
; SGPRBlocks: 3
; VGPRBlocks: 8
; NumSGPRsForWavesPerEU: 31
; NumVGPRsForWavesPerEU: 67
; Occupancy: 15
; WaveLimiterHint : 1
; COMPUTE_PGM_RSRC2:SCRATCH_EN: 0
; COMPUTE_PGM_RSRC2:USER_SGPR: 15
; COMPUTE_PGM_RSRC2:TRAP_HANDLER: 0
; COMPUTE_PGM_RSRC2:TGID_X_EN: 1
; COMPUTE_PGM_RSRC2:TGID_Y_EN: 0
; COMPUTE_PGM_RSRC2:TGID_Z_EN: 0
; COMPUTE_PGM_RSRC2:TIDIG_COMP_CNT: 2
	.section	.text._Z17sort_pairs_kernelI22helper_blocked_stripedN15benchmark_utils11custom_typeIiiEELj320ELj8ELj10EEvPKT0_PS4_,"axG",@progbits,_Z17sort_pairs_kernelI22helper_blocked_stripedN15benchmark_utils11custom_typeIiiEELj320ELj8ELj10EEvPKT0_PS4_,comdat
	.protected	_Z17sort_pairs_kernelI22helper_blocked_stripedN15benchmark_utils11custom_typeIiiEELj320ELj8ELj10EEvPKT0_PS4_ ; -- Begin function _Z17sort_pairs_kernelI22helper_blocked_stripedN15benchmark_utils11custom_typeIiiEELj320ELj8ELj10EEvPKT0_PS4_
	.globl	_Z17sort_pairs_kernelI22helper_blocked_stripedN15benchmark_utils11custom_typeIiiEELj320ELj8ELj10EEvPKT0_PS4_
	.p2align	8
	.type	_Z17sort_pairs_kernelI22helper_blocked_stripedN15benchmark_utils11custom_typeIiiEELj320ELj8ELj10EEvPKT0_PS4_,@function
_Z17sort_pairs_kernelI22helper_blocked_stripedN15benchmark_utils11custom_typeIiiEELj320ELj8ELj10EEvPKT0_PS4_: ; @_Z17sort_pairs_kernelI22helper_blocked_stripedN15benchmark_utils11custom_typeIiiEELj320ELj8ELj10EEvPKT0_PS4_
; %bb.0:
	s_clause 0x1
	s_load_b128 s[16:19], s[0:1], 0x0
	s_load_b32 s9, s[0:1], 0x1c
	v_mbcnt_lo_u32_b32 v18, -1, 0
	s_mov_b32 s21, 0
	s_mul_i32 s20, s15, 0xa00
	v_bfe_u32 v19, v0, 10, 10
	s_lshl_b64 s[14:15], s[20:21], 3
	v_add_nc_u32_e32 v22, -1, v18
	v_and_b32_e32 v20, 15, v18
	v_and_b32_e32 v21, 16, v18
	s_mov_b32 s20, s21
	s_mov_b32 s13, s21
	v_cmp_gt_i32_e32 vcc_lo, 0, v22
	v_and_b32_e32 v17, 0x3ff, v0
	v_cmp_lt_u32_e64 s2, 1, v20
	v_cmp_lt_u32_e64 s3, 3, v20
	;; [unrolled: 1-line block ×3, first 2 shown]
	v_bfe_u32 v0, v0, 20, 10
	v_lshlrev_b32_e32 v1, 6, v17
	v_cmp_eq_u32_e64 s5, 0, v21
	s_waitcnt lgkmcnt(0)
	s_add_u32 s0, s16, s14
	s_addc_u32 s1, s17, s15
	s_lshr_b32 s10, s9, 16
	s_clause 0x3
	global_load_b128 v[5:8], v1, s[0:1]
	global_load_b128 v[9:12], v1, s[0:1] offset:16
	global_load_b128 v[13:16], v1, s[0:1] offset:32
	;; [unrolled: 1-line block ×3, first 2 shown]
	v_cmp_eq_u32_e64 s1, 0, v20
	v_cndmask_b32_e32 v20, v22, v18, vcc_lo
	v_lshlrev_b32_e32 v66, 3, v17
	v_and_b32_e32 v23, 0x1e0, v17
	v_lshrrev_b32_e32 v21, 3, v17
	v_cmp_eq_u32_e64 s0, 0, v18
	v_mad_u32_u24 v0, v0, s10, v19
	v_and_b32_e32 v24, 0xf00, v66
	v_or_b32_e32 v22, v18, v23
	v_and_b32_e32 v70, 60, v21
	v_lshlrev_b32_e32 v67, 5, v17
	v_min_u32_e32 v23, 0x120, v23
	v_or_b32_e32 v21, v18, v24
	v_lshrrev_b32_e32 v18, 5, v24
	v_lshlrev_b32_e32 v69, 2, v20
	v_lshlrev_b32_e32 v20, 1, v22
	v_or_b32_e32 v25, 32, v24
	v_or_b32_e32 v26, 64, v24
	;; [unrolled: 1-line block ×7, first 2 shown]
	s_and_b32 s11, s9, 0xffff
	v_add_lshl_u32 v73, v18, v21, 3
	v_mad_u64_u32 v[18:19], null, v0, s11, v[17:18]
	v_lshlrev_b32_e32 v34, 2, v17
	v_mad_i32_i24 v71, 0xffffffe4, v17, v67
	v_or_b32_e32 v23, 31, v23
	v_and_b32_e32 v20, 0x3f8, v20
	v_lshrrev_b32_e32 v25, 5, v25
	v_lshrrev_b32_e32 v26, 5, v26
	;; [unrolled: 1-line block ×7, first 2 shown]
	v_cmp_gt_u32_e64 s6, 10, v17
	v_cmp_lt_u32_e64 s7, 31, v17
	v_cmp_eq_u32_e64 s8, 0, v17
	v_add_nc_u32_e32 v68, 40, v67
	v_add_nc_u32_e32 v72, -4, v70
	v_cmp_eq_u32_e64 s9, v23, v17
	v_lshl_add_u32 v74, v22, 6, v20
	v_add_lshl_u32 v75, v25, v21, 3
	v_add_lshl_u32 v76, v26, v21, 3
	;; [unrolled: 1-line block ×7, first 2 shown]
	v_lshrrev_b32_e32 v33, 5, v18
	v_add_nc_u32_e32 v82, v71, v34
	s_mov_b32 s16, s21
	s_mov_b32 s17, s21
	s_waitcnt vmcnt(3)
	v_add_nc_u32_e32 v30, 1, v6
	v_add_nc_u32_e32 v29, 1, v5
	v_add_nc_u32_e32 v32, 1, v8
	v_add_nc_u32_e32 v31, 1, v7
	s_waitcnt vmcnt(2)
	v_add_nc_u32_e32 v26, 1, v10
	v_add_nc_u32_e32 v25, 1, v9
	v_add_nc_u32_e32 v28, 1, v12
	v_add_nc_u32_e32 v27, 1, v11
	;; [unrolled: 5-line block ×4, first 2 shown]
	s_branch .LBB375_2
.LBB375_1:                              ;   in Loop: Header=BB375_2 Depth=1
	v_lshlrev_b32_e32 v4, 3, v89
	v_lshlrev_b32_e32 v5, 3, v88
	;; [unrolled: 1-line block ×4, first 2 shown]
	s_barrier
	buffer_gl0_inv
	ds_store_b64 v4, v[22:23]
	ds_store_b64 v5, v[40:41]
	;; [unrolled: 1-line block ×3, first 2 shown]
	v_lshlrev_b32_e32 v22, 3, v85
	v_lshlrev_b32_e32 v23, 3, v84
	;; [unrolled: 1-line block ×4, first 2 shown]
	ds_store_b64 v7, v[26:27]
	ds_store_b64 v22, v[36:37]
	;; [unrolled: 1-line block ×5, first 2 shown]
	s_waitcnt lgkmcnt(0)
	s_barrier
	buffer_gl0_inv
	ds_load_2addr_stride64_b64 v[0:3], v82 offset1:5
	ds_load_2addr_stride64_b64 v[34:37], v82 offset0:10 offset1:15
	ds_load_2addr_stride64_b64 v[38:41], v82 offset0:20 offset1:25
	;; [unrolled: 1-line block ×3, first 2 shown]
	s_waitcnt lgkmcnt(0)
	s_barrier
	buffer_gl0_inv
	ds_store_b64 v4, v[12:13]
	ds_store_b64 v5, v[10:11]
	;; [unrolled: 1-line block ×8, first 2 shown]
	s_waitcnt lgkmcnt(0)
	s_barrier
	buffer_gl0_inv
	ds_load_2addr_stride64_b64 v[29:32], v82 offset1:5
	ds_load_2addr_stride64_b64 v[25:28], v82 offset0:10 offset1:15
	ds_load_2addr_stride64_b64 v[21:24], v82 offset0:20 offset1:25
	ds_load_2addr_stride64_b64 v[17:20], v82 offset0:30 offset1:35
	s_add_i32 s13, s13, 1
	s_delay_alu instid0(SALU_CYCLE_1)
	s_cmp_lg_u32 s13, 10
	v_xor_b32_e32 v5, 0x80000000, v0
	v_xor_b32_e32 v6, 0x80000000, v1
	;; [unrolled: 1-line block ×16, first 2 shown]
	s_cbranch_scc0 .LBB375_28
.LBB375_2:                              ; =>This Loop Header: Depth=1
                                        ;     Child Loop BB375_4 Depth 2
	v_xor_b32_e32 v6, 0x80000000, v6
	v_xor_b32_e32 v5, 0x80000000, v5
	;; [unrolled: 1-line block ×16, first 2 shown]
	ds_store_2addr_b64 v74, v[5:6], v[7:8] offset1:1
	ds_store_2addr_b64 v74, v[9:10], v[11:12] offset0:2 offset1:3
	ds_store_2addr_b64 v74, v[13:14], v[15:16] offset0:4 offset1:5
	;; [unrolled: 1-line block ×3, first 2 shown]
	; wave barrier
	ds_load_b64 v[50:51], v73
	ds_load_b64 v[0:1], v75 offset:256
	ds_load_b64 v[2:3], v76 offset:512
	;; [unrolled: 1-line block ×7, first 2 shown]
	; wave barrier
	s_waitcnt lgkmcnt(15)
	ds_store_2addr_b64 v74, v[29:30], v[31:32] offset1:1
	s_waitcnt lgkmcnt(15)
	ds_store_2addr_b64 v74, v[25:26], v[27:28] offset0:2 offset1:3
	s_waitcnt lgkmcnt(15)
	ds_store_2addr_b64 v74, v[21:22], v[23:24] offset0:4 offset1:5
	;; [unrolled: 2-line block ×3, first 2 shown]
	; wave barrier
	ds_load_b64 v[52:53], v73
	ds_load_b64 v[54:55], v75 offset:256
	ds_load_b64 v[56:57], v76 offset:512
	;; [unrolled: 1-line block ×7, first 2 shown]
	s_mov_b32 s22, 8
	s_mov_b32 s23, 32
	;; [unrolled: 1-line block ×3, first 2 shown]
	s_waitcnt lgkmcnt(0)
	s_barrier
	s_branch .LBB375_4
.LBB375_3:                              ;   in Loop: Header=BB375_4 Depth=2
	v_lshrrev_b32_e32 v0, 2, v89
	v_lshrrev_b32_e32 v1, 2, v88
	;; [unrolled: 1-line block ×5, first 2 shown]
	v_and_b32_e32 v0, 0x3ffffff8, v0
	v_and_b32_e32 v1, 0x3ffffff8, v1
	;; [unrolled: 1-line block ×5, first 2 shown]
	v_lshl_add_u32 v48, v89, 3, v0
	v_lshrrev_b32_e32 v0, 2, v86
	v_lshl_add_u32 v49, v88, 3, v1
	v_lshrrev_b32_e32 v1, 2, v85
	;; [unrolled: 2-line block ×3, first 2 shown]
	v_and_b32_e32 v0, 0x3ffffff8, v0
	v_lshl_add_u32 v56, v83, 3, v3
	v_and_b32_e32 v1, 0x3ffffff8, v1
	v_lshl_add_u32 v57, v32, 3, v4
	;; [unrolled: 2-line block ×3, first 2 shown]
	s_barrier
	v_lshl_add_u32 v54, v85, 3, v1
	buffer_gl0_inv
	v_lshl_add_u32 v55, v84, 3, v2
	ds_store_b64 v48, v[22:23]
	ds_store_b64 v49, v[40:41]
	;; [unrolled: 1-line block ×8, first 2 shown]
	s_waitcnt lgkmcnt(0)
	s_barrier
	buffer_gl0_inv
	ds_load_b64 v[50:51], v73
	ds_load_b64 v[0:1], v75 offset:256
	ds_load_b64 v[2:3], v76 offset:512
	;; [unrolled: 1-line block ×7, first 2 shown]
	s_waitcnt lgkmcnt(0)
	s_barrier
	buffer_gl0_inv
	ds_store_b64 v48, v[12:13]
	ds_store_b64 v49, v[10:11]
	;; [unrolled: 1-line block ×8, first 2 shown]
	s_waitcnt lgkmcnt(0)
	s_barrier
	buffer_gl0_inv
	ds_load_b64 v[52:53], v73
	ds_load_b64 v[54:55], v75 offset:256
	ds_load_b64 v[56:57], v76 offset:512
	ds_load_b64 v[58:59], v77 offset:768
	ds_load_b64 v[60:61], v78 offset:1024
	ds_load_b64 v[62:63], v79 offset:1280
	ds_load_b64 v[64:65], v80 offset:1536
	ds_load_b64 v[48:49], v81 offset:1792
	s_add_i32 s23, s23, -8
	s_add_i32 s22, s22, 8
	s_add_i32 s24, s24, 8
	s_waitcnt lgkmcnt(0)
	s_barrier
	s_cbranch_execz .LBB375_1
.LBB375_4:                              ;   Parent Loop BB375_2 Depth=1
                                        ; =>  This Inner Loop Header: Depth=2
	s_min_i32 s11, s22, 32
	s_cmp_lt_u32 s24, 32
	v_dual_mov_b32 v22, v50 :: v_dual_mov_b32 v23, v51
	s_cselect_b32 vcc_lo, -1, 0
	s_cmp_gt_u32 s24, 24
	v_mov_b32_e32 v10, v54
	s_cselect_b32 s10, -1, 0
	s_sub_i32 s11, s11, 32
	v_lshrrev_b32_e32 v9, s24, v23
	s_add_i32 s12, s11, s23
	v_mov_b32_e32 v20, v58
	s_lshl_b32 s12, -1, s12
	v_mov_b32_e32 v18, v60
	s_not_b32 s12, s12
	s_cmp_lg_u32 s11, s24
	v_mov_b32_e32 v12, v52
	s_cselect_b32 s25, s12, -1
	s_max_i32 s26, s23, 0
	s_max_i32 s11, s24, 32
	v_and_b32_e32 v9, s25, v9
	s_sub_i32 s12, s11, s26
	s_sub_i32 s27, s11, 32
	;; [unrolled: 1-line block ×3, first 2 shown]
	v_lshrrev_b32_e32 v8, s27, v22
	s_min_i32 s11, s12, 32
	v_cndmask_b32_e32 v14, 0, v9, vcc_lo
	s_sub_i32 s11, s11, s27
	v_mov_b32_e32 v21, v59
	s_lshl_b32 s12, -1, s11
	buffer_gl0_inv
	s_not_b32 s12, s12
	s_cmp_lg_u32 s11, 32
	v_mov_b32_e32 v13, v53
	s_cselect_b32 s28, s12, -1
	s_delay_alu instid0(SALU_CYCLE_1) | instskip(SKIP_3) | instid1(VALU_DEP_4)
	v_dual_mov_b32 v11, v55 :: v_dual_and_b32 v8, s28, v8
	v_mov_b32_e32 v19, v61
	v_mov_b32_e32 v41, v1
	v_dual_mov_b32 v39, v3 :: v_dual_mov_b32 v40, v0
	v_dual_mov_b32 v37, v5 :: v_dual_lshlrev_b32 v8, s26, v8
	v_mov_b32_e32 v38, v2
	v_dual_mov_b32 v36, v4 :: v_dual_mov_b32 v3, s16
	s_delay_alu instid0(VALU_DEP_3) | instskip(SKIP_2) | instid1(VALU_DEP_3)
	v_cndmask_b32_e64 v15, 0, v8, s10
	v_dual_mov_b32 v8, v56 :: v_dual_mov_b32 v9, v57
	v_mov_b32_e32 v4, s17
	v_or_b32_e32 v32, v14, v15
	v_mov_b32_e32 v16, v62
	v_dual_mov_b32 v14, v64 :: v_dual_mov_b32 v17, v63
	v_mov_b32_e32 v15, v65
	s_delay_alu instid0(VALU_DEP_4)
	v_lshlrev_b32_e32 v27, 28, v32
	v_and_b32_e32 v24, 1, v32
	v_lshlrev_b32_e32 v25, 30, v32
	v_lshlrev_b32_e32 v26, 29, v32
	;; [unrolled: 1-line block ×4, first 2 shown]
	v_add_co_u32 v24, s11, v24, -1
	s_delay_alu instid0(VALU_DEP_1)
	v_cndmask_b32_e64 v28, 0, 1, s11
	v_not_b32_e32 v34, v25
	v_cmp_gt_i32_e64 s12, 0, v25
	v_not_b32_e32 v25, v26
	v_lshlrev_b32_e32 v31, 25, v32
	v_cmp_ne_u32_e64 s11, 0, v28
	v_ashrrev_i32_e32 v34, 31, v34
	v_lshlrev_b32_e32 v28, 24, v32
	v_ashrrev_i32_e32 v25, 31, v25
	s_delay_alu instid0(VALU_DEP_4)
	v_xor_b32_e32 v24, s11, v24
	v_cmp_gt_i32_e64 s11, 0, v26
	v_not_b32_e32 v26, v27
	v_xor_b32_e32 v34, s12, v34
	v_cmp_gt_i32_e64 s12, 0, v27
	v_and_b32_e32 v24, exec_lo, v24
	v_not_b32_e32 v27, v29
	v_ashrrev_i32_e32 v26, 31, v26
	v_xor_b32_e32 v25, s11, v25
	v_cmp_gt_i32_e64 s11, 0, v29
	v_and_b32_e32 v24, v24, v34
	v_mov_b32_e32 v34, v42
	v_not_b32_e32 v29, v30
	v_ashrrev_i32_e32 v27, 31, v27
	v_xor_b32_e32 v26, s12, v26
	v_dual_mov_b32 v35, v43 :: v_dual_and_b32 v24, v24, v25
	v_cmp_gt_i32_e64 s12, 0, v30
	v_not_b32_e32 v25, v31
	v_ashrrev_i32_e32 v29, 31, v29
	v_xor_b32_e32 v27, s11, v27
	v_and_b32_e32 v24, v24, v26
	v_cmp_gt_i32_e64 s11, 0, v31
	v_not_b32_e32 v26, v28
	v_ashrrev_i32_e32 v30, 31, v25
	v_xor_b32_e32 v29, s12, v29
	v_and_b32_e32 v27, v24, v27
	v_cmp_gt_i32_e64 s12, 0, v28
	v_ashrrev_i32_e32 v28, 31, v26
	v_xor_b32_e32 v30, s11, v30
	s_delay_alu instid0(VALU_DEP_4) | instskip(SKIP_1) | instid1(VALU_DEP_4)
	v_dual_mov_b32 v24, v48 :: v_dual_and_b32 v29, v27, v29
	v_dual_mov_b32 v27, v7 :: v_dual_mov_b32 v26, v6
	v_xor_b32_e32 v0, s12, v28
	v_mov_b32_e32 v25, v49
	s_delay_alu instid0(VALU_DEP_4) | instskip(SKIP_1) | instid1(VALU_DEP_2)
	v_dual_mov_b32 v30, v44 :: v_dual_and_b32 v1, v29, v30
	v_dual_mov_b32 v28, v46 :: v_dual_mov_b32 v31, v45
	v_dual_mov_b32 v29, v47 :: v_dual_and_b32 v0, v1, v0
	v_mov_b32_e32 v1, s20
	v_mad_u64_u32 v[5:6], null, v32, 10, v[33:34]
	v_mov_b32_e32 v2, s21
	s_delay_alu instid0(VALU_DEP_4)
	v_mbcnt_lo_u32_b32 v32, v0, 0
	v_cmp_ne_u32_e64 s12, 0, v0
	ds_store_2addr_b64 v67, v[1:2], v[3:4] offset0:5 offset1:6
	ds_store_2addr_b64 v68, v[1:2], v[3:4] offset0:2 offset1:3
	v_cmp_eq_u32_e64 s11, 0, v32
	v_lshl_add_u32 v42, v5, 2, 40
	s_waitcnt lgkmcnt(0)
	s_barrier
	buffer_gl0_inv
	s_and_b32 s12, s11, s12
	; wave barrier
	s_delay_alu instid0(SALU_CYCLE_1)
	s_and_saveexec_b32 s11, s12
	s_cbranch_execz .LBB375_6
; %bb.5:                                ;   in Loop: Header=BB375_4 Depth=2
	v_bcnt_u32_b32 v0, v0, 0
	ds_store_b32 v42, v0
.LBB375_6:                              ;   in Loop: Header=BB375_4 Depth=2
	s_or_b32 exec_lo, exec_lo, s11
	v_lshrrev_b32_e32 v0, s27, v40
	v_lshrrev_b32_e32 v1, s24, v41
	; wave barrier
	s_delay_alu instid0(VALU_DEP_1) | instskip(NEXT) | instid1(VALU_DEP_1)
	v_and_b32_e32 v1, s25, v1
	v_dual_cndmask_b32 v1, 0, v1 :: v_dual_and_b32 v0, s28, v0
	s_delay_alu instid0(VALU_DEP_1) | instskip(NEXT) | instid1(VALU_DEP_1)
	v_lshlrev_b32_e32 v0, s26, v0
	v_cndmask_b32_e64 v0, 0, v0, s10
	s_delay_alu instid0(VALU_DEP_1) | instskip(NEXT) | instid1(VALU_DEP_1)
	v_or_b32_e32 v0, v1, v0
	v_and_b32_e32 v2, 1, v0
	v_lshlrev_b32_e32 v3, 30, v0
	v_lshlrev_b32_e32 v4, 29, v0
	;; [unrolled: 1-line block ×4, first 2 shown]
	v_add_co_u32 v2, s11, v2, -1
	s_delay_alu instid0(VALU_DEP_1)
	v_cndmask_b32_e64 v6, 0, 1, s11
	v_not_b32_e32 v45, v3
	v_cmp_gt_i32_e64 s12, 0, v3
	v_not_b32_e32 v3, v4
	v_lshlrev_b32_e32 v43, 26, v0
	v_cmp_ne_u32_e64 s11, 0, v6
	v_ashrrev_i32_e32 v6, 31, v45
	v_lshlrev_b32_e32 v44, 25, v0
	v_ashrrev_i32_e32 v3, 31, v3
	v_mul_lo_u32 v1, v0, 10
	v_xor_b32_e32 v2, s11, v2
	v_cmp_gt_i32_e64 s11, 0, v4
	v_not_b32_e32 v4, v5
	v_xor_b32_e32 v6, s12, v6
	v_cmp_gt_i32_e64 s12, 0, v5
	v_and_b32_e32 v2, exec_lo, v2
	v_not_b32_e32 v5, v7
	v_ashrrev_i32_e32 v4, 31, v4
	v_xor_b32_e32 v3, s11, v3
	v_cmp_gt_i32_e64 s11, 0, v7
	v_and_b32_e32 v2, v2, v6
	v_not_b32_e32 v6, v43
	v_ashrrev_i32_e32 v5, 31, v5
	v_xor_b32_e32 v4, s12, v4
	v_lshlrev_b32_e32 v0, 24, v0
	v_and_b32_e32 v2, v2, v3
	v_cmp_gt_i32_e64 s12, 0, v43
	v_not_b32_e32 v3, v44
	v_ashrrev_i32_e32 v6, 31, v6
	v_xor_b32_e32 v5, s11, v5
	v_and_b32_e32 v2, v2, v4
	v_cmp_gt_i32_e64 s11, 0, v44
	v_not_b32_e32 v4, v0
	v_ashrrev_i32_e32 v3, 31, v3
	v_xor_b32_e32 v6, s12, v6
	v_and_b32_e32 v2, v2, v5
	v_cmp_gt_i32_e64 s12, 0, v0
	v_ashrrev_i32_e32 v0, 31, v4
	v_xor_b32_e32 v3, s11, v3
	v_add_lshl_u32 v1, v1, v33, 2
	v_and_b32_e32 v2, v2, v6
	s_delay_alu instid0(VALU_DEP_4) | instskip(SKIP_3) | instid1(VALU_DEP_2)
	v_xor_b32_e32 v0, s12, v0
	ds_load_b32 v43, v1 offset:40
	v_and_b32_e32 v2, v2, v3
	v_add_nc_u32_e32 v45, 40, v1
	; wave barrier
	v_and_b32_e32 v0, v2, v0
	s_delay_alu instid0(VALU_DEP_1) | instskip(SKIP_1) | instid1(VALU_DEP_2)
	v_mbcnt_lo_u32_b32 v44, v0, 0
	v_cmp_ne_u32_e64 s12, 0, v0
	v_cmp_eq_u32_e64 s11, 0, v44
	s_delay_alu instid0(VALU_DEP_1) | instskip(NEXT) | instid1(SALU_CYCLE_1)
	s_and_b32 s12, s11, s12
	s_and_saveexec_b32 s11, s12
	s_cbranch_execz .LBB375_8
; %bb.7:                                ;   in Loop: Header=BB375_4 Depth=2
	s_waitcnt lgkmcnt(0)
	v_bcnt_u32_b32 v0, v0, v43
	ds_store_b32 v45, v0
.LBB375_8:                              ;   in Loop: Header=BB375_4 Depth=2
	s_or_b32 exec_lo, exec_lo, s11
	v_lshrrev_b32_e32 v0, s27, v38
	v_lshrrev_b32_e32 v1, s24, v39
	; wave barrier
	s_delay_alu instid0(VALU_DEP_1) | instskip(NEXT) | instid1(VALU_DEP_1)
	v_and_b32_e32 v1, s25, v1
	v_dual_cndmask_b32 v1, 0, v1 :: v_dual_and_b32 v0, s28, v0
	s_delay_alu instid0(VALU_DEP_1) | instskip(NEXT) | instid1(VALU_DEP_1)
	v_lshlrev_b32_e32 v0, s26, v0
	v_cndmask_b32_e64 v0, 0, v0, s10
	s_delay_alu instid0(VALU_DEP_1) | instskip(NEXT) | instid1(VALU_DEP_1)
	v_or_b32_e32 v0, v1, v0
	v_and_b32_e32 v2, 1, v0
	v_lshlrev_b32_e32 v3, 30, v0
	v_lshlrev_b32_e32 v4, 29, v0
	;; [unrolled: 1-line block ×4, first 2 shown]
	v_add_co_u32 v2, s11, v2, -1
	s_delay_alu instid0(VALU_DEP_1)
	v_cndmask_b32_e64 v6, 0, 1, s11
	v_not_b32_e32 v48, v3
	v_cmp_gt_i32_e64 s12, 0, v3
	v_not_b32_e32 v3, v4
	v_lshlrev_b32_e32 v46, 26, v0
	v_cmp_ne_u32_e64 s11, 0, v6
	v_ashrrev_i32_e32 v6, 31, v48
	v_lshlrev_b32_e32 v47, 25, v0
	v_ashrrev_i32_e32 v3, 31, v3
	v_mul_lo_u32 v1, v0, 10
	v_xor_b32_e32 v2, s11, v2
	v_cmp_gt_i32_e64 s11, 0, v4
	v_not_b32_e32 v4, v5
	v_xor_b32_e32 v6, s12, v6
	v_cmp_gt_i32_e64 s12, 0, v5
	v_and_b32_e32 v2, exec_lo, v2
	v_not_b32_e32 v5, v7
	v_ashrrev_i32_e32 v4, 31, v4
	v_xor_b32_e32 v3, s11, v3
	v_cmp_gt_i32_e64 s11, 0, v7
	v_and_b32_e32 v2, v2, v6
	v_not_b32_e32 v6, v46
	v_ashrrev_i32_e32 v5, 31, v5
	v_xor_b32_e32 v4, s12, v4
	v_lshlrev_b32_e32 v0, 24, v0
	v_and_b32_e32 v2, v2, v3
	v_cmp_gt_i32_e64 s12, 0, v46
	v_not_b32_e32 v3, v47
	v_ashrrev_i32_e32 v6, 31, v6
	v_xor_b32_e32 v5, s11, v5
	v_and_b32_e32 v2, v2, v4
	v_cmp_gt_i32_e64 s11, 0, v47
	v_not_b32_e32 v4, v0
	v_ashrrev_i32_e32 v3, 31, v3
	v_xor_b32_e32 v6, s12, v6
	v_and_b32_e32 v2, v2, v5
	v_cmp_gt_i32_e64 s12, 0, v0
	v_ashrrev_i32_e32 v0, 31, v4
	v_xor_b32_e32 v3, s11, v3
	v_add_lshl_u32 v1, v1, v33, 2
	v_and_b32_e32 v2, v2, v6
	s_delay_alu instid0(VALU_DEP_4) | instskip(SKIP_3) | instid1(VALU_DEP_2)
	v_xor_b32_e32 v0, s12, v0
	ds_load_b32 v46, v1 offset:40
	v_and_b32_e32 v2, v2, v3
	v_add_nc_u32_e32 v48, 40, v1
	; wave barrier
	v_and_b32_e32 v0, v2, v0
	s_delay_alu instid0(VALU_DEP_1) | instskip(SKIP_1) | instid1(VALU_DEP_2)
	v_mbcnt_lo_u32_b32 v47, v0, 0
	v_cmp_ne_u32_e64 s12, 0, v0
	v_cmp_eq_u32_e64 s11, 0, v47
	s_delay_alu instid0(VALU_DEP_1) | instskip(NEXT) | instid1(SALU_CYCLE_1)
	s_and_b32 s12, s11, s12
	s_and_saveexec_b32 s11, s12
	s_cbranch_execz .LBB375_10
; %bb.9:                                ;   in Loop: Header=BB375_4 Depth=2
	s_waitcnt lgkmcnt(0)
	v_bcnt_u32_b32 v0, v0, v46
	ds_store_b32 v48, v0
.LBB375_10:                             ;   in Loop: Header=BB375_4 Depth=2
	s_or_b32 exec_lo, exec_lo, s11
	v_lshrrev_b32_e32 v0, s27, v26
	v_lshrrev_b32_e32 v1, s24, v27
	; wave barrier
	s_delay_alu instid0(VALU_DEP_1) | instskip(NEXT) | instid1(VALU_DEP_1)
	v_and_b32_e32 v1, s25, v1
	v_dual_cndmask_b32 v1, 0, v1 :: v_dual_and_b32 v0, s28, v0
	s_delay_alu instid0(VALU_DEP_1) | instskip(NEXT) | instid1(VALU_DEP_1)
	v_lshlrev_b32_e32 v0, s26, v0
	v_cndmask_b32_e64 v0, 0, v0, s10
	s_delay_alu instid0(VALU_DEP_1) | instskip(NEXT) | instid1(VALU_DEP_1)
	v_or_b32_e32 v0, v1, v0
	v_and_b32_e32 v2, 1, v0
	v_lshlrev_b32_e32 v3, 30, v0
	v_lshlrev_b32_e32 v4, 29, v0
	v_lshlrev_b32_e32 v5, 28, v0
	v_lshlrev_b32_e32 v7, 27, v0
	v_add_co_u32 v2, s11, v2, -1
	s_delay_alu instid0(VALU_DEP_1)
	v_cndmask_b32_e64 v6, 0, 1, s11
	v_not_b32_e32 v51, v3
	v_cmp_gt_i32_e64 s12, 0, v3
	v_not_b32_e32 v3, v4
	v_lshlrev_b32_e32 v49, 26, v0
	v_cmp_ne_u32_e64 s11, 0, v6
	v_ashrrev_i32_e32 v6, 31, v51
	v_lshlrev_b32_e32 v50, 25, v0
	v_ashrrev_i32_e32 v3, 31, v3
	v_mul_lo_u32 v1, v0, 10
	v_xor_b32_e32 v2, s11, v2
	v_cmp_gt_i32_e64 s11, 0, v4
	v_not_b32_e32 v4, v5
	v_xor_b32_e32 v6, s12, v6
	v_cmp_gt_i32_e64 s12, 0, v5
	v_and_b32_e32 v2, exec_lo, v2
	v_not_b32_e32 v5, v7
	v_ashrrev_i32_e32 v4, 31, v4
	v_xor_b32_e32 v3, s11, v3
	v_cmp_gt_i32_e64 s11, 0, v7
	v_and_b32_e32 v2, v2, v6
	v_not_b32_e32 v6, v49
	v_ashrrev_i32_e32 v5, 31, v5
	v_xor_b32_e32 v4, s12, v4
	v_lshlrev_b32_e32 v0, 24, v0
	v_and_b32_e32 v2, v2, v3
	v_cmp_gt_i32_e64 s12, 0, v49
	v_not_b32_e32 v3, v50
	v_ashrrev_i32_e32 v6, 31, v6
	v_xor_b32_e32 v5, s11, v5
	v_and_b32_e32 v2, v2, v4
	v_cmp_gt_i32_e64 s11, 0, v50
	v_not_b32_e32 v4, v0
	v_ashrrev_i32_e32 v3, 31, v3
	v_xor_b32_e32 v6, s12, v6
	v_and_b32_e32 v2, v2, v5
	v_cmp_gt_i32_e64 s12, 0, v0
	v_ashrrev_i32_e32 v0, 31, v4
	v_xor_b32_e32 v3, s11, v3
	v_add_lshl_u32 v1, v1, v33, 2
	v_and_b32_e32 v2, v2, v6
	s_delay_alu instid0(VALU_DEP_4) | instskip(SKIP_3) | instid1(VALU_DEP_2)
	v_xor_b32_e32 v0, s12, v0
	ds_load_b32 v49, v1 offset:40
	v_and_b32_e32 v2, v2, v3
	v_add_nc_u32_e32 v51, 40, v1
	; wave barrier
	v_and_b32_e32 v0, v2, v0
	s_delay_alu instid0(VALU_DEP_1) | instskip(SKIP_1) | instid1(VALU_DEP_2)
	v_mbcnt_lo_u32_b32 v50, v0, 0
	v_cmp_ne_u32_e64 s12, 0, v0
	v_cmp_eq_u32_e64 s11, 0, v50
	s_delay_alu instid0(VALU_DEP_1) | instskip(NEXT) | instid1(SALU_CYCLE_1)
	s_and_b32 s12, s11, s12
	s_and_saveexec_b32 s11, s12
	s_cbranch_execz .LBB375_12
; %bb.11:                               ;   in Loop: Header=BB375_4 Depth=2
	s_waitcnt lgkmcnt(0)
	v_bcnt_u32_b32 v0, v0, v49
	ds_store_b32 v51, v0
.LBB375_12:                             ;   in Loop: Header=BB375_4 Depth=2
	s_or_b32 exec_lo, exec_lo, s11
	v_lshrrev_b32_e32 v0, s27, v36
	v_lshrrev_b32_e32 v1, s24, v37
	; wave barrier
	s_delay_alu instid0(VALU_DEP_1) | instskip(NEXT) | instid1(VALU_DEP_1)
	v_and_b32_e32 v1, s25, v1
	v_dual_cndmask_b32 v1, 0, v1 :: v_dual_and_b32 v0, s28, v0
	s_delay_alu instid0(VALU_DEP_1) | instskip(NEXT) | instid1(VALU_DEP_1)
	v_lshlrev_b32_e32 v0, s26, v0
	v_cndmask_b32_e64 v0, 0, v0, s10
	s_delay_alu instid0(VALU_DEP_1) | instskip(NEXT) | instid1(VALU_DEP_1)
	v_or_b32_e32 v0, v1, v0
	v_and_b32_e32 v2, 1, v0
	v_lshlrev_b32_e32 v3, 30, v0
	v_lshlrev_b32_e32 v4, 29, v0
	;; [unrolled: 1-line block ×4, first 2 shown]
	v_add_co_u32 v2, s11, v2, -1
	s_delay_alu instid0(VALU_DEP_1)
	v_cndmask_b32_e64 v6, 0, 1, s11
	v_not_b32_e32 v54, v3
	v_cmp_gt_i32_e64 s12, 0, v3
	v_not_b32_e32 v3, v4
	v_lshlrev_b32_e32 v52, 26, v0
	v_cmp_ne_u32_e64 s11, 0, v6
	v_ashrrev_i32_e32 v6, 31, v54
	v_lshlrev_b32_e32 v53, 25, v0
	v_ashrrev_i32_e32 v3, 31, v3
	v_mul_lo_u32 v1, v0, 10
	v_xor_b32_e32 v2, s11, v2
	v_cmp_gt_i32_e64 s11, 0, v4
	v_not_b32_e32 v4, v5
	v_xor_b32_e32 v6, s12, v6
	v_cmp_gt_i32_e64 s12, 0, v5
	v_and_b32_e32 v2, exec_lo, v2
	v_not_b32_e32 v5, v7
	v_ashrrev_i32_e32 v4, 31, v4
	v_xor_b32_e32 v3, s11, v3
	v_cmp_gt_i32_e64 s11, 0, v7
	v_and_b32_e32 v2, v2, v6
	v_not_b32_e32 v6, v52
	v_ashrrev_i32_e32 v5, 31, v5
	v_xor_b32_e32 v4, s12, v4
	v_lshlrev_b32_e32 v0, 24, v0
	v_and_b32_e32 v2, v2, v3
	v_cmp_gt_i32_e64 s12, 0, v52
	v_not_b32_e32 v3, v53
	v_ashrrev_i32_e32 v6, 31, v6
	v_xor_b32_e32 v5, s11, v5
	v_and_b32_e32 v2, v2, v4
	v_cmp_gt_i32_e64 s11, 0, v53
	v_not_b32_e32 v4, v0
	v_ashrrev_i32_e32 v3, 31, v3
	v_xor_b32_e32 v6, s12, v6
	v_and_b32_e32 v2, v2, v5
	v_cmp_gt_i32_e64 s12, 0, v0
	v_ashrrev_i32_e32 v0, 31, v4
	v_xor_b32_e32 v3, s11, v3
	v_add_lshl_u32 v1, v1, v33, 2
	v_and_b32_e32 v2, v2, v6
	s_delay_alu instid0(VALU_DEP_4) | instskip(SKIP_3) | instid1(VALU_DEP_2)
	v_xor_b32_e32 v0, s12, v0
	ds_load_b32 v52, v1 offset:40
	v_and_b32_e32 v2, v2, v3
	v_add_nc_u32_e32 v54, 40, v1
	; wave barrier
	v_and_b32_e32 v0, v2, v0
	s_delay_alu instid0(VALU_DEP_1) | instskip(SKIP_1) | instid1(VALU_DEP_2)
	v_mbcnt_lo_u32_b32 v53, v0, 0
	v_cmp_ne_u32_e64 s12, 0, v0
	v_cmp_eq_u32_e64 s11, 0, v53
	s_delay_alu instid0(VALU_DEP_1) | instskip(NEXT) | instid1(SALU_CYCLE_1)
	s_and_b32 s12, s11, s12
	s_and_saveexec_b32 s11, s12
	s_cbranch_execz .LBB375_14
; %bb.13:                               ;   in Loop: Header=BB375_4 Depth=2
	s_waitcnt lgkmcnt(0)
	v_bcnt_u32_b32 v0, v0, v52
	ds_store_b32 v54, v0
.LBB375_14:                             ;   in Loop: Header=BB375_4 Depth=2
	s_or_b32 exec_lo, exec_lo, s11
	v_lshrrev_b32_e32 v0, s27, v34
	v_lshrrev_b32_e32 v1, s24, v35
	; wave barrier
	s_delay_alu instid0(VALU_DEP_1) | instskip(NEXT) | instid1(VALU_DEP_1)
	v_and_b32_e32 v1, s25, v1
	v_dual_cndmask_b32 v1, 0, v1 :: v_dual_and_b32 v0, s28, v0
	s_delay_alu instid0(VALU_DEP_1) | instskip(NEXT) | instid1(VALU_DEP_1)
	v_lshlrev_b32_e32 v0, s26, v0
	v_cndmask_b32_e64 v0, 0, v0, s10
	s_delay_alu instid0(VALU_DEP_1) | instskip(NEXT) | instid1(VALU_DEP_1)
	v_or_b32_e32 v0, v1, v0
	v_and_b32_e32 v2, 1, v0
	v_lshlrev_b32_e32 v3, 30, v0
	v_lshlrev_b32_e32 v4, 29, v0
	;; [unrolled: 1-line block ×4, first 2 shown]
	v_add_co_u32 v2, s11, v2, -1
	s_delay_alu instid0(VALU_DEP_1)
	v_cndmask_b32_e64 v6, 0, 1, s11
	v_not_b32_e32 v57, v3
	v_cmp_gt_i32_e64 s12, 0, v3
	v_not_b32_e32 v3, v4
	v_lshlrev_b32_e32 v55, 26, v0
	v_cmp_ne_u32_e64 s11, 0, v6
	v_ashrrev_i32_e32 v6, 31, v57
	v_lshlrev_b32_e32 v56, 25, v0
	v_ashrrev_i32_e32 v3, 31, v3
	v_mul_lo_u32 v1, v0, 10
	v_xor_b32_e32 v2, s11, v2
	v_cmp_gt_i32_e64 s11, 0, v4
	v_not_b32_e32 v4, v5
	v_xor_b32_e32 v6, s12, v6
	v_cmp_gt_i32_e64 s12, 0, v5
	v_and_b32_e32 v2, exec_lo, v2
	v_not_b32_e32 v5, v7
	v_ashrrev_i32_e32 v4, 31, v4
	v_xor_b32_e32 v3, s11, v3
	v_cmp_gt_i32_e64 s11, 0, v7
	v_and_b32_e32 v2, v2, v6
	v_not_b32_e32 v6, v55
	v_ashrrev_i32_e32 v5, 31, v5
	v_xor_b32_e32 v4, s12, v4
	v_lshlrev_b32_e32 v0, 24, v0
	v_and_b32_e32 v2, v2, v3
	v_cmp_gt_i32_e64 s12, 0, v55
	v_not_b32_e32 v3, v56
	v_ashrrev_i32_e32 v6, 31, v6
	v_xor_b32_e32 v5, s11, v5
	v_and_b32_e32 v2, v2, v4
	v_cmp_gt_i32_e64 s11, 0, v56
	v_not_b32_e32 v4, v0
	v_ashrrev_i32_e32 v3, 31, v3
	v_xor_b32_e32 v6, s12, v6
	v_and_b32_e32 v2, v2, v5
	v_cmp_gt_i32_e64 s12, 0, v0
	v_ashrrev_i32_e32 v0, 31, v4
	v_xor_b32_e32 v3, s11, v3
	v_add_lshl_u32 v1, v1, v33, 2
	v_and_b32_e32 v2, v2, v6
	s_delay_alu instid0(VALU_DEP_4) | instskip(SKIP_3) | instid1(VALU_DEP_2)
	v_xor_b32_e32 v0, s12, v0
	ds_load_b32 v55, v1 offset:40
	v_and_b32_e32 v2, v2, v3
	v_add_nc_u32_e32 v57, 40, v1
	; wave barrier
	v_and_b32_e32 v0, v2, v0
	s_delay_alu instid0(VALU_DEP_1) | instskip(SKIP_1) | instid1(VALU_DEP_2)
	v_mbcnt_lo_u32_b32 v56, v0, 0
	v_cmp_ne_u32_e64 s12, 0, v0
	v_cmp_eq_u32_e64 s11, 0, v56
	s_delay_alu instid0(VALU_DEP_1) | instskip(NEXT) | instid1(SALU_CYCLE_1)
	s_and_b32 s12, s11, s12
	s_and_saveexec_b32 s11, s12
	s_cbranch_execz .LBB375_16
; %bb.15:                               ;   in Loop: Header=BB375_4 Depth=2
	s_waitcnt lgkmcnt(0)
	v_bcnt_u32_b32 v0, v0, v55
	ds_store_b32 v57, v0
.LBB375_16:                             ;   in Loop: Header=BB375_4 Depth=2
	s_or_b32 exec_lo, exec_lo, s11
	v_lshrrev_b32_e32 v0, s27, v30
	v_lshrrev_b32_e32 v1, s24, v31
	; wave barrier
	s_delay_alu instid0(VALU_DEP_1) | instskip(NEXT) | instid1(VALU_DEP_1)
	v_and_b32_e32 v1, s25, v1
	v_dual_cndmask_b32 v1, 0, v1 :: v_dual_and_b32 v0, s28, v0
	s_delay_alu instid0(VALU_DEP_1) | instskip(NEXT) | instid1(VALU_DEP_1)
	v_lshlrev_b32_e32 v0, s26, v0
	v_cndmask_b32_e64 v0, 0, v0, s10
	s_delay_alu instid0(VALU_DEP_1) | instskip(NEXT) | instid1(VALU_DEP_1)
	v_or_b32_e32 v0, v1, v0
	v_and_b32_e32 v2, 1, v0
	v_lshlrev_b32_e32 v3, 30, v0
	v_lshlrev_b32_e32 v4, 29, v0
	;; [unrolled: 1-line block ×4, first 2 shown]
	v_add_co_u32 v2, s11, v2, -1
	s_delay_alu instid0(VALU_DEP_1)
	v_cndmask_b32_e64 v6, 0, 1, s11
	v_not_b32_e32 v60, v3
	v_cmp_gt_i32_e64 s12, 0, v3
	v_not_b32_e32 v3, v4
	v_lshlrev_b32_e32 v58, 26, v0
	v_cmp_ne_u32_e64 s11, 0, v6
	v_ashrrev_i32_e32 v6, 31, v60
	v_lshlrev_b32_e32 v59, 25, v0
	v_ashrrev_i32_e32 v3, 31, v3
	v_mul_lo_u32 v1, v0, 10
	v_xor_b32_e32 v2, s11, v2
	v_cmp_gt_i32_e64 s11, 0, v4
	v_not_b32_e32 v4, v5
	v_xor_b32_e32 v6, s12, v6
	v_cmp_gt_i32_e64 s12, 0, v5
	v_and_b32_e32 v2, exec_lo, v2
	v_not_b32_e32 v5, v7
	v_ashrrev_i32_e32 v4, 31, v4
	v_xor_b32_e32 v3, s11, v3
	v_cmp_gt_i32_e64 s11, 0, v7
	v_and_b32_e32 v2, v2, v6
	v_not_b32_e32 v6, v58
	v_ashrrev_i32_e32 v5, 31, v5
	v_xor_b32_e32 v4, s12, v4
	v_lshlrev_b32_e32 v0, 24, v0
	v_and_b32_e32 v2, v2, v3
	v_cmp_gt_i32_e64 s12, 0, v58
	v_not_b32_e32 v3, v59
	v_ashrrev_i32_e32 v6, 31, v6
	v_xor_b32_e32 v5, s11, v5
	v_and_b32_e32 v2, v2, v4
	v_cmp_gt_i32_e64 s11, 0, v59
	v_not_b32_e32 v4, v0
	v_ashrrev_i32_e32 v3, 31, v3
	v_xor_b32_e32 v6, s12, v6
	v_and_b32_e32 v2, v2, v5
	v_cmp_gt_i32_e64 s12, 0, v0
	v_ashrrev_i32_e32 v0, 31, v4
	v_xor_b32_e32 v3, s11, v3
	v_add_lshl_u32 v1, v1, v33, 2
	v_and_b32_e32 v2, v2, v6
	s_delay_alu instid0(VALU_DEP_4) | instskip(SKIP_3) | instid1(VALU_DEP_2)
	v_xor_b32_e32 v0, s12, v0
	ds_load_b32 v58, v1 offset:40
	v_and_b32_e32 v2, v2, v3
	v_add_nc_u32_e32 v60, 40, v1
	; wave barrier
	v_and_b32_e32 v0, v2, v0
	s_delay_alu instid0(VALU_DEP_1) | instskip(SKIP_1) | instid1(VALU_DEP_2)
	v_mbcnt_lo_u32_b32 v59, v0, 0
	v_cmp_ne_u32_e64 s12, 0, v0
	v_cmp_eq_u32_e64 s11, 0, v59
	s_delay_alu instid0(VALU_DEP_1) | instskip(NEXT) | instid1(SALU_CYCLE_1)
	s_and_b32 s12, s11, s12
	s_and_saveexec_b32 s11, s12
	s_cbranch_execz .LBB375_18
; %bb.17:                               ;   in Loop: Header=BB375_4 Depth=2
	s_waitcnt lgkmcnt(0)
	v_bcnt_u32_b32 v0, v0, v58
	ds_store_b32 v60, v0
.LBB375_18:                             ;   in Loop: Header=BB375_4 Depth=2
	s_or_b32 exec_lo, exec_lo, s11
	v_lshrrev_b32_e32 v0, s27, v28
	v_lshrrev_b32_e32 v1, s24, v29
	; wave barrier
	s_delay_alu instid0(VALU_DEP_1) | instskip(NEXT) | instid1(VALU_DEP_1)
	v_and_b32_e32 v1, s25, v1
	v_dual_cndmask_b32 v1, 0, v1 :: v_dual_and_b32 v0, s28, v0
	s_delay_alu instid0(VALU_DEP_1) | instskip(NEXT) | instid1(VALU_DEP_1)
	v_lshlrev_b32_e32 v0, s26, v0
	v_cndmask_b32_e64 v0, 0, v0, s10
	s_delay_alu instid0(VALU_DEP_1) | instskip(NEXT) | instid1(VALU_DEP_1)
	v_or_b32_e32 v0, v1, v0
	v_and_b32_e32 v2, 1, v0
	v_lshlrev_b32_e32 v3, 30, v0
	v_lshlrev_b32_e32 v4, 29, v0
	;; [unrolled: 1-line block ×4, first 2 shown]
	v_add_co_u32 v2, s10, v2, -1
	s_delay_alu instid0(VALU_DEP_1)
	v_cndmask_b32_e64 v6, 0, 1, s10
	v_not_b32_e32 v63, v3
	v_cmp_gt_i32_e64 s10, 0, v3
	v_not_b32_e32 v3, v4
	v_lshlrev_b32_e32 v61, 26, v0
	v_cmp_ne_u32_e32 vcc_lo, 0, v6
	v_ashrrev_i32_e32 v6, 31, v63
	v_lshlrev_b32_e32 v62, 25, v0
	v_ashrrev_i32_e32 v3, 31, v3
	v_mul_lo_u32 v1, v0, 10
	v_xor_b32_e32 v2, vcc_lo, v2
	v_cmp_gt_i32_e32 vcc_lo, 0, v4
	v_not_b32_e32 v4, v5
	v_xor_b32_e32 v6, s10, v6
	v_cmp_gt_i32_e64 s10, 0, v5
	v_and_b32_e32 v2, exec_lo, v2
	v_not_b32_e32 v5, v7
	v_ashrrev_i32_e32 v4, 31, v4
	v_xor_b32_e32 v3, vcc_lo, v3
	v_cmp_gt_i32_e32 vcc_lo, 0, v7
	v_and_b32_e32 v2, v2, v6
	v_not_b32_e32 v6, v61
	v_ashrrev_i32_e32 v5, 31, v5
	v_xor_b32_e32 v4, s10, v4
	v_lshlrev_b32_e32 v0, 24, v0
	v_and_b32_e32 v2, v2, v3
	v_cmp_gt_i32_e64 s10, 0, v61
	v_not_b32_e32 v3, v62
	v_ashrrev_i32_e32 v6, 31, v6
	v_xor_b32_e32 v5, vcc_lo, v5
	v_and_b32_e32 v2, v2, v4
	v_cmp_gt_i32_e32 vcc_lo, 0, v62
	v_not_b32_e32 v4, v0
	v_ashrrev_i32_e32 v3, 31, v3
	v_xor_b32_e32 v6, s10, v6
	v_and_b32_e32 v2, v2, v5
	v_cmp_gt_i32_e64 s10, 0, v0
	v_ashrrev_i32_e32 v0, 31, v4
	v_xor_b32_e32 v3, vcc_lo, v3
	v_add_lshl_u32 v1, v1, v33, 2
	v_and_b32_e32 v2, v2, v6
	s_delay_alu instid0(VALU_DEP_4) | instskip(SKIP_3) | instid1(VALU_DEP_2)
	v_xor_b32_e32 v0, s10, v0
	ds_load_b32 v61, v1 offset:40
	v_and_b32_e32 v2, v2, v3
	v_add_nc_u32_e32 v63, 40, v1
	; wave barrier
	v_and_b32_e32 v0, v2, v0
	s_delay_alu instid0(VALU_DEP_1) | instskip(SKIP_1) | instid1(VALU_DEP_2)
	v_mbcnt_lo_u32_b32 v62, v0, 0
	v_cmp_ne_u32_e64 s10, 0, v0
	v_cmp_eq_u32_e32 vcc_lo, 0, v62
	s_delay_alu instid0(VALU_DEP_2) | instskip(NEXT) | instid1(SALU_CYCLE_1)
	s_and_b32 s11, vcc_lo, s10
	s_and_saveexec_b32 s10, s11
	s_cbranch_execz .LBB375_20
; %bb.19:                               ;   in Loop: Header=BB375_4 Depth=2
	s_waitcnt lgkmcnt(0)
	v_bcnt_u32_b32 v0, v0, v61
	ds_store_b32 v63, v0
.LBB375_20:                             ;   in Loop: Header=BB375_4 Depth=2
	s_or_b32 exec_lo, exec_lo, s10
	; wave barrier
	s_waitcnt lgkmcnt(0)
	s_barrier
	buffer_gl0_inv
	ds_load_2addr_b64 v[4:7], v67 offset0:5 offset1:6
	ds_load_2addr_b64 v[0:3], v68 offset0:2 offset1:3
	s_waitcnt lgkmcnt(1)
	v_add_nc_u32_e32 v64, v5, v4
	s_delay_alu instid0(VALU_DEP_1) | instskip(SKIP_1) | instid1(VALU_DEP_1)
	v_add3_u32 v64, v64, v6, v7
	s_waitcnt lgkmcnt(0)
	v_add3_u32 v64, v64, v0, v1
	s_delay_alu instid0(VALU_DEP_1) | instskip(NEXT) | instid1(VALU_DEP_1)
	v_add3_u32 v3, v64, v2, v3
	v_mov_b32_dpp v64, v3 row_shr:1 row_mask:0xf bank_mask:0xf
	s_delay_alu instid0(VALU_DEP_1) | instskip(NEXT) | instid1(VALU_DEP_1)
	v_cndmask_b32_e64 v64, v64, 0, s1
	v_add_nc_u32_e32 v3, v64, v3
	s_delay_alu instid0(VALU_DEP_1) | instskip(NEXT) | instid1(VALU_DEP_1)
	v_mov_b32_dpp v64, v3 row_shr:2 row_mask:0xf bank_mask:0xf
	v_cndmask_b32_e64 v64, 0, v64, s2
	s_delay_alu instid0(VALU_DEP_1) | instskip(NEXT) | instid1(VALU_DEP_1)
	v_add_nc_u32_e32 v3, v3, v64
	v_mov_b32_dpp v64, v3 row_shr:4 row_mask:0xf bank_mask:0xf
	s_delay_alu instid0(VALU_DEP_1) | instskip(NEXT) | instid1(VALU_DEP_1)
	v_cndmask_b32_e64 v64, 0, v64, s3
	v_add_nc_u32_e32 v3, v3, v64
	s_delay_alu instid0(VALU_DEP_1) | instskip(NEXT) | instid1(VALU_DEP_1)
	v_mov_b32_dpp v64, v3 row_shr:8 row_mask:0xf bank_mask:0xf
	v_cndmask_b32_e64 v64, 0, v64, s4
	s_delay_alu instid0(VALU_DEP_1) | instskip(SKIP_3) | instid1(VALU_DEP_1)
	v_add_nc_u32_e32 v3, v3, v64
	ds_swizzle_b32 v64, v3 offset:swizzle(BROADCAST,32,15)
	s_waitcnt lgkmcnt(0)
	v_cndmask_b32_e64 v64, v64, 0, s5
	v_add_nc_u32_e32 v3, v3, v64
	s_and_saveexec_b32 s10, s9
	s_cbranch_execz .LBB375_22
; %bb.21:                               ;   in Loop: Header=BB375_4 Depth=2
	ds_store_b32 v70, v3
.LBB375_22:                             ;   in Loop: Header=BB375_4 Depth=2
	s_or_b32 exec_lo, exec_lo, s10
	s_waitcnt lgkmcnt(0)
	s_barrier
	buffer_gl0_inv
	s_and_saveexec_b32 s10, s6
	s_cbranch_execz .LBB375_24
; %bb.23:                               ;   in Loop: Header=BB375_4 Depth=2
	ds_load_b32 v64, v71
	s_waitcnt lgkmcnt(0)
	v_mov_b32_dpp v65, v64 row_shr:1 row_mask:0xf bank_mask:0xf
	s_delay_alu instid0(VALU_DEP_1) | instskip(NEXT) | instid1(VALU_DEP_1)
	v_cndmask_b32_e64 v65, v65, 0, s1
	v_add_nc_u32_e32 v64, v65, v64
	s_delay_alu instid0(VALU_DEP_1) | instskip(NEXT) | instid1(VALU_DEP_1)
	v_mov_b32_dpp v65, v64 row_shr:2 row_mask:0xf bank_mask:0xf
	v_cndmask_b32_e64 v65, 0, v65, s2
	s_delay_alu instid0(VALU_DEP_1) | instskip(NEXT) | instid1(VALU_DEP_1)
	v_add_nc_u32_e32 v64, v64, v65
	v_mov_b32_dpp v65, v64 row_shr:4 row_mask:0xf bank_mask:0xf
	s_delay_alu instid0(VALU_DEP_1) | instskip(NEXT) | instid1(VALU_DEP_1)
	v_cndmask_b32_e64 v65, 0, v65, s3
	v_add_nc_u32_e32 v64, v64, v65
	s_delay_alu instid0(VALU_DEP_1) | instskip(NEXT) | instid1(VALU_DEP_1)
	v_mov_b32_dpp v65, v64 row_shr:8 row_mask:0xf bank_mask:0xf
	v_cndmask_b32_e64 v65, 0, v65, s4
	s_delay_alu instid0(VALU_DEP_1)
	v_add_nc_u32_e32 v64, v64, v65
	ds_store_b32 v71, v64
.LBB375_24:                             ;   in Loop: Header=BB375_4 Depth=2
	s_or_b32 exec_lo, exec_lo, s10
	v_mov_b32_e32 v64, 0
	s_waitcnt lgkmcnt(0)
	s_barrier
	buffer_gl0_inv
	s_and_saveexec_b32 s10, s7
	s_cbranch_execz .LBB375_26
; %bb.25:                               ;   in Loop: Header=BB375_4 Depth=2
	ds_load_b32 v64, v72
.LBB375_26:                             ;   in Loop: Header=BB375_4 Depth=2
	s_or_b32 exec_lo, exec_lo, s10
	s_waitcnt lgkmcnt(0)
	v_add_nc_u32_e32 v3, v64, v3
	s_cmp_gt_u32 s24, 55
	ds_bpermute_b32 v3, v69, v3
	s_waitcnt lgkmcnt(0)
	v_cndmask_b32_e64 v3, v3, v64, s0
	s_delay_alu instid0(VALU_DEP_1) | instskip(NEXT) | instid1(VALU_DEP_1)
	v_cndmask_b32_e64 v3, v3, 0, s8
	v_add_nc_u32_e32 v4, v3, v4
	s_delay_alu instid0(VALU_DEP_1) | instskip(NEXT) | instid1(VALU_DEP_1)
	v_add_nc_u32_e32 v5, v4, v5
	v_add_nc_u32_e32 v6, v5, v6
	s_delay_alu instid0(VALU_DEP_1) | instskip(NEXT) | instid1(VALU_DEP_1)
	v_add_nc_u32_e32 v64, v6, v7
	;; [unrolled: 3-line block ×3, first 2 shown]
	v_add_nc_u32_e32 v1, v0, v2
	ds_store_2addr_b64 v67, v[3:4], v[5:6] offset0:5 offset1:6
	ds_store_2addr_b64 v68, v[64:65], v[0:1] offset0:2 offset1:3
	s_waitcnt lgkmcnt(0)
	s_barrier
	buffer_gl0_inv
	ds_load_b32 v0, v42
	ds_load_b32 v1, v45
	ds_load_b32 v2, v48
	ds_load_b32 v3, v51
	ds_load_b32 v4, v54
	ds_load_b32 v5, v57
	ds_load_b32 v6, v60
	ds_load_b32 v7, v63
	s_waitcnt lgkmcnt(0)
	v_add_nc_u32_e32 v89, v0, v32
	v_add3_u32 v88, v44, v43, v1
	v_add3_u32 v87, v47, v46, v2
	v_add3_u32 v86, v50, v49, v3
	v_add3_u32 v85, v53, v52, v4
	v_add3_u32 v84, v56, v55, v5
	v_add3_u32 v83, v59, v58, v6
	v_add3_u32 v32, v62, v61, v7
	s_cbranch_scc0 .LBB375_3
; %bb.27:                               ;   in Loop: Header=BB375_2 Depth=1
                                        ; implicit-def: $sgpr24
                                        ; implicit-def: $vgpr52_vgpr53
                                        ; implicit-def: $vgpr54_vgpr55
                                        ; implicit-def: $vgpr56_vgpr57
                                        ; implicit-def: $vgpr58_vgpr59
                                        ; implicit-def: $vgpr60_vgpr61
                                        ; implicit-def: $vgpr62_vgpr63
                                        ; implicit-def: $vgpr64_vgpr65
                                        ; implicit-def: $vgpr48_vgpr49
                                        ; implicit-def: $vgpr50_vgpr51
                                        ; implicit-def: $vgpr0_vgpr1
                                        ; implicit-def: $vgpr2_vgpr3
                                        ; implicit-def: $vgpr6_vgpr7
                                        ; implicit-def: $vgpr4_vgpr5
                                        ; implicit-def: $vgpr42_vgpr43
                                        ; implicit-def: $vgpr44_vgpr45
                                        ; implicit-def: $vgpr46_vgpr47
                                        ; implicit-def: $sgpr23
                                        ; implicit-def: $sgpr22
	s_branch .LBB375_1
.LBB375_28:
	s_add_u32 s0, s18, s14
	s_waitcnt lgkmcnt(1)
	v_add_nc_u32_e32 v15, v15, v23
	s_addc_u32 s1, s19, s15
	v_add_co_u32 v23, s2, s0, v66
	v_add_nc_u32_e32 v16, v16, v24
	v_add_co_ci_u32_e64 v24, null, s1, 0, s2
	s_waitcnt lgkmcnt(0)
	v_add_nc_u32_e32 v0, v1, v17
	v_add_co_u32 v17, vcc_lo, 0x1000, v23
	v_add_nc_u32_e32 v1, v2, v18
	v_add_co_ci_u32_e32 v18, vcc_lo, 0, v24, vcc_lo
	v_add_nc_u32_e32 v2, v3, v19
	v_add_co_u32 v19, vcc_lo, 0x2000, v23
	v_add_nc_u32_e32 v3, v4, v20
	v_add_co_ci_u32_e32 v20, vcc_lo, 0, v24, vcc_lo
	v_add_nc_u32_e32 v5, v5, v29
	v_add_nc_u32_e32 v6, v6, v30
	;; [unrolled: 1-line block ×3, first 2 shown]
	v_add_co_u32 v21, vcc_lo, 0x3000, v23
	v_add_nc_u32_e32 v7, v7, v31
	v_add_nc_u32_e32 v8, v8, v32
	;; [unrolled: 1-line block ×5, first 2 shown]
	v_add_co_ci_u32_e32 v22, vcc_lo, 0, v24, vcc_lo
	v_add_nc_u32_e32 v11, v11, v27
	v_add_nc_u32_e32 v12, v12, v28
	v_add_co_u32 v23, vcc_lo, 0x4000, v23
	v_add_co_ci_u32_e32 v24, vcc_lo, 0, v24, vcc_lo
	s_clause 0x7
	global_store_b64 v66, v[5:6], s[0:1]
	global_store_b64 v66, v[7:8], s[0:1] offset:2560
	global_store_b64 v[17:18], v[9:10], off offset:1024
	global_store_b64 v[17:18], v[11:12], off offset:3584
	global_store_b64 v[19:20], v[13:14], off offset:2048
	global_store_b64 v[21:22], v[15:16], off offset:512
	global_store_b64 v[21:22], v[0:1], off offset:3072
	global_store_b64 v[23:24], v[2:3], off offset:1536
	s_nop 0
	s_sendmsg sendmsg(MSG_DEALLOC_VGPRS)
	s_endpgm
	.section	.rodata,"a",@progbits
	.p2align	6, 0x0
	.amdhsa_kernel _Z17sort_pairs_kernelI22helper_blocked_stripedN15benchmark_utils11custom_typeIiiEELj320ELj8ELj10EEvPKT0_PS4_
		.amdhsa_group_segment_fixed_size 21120
		.amdhsa_private_segment_fixed_size 0
		.amdhsa_kernarg_size 272
		.amdhsa_user_sgpr_count 15
		.amdhsa_user_sgpr_dispatch_ptr 0
		.amdhsa_user_sgpr_queue_ptr 0
		.amdhsa_user_sgpr_kernarg_segment_ptr 1
		.amdhsa_user_sgpr_dispatch_id 0
		.amdhsa_user_sgpr_private_segment_size 0
		.amdhsa_wavefront_size32 1
		.amdhsa_uses_dynamic_stack 0
		.amdhsa_enable_private_segment 0
		.amdhsa_system_sgpr_workgroup_id_x 1
		.amdhsa_system_sgpr_workgroup_id_y 0
		.amdhsa_system_sgpr_workgroup_id_z 0
		.amdhsa_system_sgpr_workgroup_info 0
		.amdhsa_system_vgpr_workitem_id 2
		.amdhsa_next_free_vgpr 90
		.amdhsa_next_free_sgpr 29
		.amdhsa_reserve_vcc 1
		.amdhsa_float_round_mode_32 0
		.amdhsa_float_round_mode_16_64 0
		.amdhsa_float_denorm_mode_32 3
		.amdhsa_float_denorm_mode_16_64 3
		.amdhsa_dx10_clamp 1
		.amdhsa_ieee_mode 1
		.amdhsa_fp16_overflow 0
		.amdhsa_workgroup_processor_mode 1
		.amdhsa_memory_ordered 1
		.amdhsa_forward_progress 0
		.amdhsa_shared_vgpr_count 0
		.amdhsa_exception_fp_ieee_invalid_op 0
		.amdhsa_exception_fp_denorm_src 0
		.amdhsa_exception_fp_ieee_div_zero 0
		.amdhsa_exception_fp_ieee_overflow 0
		.amdhsa_exception_fp_ieee_underflow 0
		.amdhsa_exception_fp_ieee_inexact 0
		.amdhsa_exception_int_div_zero 0
	.end_amdhsa_kernel
	.section	.text._Z17sort_pairs_kernelI22helper_blocked_stripedN15benchmark_utils11custom_typeIiiEELj320ELj8ELj10EEvPKT0_PS4_,"axG",@progbits,_Z17sort_pairs_kernelI22helper_blocked_stripedN15benchmark_utils11custom_typeIiiEELj320ELj8ELj10EEvPKT0_PS4_,comdat
.Lfunc_end375:
	.size	_Z17sort_pairs_kernelI22helper_blocked_stripedN15benchmark_utils11custom_typeIiiEELj320ELj8ELj10EEvPKT0_PS4_, .Lfunc_end375-_Z17sort_pairs_kernelI22helper_blocked_stripedN15benchmark_utils11custom_typeIiiEELj320ELj8ELj10EEvPKT0_PS4_
                                        ; -- End function
	.section	.AMDGPU.csdata,"",@progbits
; Kernel info:
; codeLenInByte = 6112
; NumSgprs: 31
; NumVgprs: 90
; ScratchSize: 0
; MemoryBound: 0
; FloatMode: 240
; IeeeMode: 1
; LDSByteSize: 21120 bytes/workgroup (compile time only)
; SGPRBlocks: 3
; VGPRBlocks: 11
; NumSGPRsForWavesPerEU: 31
; NumVGPRsForWavesPerEU: 90
; Occupancy: 15
; WaveLimiterHint : 1
; COMPUTE_PGM_RSRC2:SCRATCH_EN: 0
; COMPUTE_PGM_RSRC2:USER_SGPR: 15
; COMPUTE_PGM_RSRC2:TRAP_HANDLER: 0
; COMPUTE_PGM_RSRC2:TGID_X_EN: 1
; COMPUTE_PGM_RSRC2:TGID_Y_EN: 0
; COMPUTE_PGM_RSRC2:TGID_Z_EN: 0
; COMPUTE_PGM_RSRC2:TIDIG_COMP_CNT: 2
	.section	.text._Z16sort_keys_kernelI22helper_blocked_stripedN15benchmark_utils11custom_typeIiiEELj512ELj1ELj10EEvPKT0_PS4_,"axG",@progbits,_Z16sort_keys_kernelI22helper_blocked_stripedN15benchmark_utils11custom_typeIiiEELj512ELj1ELj10EEvPKT0_PS4_,comdat
	.protected	_Z16sort_keys_kernelI22helper_blocked_stripedN15benchmark_utils11custom_typeIiiEELj512ELj1ELj10EEvPKT0_PS4_ ; -- Begin function _Z16sort_keys_kernelI22helper_blocked_stripedN15benchmark_utils11custom_typeIiiEELj512ELj1ELj10EEvPKT0_PS4_
	.globl	_Z16sort_keys_kernelI22helper_blocked_stripedN15benchmark_utils11custom_typeIiiEELj512ELj1ELj10EEvPKT0_PS4_
	.p2align	8
	.type	_Z16sort_keys_kernelI22helper_blocked_stripedN15benchmark_utils11custom_typeIiiEELj512ELj1ELj10EEvPKT0_PS4_,@function
_Z16sort_keys_kernelI22helper_blocked_stripedN15benchmark_utils11custom_typeIiiEELj512ELj1ELj10EEvPKT0_PS4_: ; @_Z16sort_keys_kernelI22helper_blocked_stripedN15benchmark_utils11custom_typeIiiEELj512ELj1ELj10EEvPKT0_PS4_
; %bb.0:
	s_clause 0x1
	s_load_b128 s[16:19], s[0:1], 0x0
	s_load_b32 s8, s[0:1], 0x1c
	s_mov_b32 s21, 0
	s_lshl_b32 s20, s15, 9
	s_mov_b32 s14, s21
	s_mov_b32 s15, s21
	v_dual_mov_b32 v9, s14 :: v_dual_and_b32 v8, 0x3ff, v0
	s_lshl_b64 s[12:13], s[20:21], 3
	v_mov_b32_e32 v10, s15
	v_mbcnt_lo_u32_b32 v5, -1, 0
	s_delay_alu instid0(VALU_DEP_3)
	v_lshlrev_b32_e32 v1, 3, v8
	v_bfe_u32 v3, v0, 10, 10
	v_bfe_u32 v0, v0, 20, 10
	s_mov_b32 s20, s21
	v_and_b32_e32 v6, 16, v5
	v_add_nc_u32_e32 v7, -1, v5
	v_dual_mov_b32 v11, s20 :: v_dual_and_b32 v4, 15, v5
	v_mov_b32_e32 v12, s21
	s_waitcnt lgkmcnt(0)
	s_add_u32 s0, s16, s12
	s_addc_u32 s1, s17, s13
	s_lshr_b32 s9, s8, 16
	global_load_b64 v[1:2], v1, s[0:1]
	v_mad_u32_u24 v0, v0, s9, v3
	v_lshlrev_b32_e32 v15, 5, v8
	v_cmp_eq_u32_e64 s4, 0, v6
	v_and_b32_e32 v6, 0x1e0, v8
	v_cmp_gt_i32_e64 s7, 0, v7
	v_lshrrev_b32_e32 v13, 3, v8
	s_and_b32 s8, s8, 0xffff
	v_cmp_eq_u32_e64 s0, 0, v4
	v_cmp_lt_u32_e64 s1, 1, v4
	v_cmp_lt_u32_e64 s2, 3, v4
	v_cmp_lt_u32_e64 s3, 7, v4
	v_mad_u64_u32 v[3:4], null, v0, s8, v[8:9]
	v_cndmask_b32_e64 v7, v7, v5, s7
	v_lshlrev_b32_e32 v23, 2, v8
	v_or_b32_e32 v14, 31, v6
	v_and_b32_e32 v17, 60, v13
	v_or_b32_e32 v0, v5, v6
	v_mad_i32_i24 v19, 0xffffffe4, v8, v15
	v_cmp_eq_u32_e32 vcc_lo, 0, v5
	v_cmp_gt_u32_e64 s5, 16, v8
	v_cmp_lt_u32_e64 s6, 31, v8
	v_cmp_eq_u32_e64 s7, 0, v8
	v_add_nc_u32_e32 v16, 64, v15
	v_lshlrev_b32_e32 v18, 2, v7
	v_cmp_eq_u32_e64 s8, v14, v8
	v_add_nc_u32_e32 v20, -4, v17
	v_lshlrev_b32_e32 v21, 3, v0
	v_lshrrev_b32_e32 v22, 5, v3
	v_add_nc_u32_e32 v23, v19, v23
	s_mov_b32 s16, 10
	s_waitcnt vmcnt(0)
	v_xor_b32_e32 v13, 0x80000000, v1
	v_xor_b32_e32 v14, 0x80000000, v2
	s_branch .LBB376_2
.LBB376_1:                              ;   in Loop: Header=BB376_2 Depth=1
	s_or_b32 exec_lo, exec_lo, s9
	s_waitcnt lgkmcnt(0)
	v_add_nc_u32_e32 v3, v26, v3
	s_add_i32 s16, s16, -1
	s_delay_alu instid0(SALU_CYCLE_1) | instskip(SKIP_3) | instid1(VALU_DEP_1)
	s_cmp_eq_u32 s16, 0
	ds_bpermute_b32 v3, v18, v3
	s_waitcnt lgkmcnt(0)
	v_cndmask_b32_e32 v3, v3, v26, vcc_lo
	v_cndmask_b32_e64 v3, v3, 0, s7
	s_delay_alu instid0(VALU_DEP_1) | instskip(NEXT) | instid1(VALU_DEP_1)
	v_add_nc_u32_e32 v4, v3, v4
	v_add_nc_u32_e32 v5, v4, v5
	s_delay_alu instid0(VALU_DEP_1) | instskip(NEXT) | instid1(VALU_DEP_1)
	v_add_nc_u32_e32 v6, v5, v6
	v_add_nc_u32_e32 v26, v6, v7
	;; [unrolled: 3-line block ×3, first 2 shown]
	s_delay_alu instid0(VALU_DEP_1)
	v_add_nc_u32_e32 v1, v0, v2
	ds_store_2addr_b64 v15, v[3:4], v[5:6] offset0:8 offset1:9
	ds_store_2addr_b64 v16, v[26:27], v[0:1] offset0:2 offset1:3
	s_waitcnt lgkmcnt(0)
	s_barrier
	buffer_gl0_inv
	ds_load_b32 v0, v25
	v_lshlrev_b32_e32 v1, 3, v24
	s_waitcnt lgkmcnt(0)
	s_barrier
	buffer_gl0_inv
	v_lshl_add_u32 v0, v0, 3, v1
	ds_store_b64 v0, v[13:14]
	s_waitcnt lgkmcnt(0)
	s_barrier
	buffer_gl0_inv
	ds_load_b64 v[13:14], v23
	s_cbranch_scc1 .LBB376_66
.LBB376_2:                              ; =>This Inner Loop Header: Depth=1
	s_waitcnt lgkmcnt(0)
	s_delay_alu instid0(VALU_DEP_1)
	v_and_b32_e32 v0, 1, v14
	v_lshlrev_b32_e32 v1, 30, v14
	v_lshlrev_b32_e32 v2, 29, v14
	;; [unrolled: 1-line block ×4, first 2 shown]
	v_add_co_u32 v0, s9, v0, -1
	s_delay_alu instid0(VALU_DEP_1)
	v_cndmask_b32_e64 v3, 0, 1, s9
	v_not_b32_e32 v7, v1
	v_cmp_gt_i32_e64 s10, 0, v1
	v_not_b32_e32 v1, v2
	v_lshlrev_b32_e32 v6, 26, v14
	v_cmp_ne_u32_e64 s9, 0, v3
	v_ashrrev_i32_e32 v7, 31, v7
	v_lshlrev_b32_e32 v3, 25, v14
	v_ashrrev_i32_e32 v1, 31, v1
	v_cmp_gt_i32_e64 s11, 0, v5
	v_xor_b32_e32 v0, s9, v0
	v_cmp_gt_i32_e64 s9, 0, v2
	v_not_b32_e32 v2, v4
	v_xor_b32_e32 v7, s10, v7
	v_cmp_gt_i32_e64 s10, 0, v4
	v_and_b32_e32 v0, exec_lo, v0
	v_xor_b32_e32 v1, s9, v1
	v_ashrrev_i32_e32 v2, 31, v2
	v_not_b32_e32 v4, v5
	v_not_b32_e32 v5, v6
	v_and_b32_e32 v0, v0, v7
	v_cmp_gt_i32_e64 s9, 0, v6
	v_xor_b32_e32 v2, s10, v2
	v_not_b32_e32 v6, v3
	ds_store_2addr_b64 v15, v[11:12], v[9:10] offset0:8 offset1:9
	ds_store_2addr_b64 v16, v[11:12], v[9:10] offset0:2 offset1:3
	v_and_b32_e32 v0, v0, v1
	v_ashrrev_i32_e32 v1, 31, v4
	v_ashrrev_i32_e32 v4, 31, v5
	v_lshlrev_b32_e32 v5, 24, v14
	s_waitcnt lgkmcnt(0)
	v_and_b32_e32 v0, v0, v2
	v_xor_b32_e32 v1, s11, v1
	v_xor_b32_e32 v2, s9, v4
	v_cmp_gt_i32_e64 s9, 0, v3
	v_not_b32_e32 v3, v5
	v_ashrrev_i32_e32 v4, 31, v6
	v_and_b32_e32 v0, v0, v1
	v_cmp_gt_i32_e64 s10, 0, v5
	s_barrier
	v_ashrrev_i32_e32 v1, 31, v3
	v_xor_b32_e32 v3, s9, v4
	v_and_b32_e32 v0, v0, v2
	buffer_gl0_inv
	v_xor_b32_e32 v1, s10, v1
	; wave barrier
	v_and_b32_e32 v0, v0, v3
	s_delay_alu instid0(VALU_DEP_1) | instskip(SKIP_1) | instid1(VALU_DEP_2)
	v_and_b32_e32 v0, v0, v1
	v_and_b32_e32 v1, 0xff, v14
	v_mbcnt_lo_u32_b32 v24, v0, 0
	s_delay_alu instid0(VALU_DEP_2) | instskip(SKIP_1) | instid1(VALU_DEP_3)
	v_lshl_add_u32 v1, v1, 4, v22
	v_cmp_ne_u32_e64 s10, 0, v0
	v_cmp_eq_u32_e64 s9, 0, v24
	s_delay_alu instid0(VALU_DEP_3) | instskip(NEXT) | instid1(VALU_DEP_2)
	v_lshl_add_u32 v25, v1, 2, 64
	s_and_b32 s10, s10, s9
	s_delay_alu instid0(SALU_CYCLE_1)
	s_and_saveexec_b32 s9, s10
	s_cbranch_execz .LBB376_4
; %bb.3:                                ;   in Loop: Header=BB376_2 Depth=1
	v_bcnt_u32_b32 v0, v0, 0
	ds_store_b32 v25, v0
.LBB376_4:                              ;   in Loop: Header=BB376_2 Depth=1
	s_or_b32 exec_lo, exec_lo, s9
	; wave barrier
	s_waitcnt lgkmcnt(0)
	s_barrier
	buffer_gl0_inv
	ds_load_2addr_b64 v[4:7], v15 offset0:8 offset1:9
	ds_load_2addr_b64 v[0:3], v16 offset0:2 offset1:3
	s_waitcnt lgkmcnt(1)
	v_add_nc_u32_e32 v26, v5, v4
	s_delay_alu instid0(VALU_DEP_1) | instskip(SKIP_1) | instid1(VALU_DEP_1)
	v_add3_u32 v26, v26, v6, v7
	s_waitcnt lgkmcnt(0)
	v_add3_u32 v26, v26, v0, v1
	s_delay_alu instid0(VALU_DEP_1) | instskip(NEXT) | instid1(VALU_DEP_1)
	v_add3_u32 v3, v26, v2, v3
	v_mov_b32_dpp v26, v3 row_shr:1 row_mask:0xf bank_mask:0xf
	s_delay_alu instid0(VALU_DEP_1) | instskip(NEXT) | instid1(VALU_DEP_1)
	v_cndmask_b32_e64 v26, v26, 0, s0
	v_add_nc_u32_e32 v3, v26, v3
	s_delay_alu instid0(VALU_DEP_1) | instskip(NEXT) | instid1(VALU_DEP_1)
	v_mov_b32_dpp v26, v3 row_shr:2 row_mask:0xf bank_mask:0xf
	v_cndmask_b32_e64 v26, 0, v26, s1
	s_delay_alu instid0(VALU_DEP_1) | instskip(NEXT) | instid1(VALU_DEP_1)
	v_add_nc_u32_e32 v3, v3, v26
	v_mov_b32_dpp v26, v3 row_shr:4 row_mask:0xf bank_mask:0xf
	s_delay_alu instid0(VALU_DEP_1) | instskip(NEXT) | instid1(VALU_DEP_1)
	v_cndmask_b32_e64 v26, 0, v26, s2
	v_add_nc_u32_e32 v3, v3, v26
	s_delay_alu instid0(VALU_DEP_1) | instskip(NEXT) | instid1(VALU_DEP_1)
	v_mov_b32_dpp v26, v3 row_shr:8 row_mask:0xf bank_mask:0xf
	v_cndmask_b32_e64 v26, 0, v26, s3
	s_delay_alu instid0(VALU_DEP_1) | instskip(SKIP_3) | instid1(VALU_DEP_1)
	v_add_nc_u32_e32 v3, v3, v26
	ds_swizzle_b32 v26, v3 offset:swizzle(BROADCAST,32,15)
	s_waitcnt lgkmcnt(0)
	v_cndmask_b32_e64 v26, v26, 0, s4
	v_add_nc_u32_e32 v3, v3, v26
	s_and_saveexec_b32 s9, s8
	s_cbranch_execz .LBB376_6
; %bb.5:                                ;   in Loop: Header=BB376_2 Depth=1
	ds_store_b32 v17, v3
.LBB376_6:                              ;   in Loop: Header=BB376_2 Depth=1
	s_or_b32 exec_lo, exec_lo, s9
	s_waitcnt lgkmcnt(0)
	s_barrier
	buffer_gl0_inv
	s_and_saveexec_b32 s9, s5
	s_cbranch_execz .LBB376_8
; %bb.7:                                ;   in Loop: Header=BB376_2 Depth=1
	ds_load_b32 v26, v19
	s_waitcnt lgkmcnt(0)
	v_mov_b32_dpp v27, v26 row_shr:1 row_mask:0xf bank_mask:0xf
	s_delay_alu instid0(VALU_DEP_1) | instskip(NEXT) | instid1(VALU_DEP_1)
	v_cndmask_b32_e64 v27, v27, 0, s0
	v_add_nc_u32_e32 v26, v27, v26
	s_delay_alu instid0(VALU_DEP_1) | instskip(NEXT) | instid1(VALU_DEP_1)
	v_mov_b32_dpp v27, v26 row_shr:2 row_mask:0xf bank_mask:0xf
	v_cndmask_b32_e64 v27, 0, v27, s1
	s_delay_alu instid0(VALU_DEP_1) | instskip(NEXT) | instid1(VALU_DEP_1)
	v_add_nc_u32_e32 v26, v26, v27
	v_mov_b32_dpp v27, v26 row_shr:4 row_mask:0xf bank_mask:0xf
	s_delay_alu instid0(VALU_DEP_1) | instskip(NEXT) | instid1(VALU_DEP_1)
	v_cndmask_b32_e64 v27, 0, v27, s2
	v_add_nc_u32_e32 v26, v26, v27
	s_delay_alu instid0(VALU_DEP_1) | instskip(NEXT) | instid1(VALU_DEP_1)
	v_mov_b32_dpp v27, v26 row_shr:8 row_mask:0xf bank_mask:0xf
	v_cndmask_b32_e64 v27, 0, v27, s3
	s_delay_alu instid0(VALU_DEP_1)
	v_add_nc_u32_e32 v26, v26, v27
	ds_store_b32 v19, v26
.LBB376_8:                              ;   in Loop: Header=BB376_2 Depth=1
	s_or_b32 exec_lo, exec_lo, s9
	v_mov_b32_e32 v26, 0
	s_waitcnt lgkmcnt(0)
	s_barrier
	buffer_gl0_inv
	s_and_saveexec_b32 s9, s6
	s_cbranch_execz .LBB376_10
; %bb.9:                                ;   in Loop: Header=BB376_2 Depth=1
	ds_load_b32 v26, v20
.LBB376_10:                             ;   in Loop: Header=BB376_2 Depth=1
	s_or_b32 exec_lo, exec_lo, s9
	s_waitcnt lgkmcnt(0)
	v_add_nc_u32_e32 v3, v26, v3
	ds_bpermute_b32 v3, v18, v3
	s_waitcnt lgkmcnt(0)
	v_cndmask_b32_e32 v3, v3, v26, vcc_lo
	s_delay_alu instid0(VALU_DEP_1) | instskip(NEXT) | instid1(VALU_DEP_1)
	v_cndmask_b32_e64 v3, v3, 0, s7
	v_add_nc_u32_e32 v4, v3, v4
	s_delay_alu instid0(VALU_DEP_1) | instskip(NEXT) | instid1(VALU_DEP_1)
	v_add_nc_u32_e32 v5, v4, v5
	v_add_nc_u32_e32 v6, v5, v6
	s_delay_alu instid0(VALU_DEP_1) | instskip(NEXT) | instid1(VALU_DEP_1)
	v_add_nc_u32_e32 v26, v6, v7
	;; [unrolled: 3-line block ×3, first 2 shown]
	v_add_nc_u32_e32 v1, v0, v2
	ds_store_2addr_b64 v15, v[3:4], v[5:6] offset0:8 offset1:9
	ds_store_2addr_b64 v16, v[26:27], v[0:1] offset0:2 offset1:3
	s_waitcnt lgkmcnt(0)
	s_barrier
	buffer_gl0_inv
	ds_load_b32 v0, v25
	v_lshlrev_b32_e32 v1, 3, v24
	s_waitcnt lgkmcnt(0)
	s_barrier
	buffer_gl0_inv
	v_lshl_add_u32 v0, v0, 3, v1
	ds_store_b64 v0, v[13:14]
	s_waitcnt lgkmcnt(0)
	s_barrier
	buffer_gl0_inv
	ds_load_b64 v[13:14], v21
	s_waitcnt lgkmcnt(0)
	s_barrier
	buffer_gl0_inv
	ds_store_2addr_b64 v15, v[11:12], v[9:10] offset0:8 offset1:9
	ds_store_2addr_b64 v16, v[11:12], v[9:10] offset0:2 offset1:3
	s_waitcnt lgkmcnt(0)
	s_barrier
	buffer_gl0_inv
	; wave barrier
	v_bfe_u32 v0, v14, 8, 1
	v_lshrrev_b32_e32 v1, 8, v14
	s_delay_alu instid0(VALU_DEP_2) | instskip(NEXT) | instid1(VALU_DEP_1)
	v_add_co_u32 v0, s9, v0, -1
	v_cndmask_b32_e64 v2, 0, 1, s9
	s_delay_alu instid0(VALU_DEP_3)
	v_lshlrev_b32_e32 v3, 30, v1
	v_lshlrev_b32_e32 v4, 29, v1
	;; [unrolled: 1-line block ×4, first 2 shown]
	v_cmp_ne_u32_e64 s9, 0, v2
	v_not_b32_e32 v2, v3
	v_cmp_gt_i32_e64 s10, 0, v3
	v_not_b32_e32 v3, v4
	v_lshlrev_b32_e32 v7, 26, v1
	v_xor_b32_e32 v0, s9, v0
	v_ashrrev_i32_e32 v2, 31, v2
	v_cmp_gt_i32_e64 s9, 0, v4
	v_not_b32_e32 v4, v5
	v_ashrrev_i32_e32 v3, 31, v3
	v_and_b32_e32 v0, exec_lo, v0
	v_xor_b32_e32 v2, s10, v2
	v_cmp_gt_i32_e64 s10, 0, v5
	v_not_b32_e32 v5, v6
	v_ashrrev_i32_e32 v4, 31, v4
	v_xor_b32_e32 v3, s9, v3
	v_and_b32_e32 v0, v0, v2
	v_lshlrev_b32_e32 v24, 25, v1
	v_cmp_gt_i32_e64 s9, 0, v6
	v_not_b32_e32 v2, v7
	v_ashrrev_i32_e32 v5, 31, v5
	v_xor_b32_e32 v4, s10, v4
	v_and_b32_e32 v0, v0, v3
	v_lshlrev_b32_e32 v1, 24, v1
	v_cmp_gt_i32_e64 s10, 0, v7
	v_not_b32_e32 v3, v24
	v_ashrrev_i32_e32 v2, 31, v2
	v_xor_b32_e32 v5, s9, v5
	v_and_b32_e32 v0, v0, v4
	v_cmp_gt_i32_e64 s9, 0, v24
	v_not_b32_e32 v4, v1
	v_ashrrev_i32_e32 v3, 31, v3
	v_xor_b32_e32 v2, s10, v2
	v_and_b32_e32 v0, v0, v5
	v_cmp_gt_i32_e64 s10, 0, v1
	v_ashrrev_i32_e32 v1, 31, v4
	v_xor_b32_e32 v3, s9, v3
	s_delay_alu instid0(VALU_DEP_4) | instskip(SKIP_1) | instid1(VALU_DEP_4)
	v_and_b32_e32 v0, v0, v2
	v_lshrrev_b32_e32 v2, 4, v14
	v_xor_b32_e32 v1, s10, v1
	s_delay_alu instid0(VALU_DEP_3) | instskip(NEXT) | instid1(VALU_DEP_1)
	v_and_b32_e32 v0, v0, v3
	v_and_b32_e32 v0, v0, v1
	s_delay_alu instid0(VALU_DEP_4) | instskip(NEXT) | instid1(VALU_DEP_2)
	v_and_b32_e32 v1, 0xff0, v2
	v_mbcnt_lo_u32_b32 v24, v0, 0
	s_delay_alu instid0(VALU_DEP_2) | instskip(SKIP_1) | instid1(VALU_DEP_3)
	v_add_nc_u32_e32 v1, v1, v22
	v_cmp_ne_u32_e64 s10, 0, v0
	v_cmp_eq_u32_e64 s9, 0, v24
	s_delay_alu instid0(VALU_DEP_3) | instskip(NEXT) | instid1(VALU_DEP_2)
	v_lshl_add_u32 v25, v1, 2, 64
	s_and_b32 s10, s10, s9
	s_delay_alu instid0(SALU_CYCLE_1)
	s_and_saveexec_b32 s9, s10
	s_cbranch_execz .LBB376_12
; %bb.11:                               ;   in Loop: Header=BB376_2 Depth=1
	v_bcnt_u32_b32 v0, v0, 0
	ds_store_b32 v25, v0
.LBB376_12:                             ;   in Loop: Header=BB376_2 Depth=1
	s_or_b32 exec_lo, exec_lo, s9
	; wave barrier
	s_waitcnt lgkmcnt(0)
	s_barrier
	buffer_gl0_inv
	ds_load_2addr_b64 v[4:7], v15 offset0:8 offset1:9
	ds_load_2addr_b64 v[0:3], v16 offset0:2 offset1:3
	s_waitcnt lgkmcnt(1)
	v_add_nc_u32_e32 v26, v5, v4
	s_delay_alu instid0(VALU_DEP_1) | instskip(SKIP_1) | instid1(VALU_DEP_1)
	v_add3_u32 v26, v26, v6, v7
	s_waitcnt lgkmcnt(0)
	v_add3_u32 v26, v26, v0, v1
	s_delay_alu instid0(VALU_DEP_1) | instskip(NEXT) | instid1(VALU_DEP_1)
	v_add3_u32 v3, v26, v2, v3
	v_mov_b32_dpp v26, v3 row_shr:1 row_mask:0xf bank_mask:0xf
	s_delay_alu instid0(VALU_DEP_1) | instskip(NEXT) | instid1(VALU_DEP_1)
	v_cndmask_b32_e64 v26, v26, 0, s0
	v_add_nc_u32_e32 v3, v26, v3
	s_delay_alu instid0(VALU_DEP_1) | instskip(NEXT) | instid1(VALU_DEP_1)
	v_mov_b32_dpp v26, v3 row_shr:2 row_mask:0xf bank_mask:0xf
	v_cndmask_b32_e64 v26, 0, v26, s1
	s_delay_alu instid0(VALU_DEP_1) | instskip(NEXT) | instid1(VALU_DEP_1)
	v_add_nc_u32_e32 v3, v3, v26
	v_mov_b32_dpp v26, v3 row_shr:4 row_mask:0xf bank_mask:0xf
	s_delay_alu instid0(VALU_DEP_1) | instskip(NEXT) | instid1(VALU_DEP_1)
	v_cndmask_b32_e64 v26, 0, v26, s2
	v_add_nc_u32_e32 v3, v3, v26
	s_delay_alu instid0(VALU_DEP_1) | instskip(NEXT) | instid1(VALU_DEP_1)
	v_mov_b32_dpp v26, v3 row_shr:8 row_mask:0xf bank_mask:0xf
	v_cndmask_b32_e64 v26, 0, v26, s3
	s_delay_alu instid0(VALU_DEP_1) | instskip(SKIP_3) | instid1(VALU_DEP_1)
	v_add_nc_u32_e32 v3, v3, v26
	ds_swizzle_b32 v26, v3 offset:swizzle(BROADCAST,32,15)
	s_waitcnt lgkmcnt(0)
	v_cndmask_b32_e64 v26, v26, 0, s4
	v_add_nc_u32_e32 v3, v3, v26
	s_and_saveexec_b32 s9, s8
	s_cbranch_execz .LBB376_14
; %bb.13:                               ;   in Loop: Header=BB376_2 Depth=1
	ds_store_b32 v17, v3
.LBB376_14:                             ;   in Loop: Header=BB376_2 Depth=1
	s_or_b32 exec_lo, exec_lo, s9
	s_waitcnt lgkmcnt(0)
	s_barrier
	buffer_gl0_inv
	s_and_saveexec_b32 s9, s5
	s_cbranch_execz .LBB376_16
; %bb.15:                               ;   in Loop: Header=BB376_2 Depth=1
	ds_load_b32 v26, v19
	s_waitcnt lgkmcnt(0)
	v_mov_b32_dpp v27, v26 row_shr:1 row_mask:0xf bank_mask:0xf
	s_delay_alu instid0(VALU_DEP_1) | instskip(NEXT) | instid1(VALU_DEP_1)
	v_cndmask_b32_e64 v27, v27, 0, s0
	v_add_nc_u32_e32 v26, v27, v26
	s_delay_alu instid0(VALU_DEP_1) | instskip(NEXT) | instid1(VALU_DEP_1)
	v_mov_b32_dpp v27, v26 row_shr:2 row_mask:0xf bank_mask:0xf
	v_cndmask_b32_e64 v27, 0, v27, s1
	s_delay_alu instid0(VALU_DEP_1) | instskip(NEXT) | instid1(VALU_DEP_1)
	v_add_nc_u32_e32 v26, v26, v27
	v_mov_b32_dpp v27, v26 row_shr:4 row_mask:0xf bank_mask:0xf
	s_delay_alu instid0(VALU_DEP_1) | instskip(NEXT) | instid1(VALU_DEP_1)
	v_cndmask_b32_e64 v27, 0, v27, s2
	v_add_nc_u32_e32 v26, v26, v27
	s_delay_alu instid0(VALU_DEP_1) | instskip(NEXT) | instid1(VALU_DEP_1)
	v_mov_b32_dpp v27, v26 row_shr:8 row_mask:0xf bank_mask:0xf
	v_cndmask_b32_e64 v27, 0, v27, s3
	s_delay_alu instid0(VALU_DEP_1)
	v_add_nc_u32_e32 v26, v26, v27
	ds_store_b32 v19, v26
.LBB376_16:                             ;   in Loop: Header=BB376_2 Depth=1
	s_or_b32 exec_lo, exec_lo, s9
	v_mov_b32_e32 v26, 0
	s_waitcnt lgkmcnt(0)
	s_barrier
	buffer_gl0_inv
	s_and_saveexec_b32 s9, s6
	s_cbranch_execz .LBB376_18
; %bb.17:                               ;   in Loop: Header=BB376_2 Depth=1
	ds_load_b32 v26, v20
.LBB376_18:                             ;   in Loop: Header=BB376_2 Depth=1
	s_or_b32 exec_lo, exec_lo, s9
	s_waitcnt lgkmcnt(0)
	v_add_nc_u32_e32 v3, v26, v3
	ds_bpermute_b32 v3, v18, v3
	s_waitcnt lgkmcnt(0)
	v_cndmask_b32_e32 v3, v3, v26, vcc_lo
	s_delay_alu instid0(VALU_DEP_1) | instskip(NEXT) | instid1(VALU_DEP_1)
	v_cndmask_b32_e64 v3, v3, 0, s7
	v_add_nc_u32_e32 v4, v3, v4
	s_delay_alu instid0(VALU_DEP_1) | instskip(NEXT) | instid1(VALU_DEP_1)
	v_add_nc_u32_e32 v5, v4, v5
	v_add_nc_u32_e32 v6, v5, v6
	s_delay_alu instid0(VALU_DEP_1) | instskip(NEXT) | instid1(VALU_DEP_1)
	v_add_nc_u32_e32 v26, v6, v7
	;; [unrolled: 3-line block ×3, first 2 shown]
	v_add_nc_u32_e32 v1, v0, v2
	ds_store_2addr_b64 v15, v[3:4], v[5:6] offset0:8 offset1:9
	ds_store_2addr_b64 v16, v[26:27], v[0:1] offset0:2 offset1:3
	s_waitcnt lgkmcnt(0)
	s_barrier
	buffer_gl0_inv
	ds_load_b32 v0, v25
	v_lshlrev_b32_e32 v1, 3, v24
	s_waitcnt lgkmcnt(0)
	s_barrier
	buffer_gl0_inv
	v_lshl_add_u32 v0, v0, 3, v1
	ds_store_b64 v0, v[13:14]
	s_waitcnt lgkmcnt(0)
	s_barrier
	buffer_gl0_inv
	ds_load_b64 v[13:14], v21
	s_waitcnt lgkmcnt(0)
	s_barrier
	buffer_gl0_inv
	v_bfe_u32 v0, v14, 16, 1
	v_lshrrev_b32_e32 v1, 16, v14
	s_delay_alu instid0(VALU_DEP_2) | instskip(NEXT) | instid1(VALU_DEP_1)
	v_add_co_u32 v0, s9, v0, -1
	v_cndmask_b32_e64 v2, 0, 1, s9
	s_delay_alu instid0(VALU_DEP_3)
	v_lshlrev_b32_e32 v3, 30, v1
	v_lshlrev_b32_e32 v4, 29, v1
	v_lshlrev_b32_e32 v5, 28, v1
	v_lshlrev_b32_e32 v6, 27, v1
	v_cmp_ne_u32_e64 s9, 0, v2
	v_not_b32_e32 v2, v3
	v_cmp_gt_i32_e64 s10, 0, v3
	v_not_b32_e32 v3, v4
	v_lshlrev_b32_e32 v7, 26, v1
	v_xor_b32_e32 v0, s9, v0
	v_ashrrev_i32_e32 v2, 31, v2
	v_cmp_gt_i32_e64 s9, 0, v4
	v_not_b32_e32 v4, v5
	v_ashrrev_i32_e32 v3, 31, v3
	v_and_b32_e32 v0, exec_lo, v0
	v_xor_b32_e32 v2, s10, v2
	v_cmp_gt_i32_e64 s10, 0, v5
	v_not_b32_e32 v5, v6
	v_ashrrev_i32_e32 v4, 31, v4
	v_xor_b32_e32 v3, s9, v3
	v_and_b32_e32 v0, v0, v2
	v_lshlrev_b32_e32 v24, 25, v1
	v_cmp_gt_i32_e64 s9, 0, v6
	v_not_b32_e32 v2, v7
	v_ashrrev_i32_e32 v5, 31, v5
	v_xor_b32_e32 v4, s10, v4
	v_and_b32_e32 v0, v0, v3
	v_lshlrev_b32_e32 v1, 24, v1
	v_cmp_gt_i32_e64 s10, 0, v7
	v_not_b32_e32 v3, v24
	v_ashrrev_i32_e32 v2, 31, v2
	v_xor_b32_e32 v5, s9, v5
	v_and_b32_e32 v0, v0, v4
	v_cmp_gt_i32_e64 s9, 0, v24
	v_not_b32_e32 v4, v1
	v_ashrrev_i32_e32 v3, 31, v3
	v_xor_b32_e32 v2, s10, v2
	v_and_b32_e32 v0, v0, v5
	v_cmp_gt_i32_e64 s10, 0, v1
	v_ashrrev_i32_e32 v1, 31, v4
	v_xor_b32_e32 v3, s9, v3
	v_lshrrev_b32_e32 v6, 12, v14
	v_and_b32_e32 v0, v0, v2
	s_delay_alu instid0(VALU_DEP_4) | instskip(SKIP_1) | instid1(VALU_DEP_3)
	v_xor_b32_e32 v5, s10, v1
	v_dual_mov_b32 v1, s20 :: v_dual_mov_b32 v2, s21
	v_dual_mov_b32 v3, s14 :: v_dual_and_b32 v0, v0, v3
	v_mov_b32_e32 v4, s15
	ds_store_2addr_b64 v15, v[1:2], v[3:4] offset0:8 offset1:9
	ds_store_2addr_b64 v16, v[1:2], v[3:4] offset0:2 offset1:3
	v_and_b32_e32 v0, v0, v5
	v_and_b32_e32 v5, 0xff0, v6
	s_waitcnt lgkmcnt(0)
	s_barrier
	buffer_gl0_inv
	v_mbcnt_lo_u32_b32 v24, v0, 0
	v_add_nc_u32_e32 v1, v5, v22
	v_cmp_ne_u32_e64 s10, 0, v0
	; wave barrier
	s_delay_alu instid0(VALU_DEP_3) | instskip(NEXT) | instid1(VALU_DEP_3)
	v_cmp_eq_u32_e64 s9, 0, v24
	v_lshl_add_u32 v25, v1, 2, 64
	s_delay_alu instid0(VALU_DEP_2) | instskip(NEXT) | instid1(SALU_CYCLE_1)
	s_and_b32 s10, s10, s9
	s_and_saveexec_b32 s9, s10
	s_cbranch_execz .LBB376_20
; %bb.19:                               ;   in Loop: Header=BB376_2 Depth=1
	v_bcnt_u32_b32 v0, v0, 0
	ds_store_b32 v25, v0
.LBB376_20:                             ;   in Loop: Header=BB376_2 Depth=1
	s_or_b32 exec_lo, exec_lo, s9
	; wave barrier
	s_waitcnt lgkmcnt(0)
	s_barrier
	buffer_gl0_inv
	ds_load_2addr_b64 v[4:7], v15 offset0:8 offset1:9
	ds_load_2addr_b64 v[0:3], v16 offset0:2 offset1:3
	s_waitcnt lgkmcnt(1)
	v_add_nc_u32_e32 v26, v5, v4
	s_delay_alu instid0(VALU_DEP_1) | instskip(SKIP_1) | instid1(VALU_DEP_1)
	v_add3_u32 v26, v26, v6, v7
	s_waitcnt lgkmcnt(0)
	v_add3_u32 v26, v26, v0, v1
	s_delay_alu instid0(VALU_DEP_1) | instskip(NEXT) | instid1(VALU_DEP_1)
	v_add3_u32 v3, v26, v2, v3
	v_mov_b32_dpp v26, v3 row_shr:1 row_mask:0xf bank_mask:0xf
	s_delay_alu instid0(VALU_DEP_1) | instskip(NEXT) | instid1(VALU_DEP_1)
	v_cndmask_b32_e64 v26, v26, 0, s0
	v_add_nc_u32_e32 v3, v26, v3
	s_delay_alu instid0(VALU_DEP_1) | instskip(NEXT) | instid1(VALU_DEP_1)
	v_mov_b32_dpp v26, v3 row_shr:2 row_mask:0xf bank_mask:0xf
	v_cndmask_b32_e64 v26, 0, v26, s1
	s_delay_alu instid0(VALU_DEP_1) | instskip(NEXT) | instid1(VALU_DEP_1)
	v_add_nc_u32_e32 v3, v3, v26
	v_mov_b32_dpp v26, v3 row_shr:4 row_mask:0xf bank_mask:0xf
	s_delay_alu instid0(VALU_DEP_1) | instskip(NEXT) | instid1(VALU_DEP_1)
	v_cndmask_b32_e64 v26, 0, v26, s2
	v_add_nc_u32_e32 v3, v3, v26
	s_delay_alu instid0(VALU_DEP_1) | instskip(NEXT) | instid1(VALU_DEP_1)
	v_mov_b32_dpp v26, v3 row_shr:8 row_mask:0xf bank_mask:0xf
	v_cndmask_b32_e64 v26, 0, v26, s3
	s_delay_alu instid0(VALU_DEP_1) | instskip(SKIP_3) | instid1(VALU_DEP_1)
	v_add_nc_u32_e32 v3, v3, v26
	ds_swizzle_b32 v26, v3 offset:swizzle(BROADCAST,32,15)
	s_waitcnt lgkmcnt(0)
	v_cndmask_b32_e64 v26, v26, 0, s4
	v_add_nc_u32_e32 v3, v3, v26
	s_and_saveexec_b32 s9, s8
	s_cbranch_execz .LBB376_22
; %bb.21:                               ;   in Loop: Header=BB376_2 Depth=1
	ds_store_b32 v17, v3
.LBB376_22:                             ;   in Loop: Header=BB376_2 Depth=1
	s_or_b32 exec_lo, exec_lo, s9
	s_waitcnt lgkmcnt(0)
	s_barrier
	buffer_gl0_inv
	s_and_saveexec_b32 s9, s5
	s_cbranch_execz .LBB376_24
; %bb.23:                               ;   in Loop: Header=BB376_2 Depth=1
	ds_load_b32 v26, v19
	s_waitcnt lgkmcnt(0)
	v_mov_b32_dpp v27, v26 row_shr:1 row_mask:0xf bank_mask:0xf
	s_delay_alu instid0(VALU_DEP_1) | instskip(NEXT) | instid1(VALU_DEP_1)
	v_cndmask_b32_e64 v27, v27, 0, s0
	v_add_nc_u32_e32 v26, v27, v26
	s_delay_alu instid0(VALU_DEP_1) | instskip(NEXT) | instid1(VALU_DEP_1)
	v_mov_b32_dpp v27, v26 row_shr:2 row_mask:0xf bank_mask:0xf
	v_cndmask_b32_e64 v27, 0, v27, s1
	s_delay_alu instid0(VALU_DEP_1) | instskip(NEXT) | instid1(VALU_DEP_1)
	v_add_nc_u32_e32 v26, v26, v27
	v_mov_b32_dpp v27, v26 row_shr:4 row_mask:0xf bank_mask:0xf
	s_delay_alu instid0(VALU_DEP_1) | instskip(NEXT) | instid1(VALU_DEP_1)
	v_cndmask_b32_e64 v27, 0, v27, s2
	v_add_nc_u32_e32 v26, v26, v27
	s_delay_alu instid0(VALU_DEP_1) | instskip(NEXT) | instid1(VALU_DEP_1)
	v_mov_b32_dpp v27, v26 row_shr:8 row_mask:0xf bank_mask:0xf
	v_cndmask_b32_e64 v27, 0, v27, s3
	s_delay_alu instid0(VALU_DEP_1)
	v_add_nc_u32_e32 v26, v26, v27
	ds_store_b32 v19, v26
.LBB376_24:                             ;   in Loop: Header=BB376_2 Depth=1
	s_or_b32 exec_lo, exec_lo, s9
	v_mov_b32_e32 v26, 0
	s_waitcnt lgkmcnt(0)
	s_barrier
	buffer_gl0_inv
	s_and_saveexec_b32 s9, s6
	s_cbranch_execz .LBB376_26
; %bb.25:                               ;   in Loop: Header=BB376_2 Depth=1
	ds_load_b32 v26, v20
.LBB376_26:                             ;   in Loop: Header=BB376_2 Depth=1
	s_or_b32 exec_lo, exec_lo, s9
	s_waitcnt lgkmcnt(0)
	v_add_nc_u32_e32 v3, v26, v3
	ds_bpermute_b32 v3, v18, v3
	s_waitcnt lgkmcnt(0)
	v_cndmask_b32_e32 v3, v3, v26, vcc_lo
	s_delay_alu instid0(VALU_DEP_1) | instskip(NEXT) | instid1(VALU_DEP_1)
	v_cndmask_b32_e64 v3, v3, 0, s7
	v_add_nc_u32_e32 v4, v3, v4
	s_delay_alu instid0(VALU_DEP_1) | instskip(NEXT) | instid1(VALU_DEP_1)
	v_add_nc_u32_e32 v5, v4, v5
	v_add_nc_u32_e32 v6, v5, v6
	s_delay_alu instid0(VALU_DEP_1) | instskip(NEXT) | instid1(VALU_DEP_1)
	v_add_nc_u32_e32 v26, v6, v7
	;; [unrolled: 3-line block ×3, first 2 shown]
	v_add_nc_u32_e32 v1, v0, v2
	ds_store_2addr_b64 v15, v[3:4], v[5:6] offset0:8 offset1:9
	ds_store_2addr_b64 v16, v[26:27], v[0:1] offset0:2 offset1:3
	s_waitcnt lgkmcnt(0)
	s_barrier
	buffer_gl0_inv
	ds_load_b32 v0, v25
	v_lshlrev_b32_e32 v1, 3, v24
	s_waitcnt lgkmcnt(0)
	s_barrier
	buffer_gl0_inv
	v_lshl_add_u32 v0, v0, 3, v1
	ds_store_b64 v0, v[13:14]
	s_waitcnt lgkmcnt(0)
	s_barrier
	buffer_gl0_inv
	ds_load_b64 v[13:14], v21
	s_waitcnt lgkmcnt(0)
	s_barrier
	buffer_gl0_inv
	v_bfe_u32 v0, v14, 24, 1
	v_lshrrev_b32_e32 v5, 24, v14
	s_delay_alu instid0(VALU_DEP_2) | instskip(NEXT) | instid1(VALU_DEP_1)
	v_add_co_u32 v0, s9, v0, -1
	v_cndmask_b32_e64 v1, 0, 1, s9
	s_delay_alu instid0(VALU_DEP_3)
	v_lshlrev_b32_e32 v2, 30, v5
	v_lshlrev_b32_e32 v3, 29, v5
	v_lshlrev_b32_e32 v4, 28, v5
	v_lshlrev_b32_e32 v6, 27, v5
	v_cmp_ne_u32_e64 s9, 0, v1
	v_not_b32_e32 v1, v2
	v_cmp_gt_i32_e64 s10, 0, v2
	v_not_b32_e32 v2, v3
	v_lshlrev_b32_e32 v7, 26, v5
	v_xor_b32_e32 v0, s9, v0
	v_ashrrev_i32_e32 v1, 31, v1
	v_cmp_gt_i32_e64 s9, 0, v3
	v_not_b32_e32 v3, v4
	v_ashrrev_i32_e32 v2, 31, v2
	v_and_b32_e32 v0, exec_lo, v0
	v_xor_b32_e32 v1, s10, v1
	v_cmp_gt_i32_e64 s10, 0, v4
	v_not_b32_e32 v4, v6
	v_ashrrev_i32_e32 v3, 31, v3
	v_xor_b32_e32 v2, s9, v2
	v_and_b32_e32 v0, v0, v1
	v_lshlrev_b32_e32 v24, 25, v5
	v_cmp_gt_i32_e64 s9, 0, v6
	v_not_b32_e32 v1, v7
	v_ashrrev_i32_e32 v4, 31, v4
	v_xor_b32_e32 v3, s10, v3
	v_and_b32_e32 v0, v0, v2
	v_cmp_gt_i32_e64 s10, 0, v7
	v_not_b32_e32 v2, v24
	v_ashrrev_i32_e32 v1, 31, v1
	v_xor_b32_e32 v4, s9, v4
	v_and_b32_e32 v0, v0, v3
	v_not_b32_e32 v3, v14
	v_cmp_gt_i32_e64 s9, 0, v24
	v_ashrrev_i32_e32 v2, 31, v2
	v_xor_b32_e32 v1, s10, v1
	v_and_b32_e32 v0, v0, v4
	v_cmp_gt_i32_e64 s10, 0, v14
	v_ashrrev_i32_e32 v3, 31, v3
	v_xor_b32_e32 v2, s9, v2
	s_delay_alu instid0(VALU_DEP_4) | instskip(NEXT) | instid1(VALU_DEP_3)
	v_and_b32_e32 v0, v0, v1
	v_xor_b32_e32 v3, s10, v3
	s_delay_alu instid0(VALU_DEP_2) | instskip(SKIP_1) | instid1(VALU_DEP_2)
	v_dual_mov_b32 v1, s20 :: v_dual_and_b32 v0, v0, v2
	v_mov_b32_e32 v2, s21
	v_dual_mov_b32 v3, s14 :: v_dual_and_b32 v0, v0, v3
	v_mov_b32_e32 v4, s15
	ds_store_2addr_b64 v15, v[1:2], v[3:4] offset0:8 offset1:9
	ds_store_2addr_b64 v16, v[1:2], v[3:4] offset0:2 offset1:3
	v_mbcnt_lo_u32_b32 v24, v0, 0
	v_lshl_add_u32 v1, v5, 4, v22
	v_cmp_ne_u32_e64 s10, 0, v0
	s_waitcnt lgkmcnt(0)
	s_barrier
	v_cmp_eq_u32_e64 s9, 0, v24
	v_lshl_add_u32 v25, v1, 2, 64
	buffer_gl0_inv
	; wave barrier
	s_and_b32 s10, s10, s9
	s_delay_alu instid0(SALU_CYCLE_1)
	s_and_saveexec_b32 s9, s10
	s_cbranch_execz .LBB376_28
; %bb.27:                               ;   in Loop: Header=BB376_2 Depth=1
	v_bcnt_u32_b32 v0, v0, 0
	ds_store_b32 v25, v0
.LBB376_28:                             ;   in Loop: Header=BB376_2 Depth=1
	s_or_b32 exec_lo, exec_lo, s9
	; wave barrier
	s_waitcnt lgkmcnt(0)
	s_barrier
	buffer_gl0_inv
	ds_load_2addr_b64 v[4:7], v15 offset0:8 offset1:9
	ds_load_2addr_b64 v[0:3], v16 offset0:2 offset1:3
	s_waitcnt lgkmcnt(1)
	v_add_nc_u32_e32 v26, v5, v4
	s_delay_alu instid0(VALU_DEP_1) | instskip(SKIP_1) | instid1(VALU_DEP_1)
	v_add3_u32 v26, v26, v6, v7
	s_waitcnt lgkmcnt(0)
	v_add3_u32 v26, v26, v0, v1
	s_delay_alu instid0(VALU_DEP_1) | instskip(NEXT) | instid1(VALU_DEP_1)
	v_add3_u32 v3, v26, v2, v3
	v_mov_b32_dpp v26, v3 row_shr:1 row_mask:0xf bank_mask:0xf
	s_delay_alu instid0(VALU_DEP_1) | instskip(NEXT) | instid1(VALU_DEP_1)
	v_cndmask_b32_e64 v26, v26, 0, s0
	v_add_nc_u32_e32 v3, v26, v3
	s_delay_alu instid0(VALU_DEP_1) | instskip(NEXT) | instid1(VALU_DEP_1)
	v_mov_b32_dpp v26, v3 row_shr:2 row_mask:0xf bank_mask:0xf
	v_cndmask_b32_e64 v26, 0, v26, s1
	s_delay_alu instid0(VALU_DEP_1) | instskip(NEXT) | instid1(VALU_DEP_1)
	v_add_nc_u32_e32 v3, v3, v26
	v_mov_b32_dpp v26, v3 row_shr:4 row_mask:0xf bank_mask:0xf
	s_delay_alu instid0(VALU_DEP_1) | instskip(NEXT) | instid1(VALU_DEP_1)
	v_cndmask_b32_e64 v26, 0, v26, s2
	v_add_nc_u32_e32 v3, v3, v26
	s_delay_alu instid0(VALU_DEP_1) | instskip(NEXT) | instid1(VALU_DEP_1)
	v_mov_b32_dpp v26, v3 row_shr:8 row_mask:0xf bank_mask:0xf
	v_cndmask_b32_e64 v26, 0, v26, s3
	s_delay_alu instid0(VALU_DEP_1) | instskip(SKIP_3) | instid1(VALU_DEP_1)
	v_add_nc_u32_e32 v3, v3, v26
	ds_swizzle_b32 v26, v3 offset:swizzle(BROADCAST,32,15)
	s_waitcnt lgkmcnt(0)
	v_cndmask_b32_e64 v26, v26, 0, s4
	v_add_nc_u32_e32 v3, v3, v26
	s_and_saveexec_b32 s9, s8
	s_cbranch_execz .LBB376_30
; %bb.29:                               ;   in Loop: Header=BB376_2 Depth=1
	ds_store_b32 v17, v3
.LBB376_30:                             ;   in Loop: Header=BB376_2 Depth=1
	s_or_b32 exec_lo, exec_lo, s9
	s_waitcnt lgkmcnt(0)
	s_barrier
	buffer_gl0_inv
	s_and_saveexec_b32 s9, s5
	s_cbranch_execz .LBB376_32
; %bb.31:                               ;   in Loop: Header=BB376_2 Depth=1
	ds_load_b32 v26, v19
	s_waitcnt lgkmcnt(0)
	v_mov_b32_dpp v27, v26 row_shr:1 row_mask:0xf bank_mask:0xf
	s_delay_alu instid0(VALU_DEP_1) | instskip(NEXT) | instid1(VALU_DEP_1)
	v_cndmask_b32_e64 v27, v27, 0, s0
	v_add_nc_u32_e32 v26, v27, v26
	s_delay_alu instid0(VALU_DEP_1) | instskip(NEXT) | instid1(VALU_DEP_1)
	v_mov_b32_dpp v27, v26 row_shr:2 row_mask:0xf bank_mask:0xf
	v_cndmask_b32_e64 v27, 0, v27, s1
	s_delay_alu instid0(VALU_DEP_1) | instskip(NEXT) | instid1(VALU_DEP_1)
	v_add_nc_u32_e32 v26, v26, v27
	v_mov_b32_dpp v27, v26 row_shr:4 row_mask:0xf bank_mask:0xf
	s_delay_alu instid0(VALU_DEP_1) | instskip(NEXT) | instid1(VALU_DEP_1)
	v_cndmask_b32_e64 v27, 0, v27, s2
	v_add_nc_u32_e32 v26, v26, v27
	s_delay_alu instid0(VALU_DEP_1) | instskip(NEXT) | instid1(VALU_DEP_1)
	v_mov_b32_dpp v27, v26 row_shr:8 row_mask:0xf bank_mask:0xf
	v_cndmask_b32_e64 v27, 0, v27, s3
	s_delay_alu instid0(VALU_DEP_1)
	v_add_nc_u32_e32 v26, v26, v27
	ds_store_b32 v19, v26
.LBB376_32:                             ;   in Loop: Header=BB376_2 Depth=1
	s_or_b32 exec_lo, exec_lo, s9
	v_mov_b32_e32 v26, 0
	s_waitcnt lgkmcnt(0)
	s_barrier
	buffer_gl0_inv
	s_and_saveexec_b32 s9, s6
	s_cbranch_execz .LBB376_34
; %bb.33:                               ;   in Loop: Header=BB376_2 Depth=1
	ds_load_b32 v26, v20
.LBB376_34:                             ;   in Loop: Header=BB376_2 Depth=1
	s_or_b32 exec_lo, exec_lo, s9
	s_waitcnt lgkmcnt(0)
	v_add_nc_u32_e32 v3, v26, v3
	ds_bpermute_b32 v3, v18, v3
	s_waitcnt lgkmcnt(0)
	v_cndmask_b32_e32 v3, v3, v26, vcc_lo
	s_delay_alu instid0(VALU_DEP_1) | instskip(NEXT) | instid1(VALU_DEP_1)
	v_cndmask_b32_e64 v3, v3, 0, s7
	v_add_nc_u32_e32 v4, v3, v4
	s_delay_alu instid0(VALU_DEP_1) | instskip(NEXT) | instid1(VALU_DEP_1)
	v_add_nc_u32_e32 v5, v4, v5
	v_add_nc_u32_e32 v6, v5, v6
	s_delay_alu instid0(VALU_DEP_1) | instskip(NEXT) | instid1(VALU_DEP_1)
	v_add_nc_u32_e32 v26, v6, v7
	;; [unrolled: 3-line block ×3, first 2 shown]
	v_add_nc_u32_e32 v1, v0, v2
	ds_store_2addr_b64 v15, v[3:4], v[5:6] offset0:8 offset1:9
	ds_store_2addr_b64 v16, v[26:27], v[0:1] offset0:2 offset1:3
	s_waitcnt lgkmcnt(0)
	s_barrier
	buffer_gl0_inv
	ds_load_b32 v0, v25
	v_lshlrev_b32_e32 v1, 3, v24
	s_waitcnt lgkmcnt(0)
	s_barrier
	buffer_gl0_inv
	v_lshl_add_u32 v0, v0, 3, v1
	ds_store_b64 v0, v[13:14]
	s_waitcnt lgkmcnt(0)
	s_barrier
	buffer_gl0_inv
	ds_load_b64 v[13:14], v21
	s_waitcnt lgkmcnt(0)
	s_barrier
	buffer_gl0_inv
	v_and_b32_e32 v0, 1, v13
	v_lshlrev_b32_e32 v1, 30, v13
	v_lshlrev_b32_e32 v2, 29, v13
	;; [unrolled: 1-line block ×4, first 2 shown]
	v_add_co_u32 v0, s9, v0, -1
	s_delay_alu instid0(VALU_DEP_1)
	v_cndmask_b32_e64 v4, 0, 1, s9
	v_not_b32_e32 v24, v1
	v_cmp_gt_i32_e64 s10, 0, v1
	v_not_b32_e32 v1, v2
	v_lshlrev_b32_e32 v6, 26, v13
	v_cmp_ne_u32_e64 s9, 0, v4
	v_ashrrev_i32_e32 v24, 31, v24
	v_lshlrev_b32_e32 v7, 25, v13
	v_ashrrev_i32_e32 v1, 31, v1
	v_lshlrev_b32_e32 v4, 24, v13
	v_xor_b32_e32 v0, s9, v0
	v_cmp_gt_i32_e64 s9, 0, v2
	v_not_b32_e32 v2, v3
	v_xor_b32_e32 v24, s10, v24
	v_cmp_gt_i32_e64 s10, 0, v3
	v_and_b32_e32 v0, exec_lo, v0
	v_not_b32_e32 v3, v5
	v_ashrrev_i32_e32 v2, 31, v2
	v_xor_b32_e32 v1, s9, v1
	v_cmp_gt_i32_e64 s9, 0, v5
	v_and_b32_e32 v0, v0, v24
	v_not_b32_e32 v5, v6
	v_ashrrev_i32_e32 v3, 31, v3
	v_xor_b32_e32 v2, s10, v2
	v_cmp_gt_i32_e64 s10, 0, v6
	v_and_b32_e32 v0, v0, v1
	;; [unrolled: 5-line block ×3, first 2 shown]
	v_not_b32_e32 v2, v4
	v_ashrrev_i32_e32 v1, 31, v1
	v_xor_b32_e32 v5, s10, v5
	v_cmp_gt_i32_e64 s10, 0, v4
	v_dual_mov_b32 v3, s14 :: v_dual_and_b32 v0, v0, v3
	v_ashrrev_i32_e32 v2, 31, v2
	v_xor_b32_e32 v1, s9, v1
	v_mov_b32_e32 v4, s15
	s_delay_alu instid0(VALU_DEP_4) | instskip(NEXT) | instid1(VALU_DEP_4)
	v_and_b32_e32 v0, v0, v5
	v_xor_b32_e32 v5, s10, v2
	s_delay_alu instid0(VALU_DEP_2)
	v_dual_mov_b32 v1, s20 :: v_dual_and_b32 v0, v0, v1
	v_mov_b32_e32 v2, s21
	ds_store_2addr_b64 v15, v[1:2], v[3:4] offset0:8 offset1:9
	ds_store_2addr_b64 v16, v[1:2], v[3:4] offset0:2 offset1:3
	v_and_b32_e32 v0, v0, v5
	v_and_b32_e32 v5, 0xff, v13
	s_waitcnt lgkmcnt(0)
	s_barrier
	buffer_gl0_inv
	v_mbcnt_lo_u32_b32 v24, v0, 0
	v_lshl_add_u32 v1, v5, 4, v22
	v_cmp_ne_u32_e64 s10, 0, v0
	; wave barrier
	s_delay_alu instid0(VALU_DEP_3) | instskip(NEXT) | instid1(VALU_DEP_3)
	v_cmp_eq_u32_e64 s9, 0, v24
	v_lshl_add_u32 v25, v1, 2, 64
	s_delay_alu instid0(VALU_DEP_2) | instskip(NEXT) | instid1(SALU_CYCLE_1)
	s_and_b32 s10, s10, s9
	s_and_saveexec_b32 s9, s10
	s_cbranch_execz .LBB376_36
; %bb.35:                               ;   in Loop: Header=BB376_2 Depth=1
	v_bcnt_u32_b32 v0, v0, 0
	ds_store_b32 v25, v0
.LBB376_36:                             ;   in Loop: Header=BB376_2 Depth=1
	s_or_b32 exec_lo, exec_lo, s9
	; wave barrier
	s_waitcnt lgkmcnt(0)
	s_barrier
	buffer_gl0_inv
	ds_load_2addr_b64 v[4:7], v15 offset0:8 offset1:9
	ds_load_2addr_b64 v[0:3], v16 offset0:2 offset1:3
	s_waitcnt lgkmcnt(1)
	v_add_nc_u32_e32 v26, v5, v4
	s_delay_alu instid0(VALU_DEP_1) | instskip(SKIP_1) | instid1(VALU_DEP_1)
	v_add3_u32 v26, v26, v6, v7
	s_waitcnt lgkmcnt(0)
	v_add3_u32 v26, v26, v0, v1
	s_delay_alu instid0(VALU_DEP_1) | instskip(NEXT) | instid1(VALU_DEP_1)
	v_add3_u32 v3, v26, v2, v3
	v_mov_b32_dpp v26, v3 row_shr:1 row_mask:0xf bank_mask:0xf
	s_delay_alu instid0(VALU_DEP_1) | instskip(NEXT) | instid1(VALU_DEP_1)
	v_cndmask_b32_e64 v26, v26, 0, s0
	v_add_nc_u32_e32 v3, v26, v3
	s_delay_alu instid0(VALU_DEP_1) | instskip(NEXT) | instid1(VALU_DEP_1)
	v_mov_b32_dpp v26, v3 row_shr:2 row_mask:0xf bank_mask:0xf
	v_cndmask_b32_e64 v26, 0, v26, s1
	s_delay_alu instid0(VALU_DEP_1) | instskip(NEXT) | instid1(VALU_DEP_1)
	v_add_nc_u32_e32 v3, v3, v26
	v_mov_b32_dpp v26, v3 row_shr:4 row_mask:0xf bank_mask:0xf
	s_delay_alu instid0(VALU_DEP_1) | instskip(NEXT) | instid1(VALU_DEP_1)
	v_cndmask_b32_e64 v26, 0, v26, s2
	v_add_nc_u32_e32 v3, v3, v26
	s_delay_alu instid0(VALU_DEP_1) | instskip(NEXT) | instid1(VALU_DEP_1)
	v_mov_b32_dpp v26, v3 row_shr:8 row_mask:0xf bank_mask:0xf
	v_cndmask_b32_e64 v26, 0, v26, s3
	s_delay_alu instid0(VALU_DEP_1) | instskip(SKIP_3) | instid1(VALU_DEP_1)
	v_add_nc_u32_e32 v3, v3, v26
	ds_swizzle_b32 v26, v3 offset:swizzle(BROADCAST,32,15)
	s_waitcnt lgkmcnt(0)
	v_cndmask_b32_e64 v26, v26, 0, s4
	v_add_nc_u32_e32 v3, v3, v26
	s_and_saveexec_b32 s9, s8
	s_cbranch_execz .LBB376_38
; %bb.37:                               ;   in Loop: Header=BB376_2 Depth=1
	ds_store_b32 v17, v3
.LBB376_38:                             ;   in Loop: Header=BB376_2 Depth=1
	s_or_b32 exec_lo, exec_lo, s9
	s_waitcnt lgkmcnt(0)
	s_barrier
	buffer_gl0_inv
	s_and_saveexec_b32 s9, s5
	s_cbranch_execz .LBB376_40
; %bb.39:                               ;   in Loop: Header=BB376_2 Depth=1
	ds_load_b32 v26, v19
	s_waitcnt lgkmcnt(0)
	v_mov_b32_dpp v27, v26 row_shr:1 row_mask:0xf bank_mask:0xf
	s_delay_alu instid0(VALU_DEP_1) | instskip(NEXT) | instid1(VALU_DEP_1)
	v_cndmask_b32_e64 v27, v27, 0, s0
	v_add_nc_u32_e32 v26, v27, v26
	s_delay_alu instid0(VALU_DEP_1) | instskip(NEXT) | instid1(VALU_DEP_1)
	v_mov_b32_dpp v27, v26 row_shr:2 row_mask:0xf bank_mask:0xf
	v_cndmask_b32_e64 v27, 0, v27, s1
	s_delay_alu instid0(VALU_DEP_1) | instskip(NEXT) | instid1(VALU_DEP_1)
	v_add_nc_u32_e32 v26, v26, v27
	v_mov_b32_dpp v27, v26 row_shr:4 row_mask:0xf bank_mask:0xf
	s_delay_alu instid0(VALU_DEP_1) | instskip(NEXT) | instid1(VALU_DEP_1)
	v_cndmask_b32_e64 v27, 0, v27, s2
	v_add_nc_u32_e32 v26, v26, v27
	s_delay_alu instid0(VALU_DEP_1) | instskip(NEXT) | instid1(VALU_DEP_1)
	v_mov_b32_dpp v27, v26 row_shr:8 row_mask:0xf bank_mask:0xf
	v_cndmask_b32_e64 v27, 0, v27, s3
	s_delay_alu instid0(VALU_DEP_1)
	v_add_nc_u32_e32 v26, v26, v27
	ds_store_b32 v19, v26
.LBB376_40:                             ;   in Loop: Header=BB376_2 Depth=1
	s_or_b32 exec_lo, exec_lo, s9
	v_mov_b32_e32 v26, 0
	s_waitcnt lgkmcnt(0)
	s_barrier
	buffer_gl0_inv
	s_and_saveexec_b32 s9, s6
	s_cbranch_execz .LBB376_42
; %bb.41:                               ;   in Loop: Header=BB376_2 Depth=1
	ds_load_b32 v26, v20
.LBB376_42:                             ;   in Loop: Header=BB376_2 Depth=1
	s_or_b32 exec_lo, exec_lo, s9
	s_waitcnt lgkmcnt(0)
	v_add_nc_u32_e32 v3, v26, v3
	ds_bpermute_b32 v3, v18, v3
	s_waitcnt lgkmcnt(0)
	v_cndmask_b32_e32 v3, v3, v26, vcc_lo
	s_delay_alu instid0(VALU_DEP_1) | instskip(NEXT) | instid1(VALU_DEP_1)
	v_cndmask_b32_e64 v3, v3, 0, s7
	v_add_nc_u32_e32 v4, v3, v4
	s_delay_alu instid0(VALU_DEP_1) | instskip(NEXT) | instid1(VALU_DEP_1)
	v_add_nc_u32_e32 v5, v4, v5
	v_add_nc_u32_e32 v6, v5, v6
	s_delay_alu instid0(VALU_DEP_1) | instskip(NEXT) | instid1(VALU_DEP_1)
	v_add_nc_u32_e32 v26, v6, v7
	;; [unrolled: 3-line block ×3, first 2 shown]
	v_add_nc_u32_e32 v1, v0, v2
	ds_store_2addr_b64 v15, v[3:4], v[5:6] offset0:8 offset1:9
	ds_store_2addr_b64 v16, v[26:27], v[0:1] offset0:2 offset1:3
	s_waitcnt lgkmcnt(0)
	s_barrier
	buffer_gl0_inv
	ds_load_b32 v0, v25
	v_lshlrev_b32_e32 v1, 3, v24
	s_waitcnt lgkmcnt(0)
	s_barrier
	buffer_gl0_inv
	v_lshl_add_u32 v0, v0, 3, v1
	ds_store_b64 v0, v[13:14]
	s_waitcnt lgkmcnt(0)
	s_barrier
	buffer_gl0_inv
	ds_load_b64 v[13:14], v21
	s_waitcnt lgkmcnt(0)
	s_barrier
	buffer_gl0_inv
	v_bfe_u32 v0, v13, 8, 1
	v_lshrrev_b32_e32 v1, 8, v13
	s_delay_alu instid0(VALU_DEP_2) | instskip(NEXT) | instid1(VALU_DEP_1)
	v_add_co_u32 v0, s9, v0, -1
	v_cndmask_b32_e64 v2, 0, 1, s9
	s_delay_alu instid0(VALU_DEP_3)
	v_lshlrev_b32_e32 v3, 30, v1
	v_lshlrev_b32_e32 v4, 29, v1
	;; [unrolled: 1-line block ×4, first 2 shown]
	v_cmp_ne_u32_e64 s9, 0, v2
	v_not_b32_e32 v2, v3
	v_cmp_gt_i32_e64 s10, 0, v3
	v_not_b32_e32 v3, v4
	v_lshlrev_b32_e32 v7, 26, v1
	v_xor_b32_e32 v0, s9, v0
	v_ashrrev_i32_e32 v2, 31, v2
	v_cmp_gt_i32_e64 s9, 0, v4
	v_not_b32_e32 v4, v5
	v_ashrrev_i32_e32 v3, 31, v3
	v_and_b32_e32 v0, exec_lo, v0
	v_xor_b32_e32 v2, s10, v2
	v_cmp_gt_i32_e64 s10, 0, v5
	v_not_b32_e32 v5, v6
	v_ashrrev_i32_e32 v4, 31, v4
	v_xor_b32_e32 v3, s9, v3
	v_and_b32_e32 v0, v0, v2
	v_lshlrev_b32_e32 v24, 25, v1
	v_cmp_gt_i32_e64 s9, 0, v6
	v_not_b32_e32 v2, v7
	v_ashrrev_i32_e32 v5, 31, v5
	v_xor_b32_e32 v4, s10, v4
	v_and_b32_e32 v0, v0, v3
	v_lshlrev_b32_e32 v1, 24, v1
	v_cmp_gt_i32_e64 s10, 0, v7
	v_not_b32_e32 v3, v24
	v_ashrrev_i32_e32 v2, 31, v2
	v_xor_b32_e32 v5, s9, v5
	v_and_b32_e32 v0, v0, v4
	v_cmp_gt_i32_e64 s9, 0, v24
	v_not_b32_e32 v4, v1
	v_ashrrev_i32_e32 v3, 31, v3
	v_xor_b32_e32 v2, s10, v2
	v_and_b32_e32 v0, v0, v5
	v_cmp_gt_i32_e64 s10, 0, v1
	v_ashrrev_i32_e32 v1, 31, v4
	v_xor_b32_e32 v3, s9, v3
	v_lshrrev_b32_e32 v6, 4, v13
	v_and_b32_e32 v0, v0, v2
	s_delay_alu instid0(VALU_DEP_4) | instskip(SKIP_1) | instid1(VALU_DEP_3)
	v_xor_b32_e32 v5, s10, v1
	v_dual_mov_b32 v1, s20 :: v_dual_mov_b32 v2, s21
	v_dual_mov_b32 v3, s14 :: v_dual_and_b32 v0, v0, v3
	v_mov_b32_e32 v4, s15
	ds_store_2addr_b64 v15, v[1:2], v[3:4] offset0:8 offset1:9
	ds_store_2addr_b64 v16, v[1:2], v[3:4] offset0:2 offset1:3
	v_and_b32_e32 v0, v0, v5
	v_and_b32_e32 v5, 0xff0, v6
	s_waitcnt lgkmcnt(0)
	s_barrier
	buffer_gl0_inv
	v_mbcnt_lo_u32_b32 v24, v0, 0
	v_add_nc_u32_e32 v1, v5, v22
	v_cmp_ne_u32_e64 s10, 0, v0
	; wave barrier
	s_delay_alu instid0(VALU_DEP_3) | instskip(NEXT) | instid1(VALU_DEP_3)
	v_cmp_eq_u32_e64 s9, 0, v24
	v_lshl_add_u32 v25, v1, 2, 64
	s_delay_alu instid0(VALU_DEP_2) | instskip(NEXT) | instid1(SALU_CYCLE_1)
	s_and_b32 s10, s10, s9
	s_and_saveexec_b32 s9, s10
	s_cbranch_execz .LBB376_44
; %bb.43:                               ;   in Loop: Header=BB376_2 Depth=1
	v_bcnt_u32_b32 v0, v0, 0
	ds_store_b32 v25, v0
.LBB376_44:                             ;   in Loop: Header=BB376_2 Depth=1
	s_or_b32 exec_lo, exec_lo, s9
	; wave barrier
	s_waitcnt lgkmcnt(0)
	s_barrier
	buffer_gl0_inv
	ds_load_2addr_b64 v[4:7], v15 offset0:8 offset1:9
	ds_load_2addr_b64 v[0:3], v16 offset0:2 offset1:3
	s_waitcnt lgkmcnt(1)
	v_add_nc_u32_e32 v26, v5, v4
	s_delay_alu instid0(VALU_DEP_1) | instskip(SKIP_1) | instid1(VALU_DEP_1)
	v_add3_u32 v26, v26, v6, v7
	s_waitcnt lgkmcnt(0)
	v_add3_u32 v26, v26, v0, v1
	s_delay_alu instid0(VALU_DEP_1) | instskip(NEXT) | instid1(VALU_DEP_1)
	v_add3_u32 v3, v26, v2, v3
	v_mov_b32_dpp v26, v3 row_shr:1 row_mask:0xf bank_mask:0xf
	s_delay_alu instid0(VALU_DEP_1) | instskip(NEXT) | instid1(VALU_DEP_1)
	v_cndmask_b32_e64 v26, v26, 0, s0
	v_add_nc_u32_e32 v3, v26, v3
	s_delay_alu instid0(VALU_DEP_1) | instskip(NEXT) | instid1(VALU_DEP_1)
	v_mov_b32_dpp v26, v3 row_shr:2 row_mask:0xf bank_mask:0xf
	v_cndmask_b32_e64 v26, 0, v26, s1
	s_delay_alu instid0(VALU_DEP_1) | instskip(NEXT) | instid1(VALU_DEP_1)
	v_add_nc_u32_e32 v3, v3, v26
	v_mov_b32_dpp v26, v3 row_shr:4 row_mask:0xf bank_mask:0xf
	s_delay_alu instid0(VALU_DEP_1) | instskip(NEXT) | instid1(VALU_DEP_1)
	v_cndmask_b32_e64 v26, 0, v26, s2
	v_add_nc_u32_e32 v3, v3, v26
	s_delay_alu instid0(VALU_DEP_1) | instskip(NEXT) | instid1(VALU_DEP_1)
	v_mov_b32_dpp v26, v3 row_shr:8 row_mask:0xf bank_mask:0xf
	v_cndmask_b32_e64 v26, 0, v26, s3
	s_delay_alu instid0(VALU_DEP_1) | instskip(SKIP_3) | instid1(VALU_DEP_1)
	v_add_nc_u32_e32 v3, v3, v26
	ds_swizzle_b32 v26, v3 offset:swizzle(BROADCAST,32,15)
	s_waitcnt lgkmcnt(0)
	v_cndmask_b32_e64 v26, v26, 0, s4
	v_add_nc_u32_e32 v3, v3, v26
	s_and_saveexec_b32 s9, s8
	s_cbranch_execz .LBB376_46
; %bb.45:                               ;   in Loop: Header=BB376_2 Depth=1
	ds_store_b32 v17, v3
.LBB376_46:                             ;   in Loop: Header=BB376_2 Depth=1
	s_or_b32 exec_lo, exec_lo, s9
	s_waitcnt lgkmcnt(0)
	s_barrier
	buffer_gl0_inv
	s_and_saveexec_b32 s9, s5
	s_cbranch_execz .LBB376_48
; %bb.47:                               ;   in Loop: Header=BB376_2 Depth=1
	ds_load_b32 v26, v19
	s_waitcnt lgkmcnt(0)
	v_mov_b32_dpp v27, v26 row_shr:1 row_mask:0xf bank_mask:0xf
	s_delay_alu instid0(VALU_DEP_1) | instskip(NEXT) | instid1(VALU_DEP_1)
	v_cndmask_b32_e64 v27, v27, 0, s0
	v_add_nc_u32_e32 v26, v27, v26
	s_delay_alu instid0(VALU_DEP_1) | instskip(NEXT) | instid1(VALU_DEP_1)
	v_mov_b32_dpp v27, v26 row_shr:2 row_mask:0xf bank_mask:0xf
	v_cndmask_b32_e64 v27, 0, v27, s1
	s_delay_alu instid0(VALU_DEP_1) | instskip(NEXT) | instid1(VALU_DEP_1)
	v_add_nc_u32_e32 v26, v26, v27
	v_mov_b32_dpp v27, v26 row_shr:4 row_mask:0xf bank_mask:0xf
	s_delay_alu instid0(VALU_DEP_1) | instskip(NEXT) | instid1(VALU_DEP_1)
	v_cndmask_b32_e64 v27, 0, v27, s2
	v_add_nc_u32_e32 v26, v26, v27
	s_delay_alu instid0(VALU_DEP_1) | instskip(NEXT) | instid1(VALU_DEP_1)
	v_mov_b32_dpp v27, v26 row_shr:8 row_mask:0xf bank_mask:0xf
	v_cndmask_b32_e64 v27, 0, v27, s3
	s_delay_alu instid0(VALU_DEP_1)
	v_add_nc_u32_e32 v26, v26, v27
	ds_store_b32 v19, v26
.LBB376_48:                             ;   in Loop: Header=BB376_2 Depth=1
	s_or_b32 exec_lo, exec_lo, s9
	v_mov_b32_e32 v26, 0
	s_waitcnt lgkmcnt(0)
	s_barrier
	buffer_gl0_inv
	s_and_saveexec_b32 s9, s6
	s_cbranch_execz .LBB376_50
; %bb.49:                               ;   in Loop: Header=BB376_2 Depth=1
	ds_load_b32 v26, v20
.LBB376_50:                             ;   in Loop: Header=BB376_2 Depth=1
	s_or_b32 exec_lo, exec_lo, s9
	s_waitcnt lgkmcnt(0)
	v_add_nc_u32_e32 v3, v26, v3
	ds_bpermute_b32 v3, v18, v3
	s_waitcnt lgkmcnt(0)
	v_cndmask_b32_e32 v3, v3, v26, vcc_lo
	s_delay_alu instid0(VALU_DEP_1) | instskip(NEXT) | instid1(VALU_DEP_1)
	v_cndmask_b32_e64 v3, v3, 0, s7
	v_add_nc_u32_e32 v4, v3, v4
	s_delay_alu instid0(VALU_DEP_1) | instskip(NEXT) | instid1(VALU_DEP_1)
	v_add_nc_u32_e32 v5, v4, v5
	v_add_nc_u32_e32 v6, v5, v6
	s_delay_alu instid0(VALU_DEP_1) | instskip(NEXT) | instid1(VALU_DEP_1)
	v_add_nc_u32_e32 v26, v6, v7
	;; [unrolled: 3-line block ×3, first 2 shown]
	v_add_nc_u32_e32 v1, v0, v2
	ds_store_2addr_b64 v15, v[3:4], v[5:6] offset0:8 offset1:9
	ds_store_2addr_b64 v16, v[26:27], v[0:1] offset0:2 offset1:3
	s_waitcnt lgkmcnt(0)
	s_barrier
	buffer_gl0_inv
	ds_load_b32 v0, v25
	v_lshlrev_b32_e32 v1, 3, v24
	s_waitcnt lgkmcnt(0)
	s_barrier
	buffer_gl0_inv
	v_lshl_add_u32 v0, v0, 3, v1
	ds_store_b64 v0, v[13:14]
	s_waitcnt lgkmcnt(0)
	s_barrier
	buffer_gl0_inv
	ds_load_b64 v[13:14], v21
	s_waitcnt lgkmcnt(0)
	s_barrier
	buffer_gl0_inv
	v_bfe_u32 v0, v13, 16, 1
	v_lshrrev_b32_e32 v1, 16, v13
	s_delay_alu instid0(VALU_DEP_2) | instskip(NEXT) | instid1(VALU_DEP_1)
	v_add_co_u32 v0, s9, v0, -1
	v_cndmask_b32_e64 v2, 0, 1, s9
	s_delay_alu instid0(VALU_DEP_3)
	v_lshlrev_b32_e32 v3, 30, v1
	v_lshlrev_b32_e32 v4, 29, v1
	;; [unrolled: 1-line block ×4, first 2 shown]
	v_cmp_ne_u32_e64 s9, 0, v2
	v_not_b32_e32 v2, v3
	v_cmp_gt_i32_e64 s10, 0, v3
	v_not_b32_e32 v3, v4
	v_lshlrev_b32_e32 v7, 26, v1
	v_xor_b32_e32 v0, s9, v0
	v_ashrrev_i32_e32 v2, 31, v2
	v_cmp_gt_i32_e64 s9, 0, v4
	v_not_b32_e32 v4, v5
	v_ashrrev_i32_e32 v3, 31, v3
	v_and_b32_e32 v0, exec_lo, v0
	v_xor_b32_e32 v2, s10, v2
	v_cmp_gt_i32_e64 s10, 0, v5
	v_not_b32_e32 v5, v6
	v_ashrrev_i32_e32 v4, 31, v4
	v_xor_b32_e32 v3, s9, v3
	v_and_b32_e32 v0, v0, v2
	v_lshlrev_b32_e32 v24, 25, v1
	v_cmp_gt_i32_e64 s9, 0, v6
	v_not_b32_e32 v2, v7
	v_ashrrev_i32_e32 v5, 31, v5
	v_xor_b32_e32 v4, s10, v4
	v_and_b32_e32 v0, v0, v3
	v_lshlrev_b32_e32 v1, 24, v1
	v_cmp_gt_i32_e64 s10, 0, v7
	v_not_b32_e32 v3, v24
	v_ashrrev_i32_e32 v2, 31, v2
	v_xor_b32_e32 v5, s9, v5
	v_and_b32_e32 v0, v0, v4
	v_cmp_gt_i32_e64 s9, 0, v24
	v_not_b32_e32 v4, v1
	v_ashrrev_i32_e32 v3, 31, v3
	v_xor_b32_e32 v2, s10, v2
	v_and_b32_e32 v0, v0, v5
	v_cmp_gt_i32_e64 s10, 0, v1
	v_ashrrev_i32_e32 v1, 31, v4
	v_xor_b32_e32 v3, s9, v3
	v_lshrrev_b32_e32 v6, 12, v13
	v_and_b32_e32 v0, v0, v2
	s_delay_alu instid0(VALU_DEP_4) | instskip(SKIP_1) | instid1(VALU_DEP_3)
	v_xor_b32_e32 v5, s10, v1
	v_dual_mov_b32 v1, s20 :: v_dual_mov_b32 v2, s21
	v_dual_mov_b32 v3, s14 :: v_dual_and_b32 v0, v0, v3
	v_mov_b32_e32 v4, s15
	ds_store_2addr_b64 v15, v[1:2], v[3:4] offset0:8 offset1:9
	ds_store_2addr_b64 v16, v[1:2], v[3:4] offset0:2 offset1:3
	v_and_b32_e32 v0, v0, v5
	v_and_b32_e32 v5, 0xff0, v6
	s_waitcnt lgkmcnt(0)
	s_barrier
	buffer_gl0_inv
	v_mbcnt_lo_u32_b32 v24, v0, 0
	v_add_nc_u32_e32 v1, v5, v22
	v_cmp_ne_u32_e64 s10, 0, v0
	; wave barrier
	s_delay_alu instid0(VALU_DEP_3) | instskip(NEXT) | instid1(VALU_DEP_3)
	v_cmp_eq_u32_e64 s9, 0, v24
	v_lshl_add_u32 v25, v1, 2, 64
	s_delay_alu instid0(VALU_DEP_2) | instskip(NEXT) | instid1(SALU_CYCLE_1)
	s_and_b32 s10, s10, s9
	s_and_saveexec_b32 s9, s10
	s_cbranch_execz .LBB376_52
; %bb.51:                               ;   in Loop: Header=BB376_2 Depth=1
	v_bcnt_u32_b32 v0, v0, 0
	ds_store_b32 v25, v0
.LBB376_52:                             ;   in Loop: Header=BB376_2 Depth=1
	s_or_b32 exec_lo, exec_lo, s9
	; wave barrier
	s_waitcnt lgkmcnt(0)
	s_barrier
	buffer_gl0_inv
	ds_load_2addr_b64 v[4:7], v15 offset0:8 offset1:9
	ds_load_2addr_b64 v[0:3], v16 offset0:2 offset1:3
	s_waitcnt lgkmcnt(1)
	v_add_nc_u32_e32 v26, v5, v4
	s_delay_alu instid0(VALU_DEP_1) | instskip(SKIP_1) | instid1(VALU_DEP_1)
	v_add3_u32 v26, v26, v6, v7
	s_waitcnt lgkmcnt(0)
	v_add3_u32 v26, v26, v0, v1
	s_delay_alu instid0(VALU_DEP_1) | instskip(NEXT) | instid1(VALU_DEP_1)
	v_add3_u32 v3, v26, v2, v3
	v_mov_b32_dpp v26, v3 row_shr:1 row_mask:0xf bank_mask:0xf
	s_delay_alu instid0(VALU_DEP_1) | instskip(NEXT) | instid1(VALU_DEP_1)
	v_cndmask_b32_e64 v26, v26, 0, s0
	v_add_nc_u32_e32 v3, v26, v3
	s_delay_alu instid0(VALU_DEP_1) | instskip(NEXT) | instid1(VALU_DEP_1)
	v_mov_b32_dpp v26, v3 row_shr:2 row_mask:0xf bank_mask:0xf
	v_cndmask_b32_e64 v26, 0, v26, s1
	s_delay_alu instid0(VALU_DEP_1) | instskip(NEXT) | instid1(VALU_DEP_1)
	v_add_nc_u32_e32 v3, v3, v26
	v_mov_b32_dpp v26, v3 row_shr:4 row_mask:0xf bank_mask:0xf
	s_delay_alu instid0(VALU_DEP_1) | instskip(NEXT) | instid1(VALU_DEP_1)
	v_cndmask_b32_e64 v26, 0, v26, s2
	v_add_nc_u32_e32 v3, v3, v26
	s_delay_alu instid0(VALU_DEP_1) | instskip(NEXT) | instid1(VALU_DEP_1)
	v_mov_b32_dpp v26, v3 row_shr:8 row_mask:0xf bank_mask:0xf
	v_cndmask_b32_e64 v26, 0, v26, s3
	s_delay_alu instid0(VALU_DEP_1) | instskip(SKIP_3) | instid1(VALU_DEP_1)
	v_add_nc_u32_e32 v3, v3, v26
	ds_swizzle_b32 v26, v3 offset:swizzle(BROADCAST,32,15)
	s_waitcnt lgkmcnt(0)
	v_cndmask_b32_e64 v26, v26, 0, s4
	v_add_nc_u32_e32 v3, v3, v26
	s_and_saveexec_b32 s9, s8
	s_cbranch_execz .LBB376_54
; %bb.53:                               ;   in Loop: Header=BB376_2 Depth=1
	ds_store_b32 v17, v3
.LBB376_54:                             ;   in Loop: Header=BB376_2 Depth=1
	s_or_b32 exec_lo, exec_lo, s9
	s_waitcnt lgkmcnt(0)
	s_barrier
	buffer_gl0_inv
	s_and_saveexec_b32 s9, s5
	s_cbranch_execz .LBB376_56
; %bb.55:                               ;   in Loop: Header=BB376_2 Depth=1
	ds_load_b32 v26, v19
	s_waitcnt lgkmcnt(0)
	v_mov_b32_dpp v27, v26 row_shr:1 row_mask:0xf bank_mask:0xf
	s_delay_alu instid0(VALU_DEP_1) | instskip(NEXT) | instid1(VALU_DEP_1)
	v_cndmask_b32_e64 v27, v27, 0, s0
	v_add_nc_u32_e32 v26, v27, v26
	s_delay_alu instid0(VALU_DEP_1) | instskip(NEXT) | instid1(VALU_DEP_1)
	v_mov_b32_dpp v27, v26 row_shr:2 row_mask:0xf bank_mask:0xf
	v_cndmask_b32_e64 v27, 0, v27, s1
	s_delay_alu instid0(VALU_DEP_1) | instskip(NEXT) | instid1(VALU_DEP_1)
	v_add_nc_u32_e32 v26, v26, v27
	v_mov_b32_dpp v27, v26 row_shr:4 row_mask:0xf bank_mask:0xf
	s_delay_alu instid0(VALU_DEP_1) | instskip(NEXT) | instid1(VALU_DEP_1)
	v_cndmask_b32_e64 v27, 0, v27, s2
	v_add_nc_u32_e32 v26, v26, v27
	s_delay_alu instid0(VALU_DEP_1) | instskip(NEXT) | instid1(VALU_DEP_1)
	v_mov_b32_dpp v27, v26 row_shr:8 row_mask:0xf bank_mask:0xf
	v_cndmask_b32_e64 v27, 0, v27, s3
	s_delay_alu instid0(VALU_DEP_1)
	v_add_nc_u32_e32 v26, v26, v27
	ds_store_b32 v19, v26
.LBB376_56:                             ;   in Loop: Header=BB376_2 Depth=1
	s_or_b32 exec_lo, exec_lo, s9
	v_mov_b32_e32 v26, 0
	s_waitcnt lgkmcnt(0)
	s_barrier
	buffer_gl0_inv
	s_and_saveexec_b32 s9, s6
	s_cbranch_execz .LBB376_58
; %bb.57:                               ;   in Loop: Header=BB376_2 Depth=1
	ds_load_b32 v26, v20
.LBB376_58:                             ;   in Loop: Header=BB376_2 Depth=1
	s_or_b32 exec_lo, exec_lo, s9
	s_waitcnt lgkmcnt(0)
	v_add_nc_u32_e32 v3, v26, v3
	ds_bpermute_b32 v3, v18, v3
	s_waitcnt lgkmcnt(0)
	v_cndmask_b32_e32 v3, v3, v26, vcc_lo
	s_delay_alu instid0(VALU_DEP_1) | instskip(NEXT) | instid1(VALU_DEP_1)
	v_cndmask_b32_e64 v3, v3, 0, s7
	v_add_nc_u32_e32 v4, v3, v4
	s_delay_alu instid0(VALU_DEP_1) | instskip(NEXT) | instid1(VALU_DEP_1)
	v_add_nc_u32_e32 v5, v4, v5
	v_add_nc_u32_e32 v6, v5, v6
	s_delay_alu instid0(VALU_DEP_1) | instskip(NEXT) | instid1(VALU_DEP_1)
	v_add_nc_u32_e32 v26, v6, v7
	;; [unrolled: 3-line block ×3, first 2 shown]
	v_add_nc_u32_e32 v1, v0, v2
	ds_store_2addr_b64 v15, v[3:4], v[5:6] offset0:8 offset1:9
	ds_store_2addr_b64 v16, v[26:27], v[0:1] offset0:2 offset1:3
	s_waitcnt lgkmcnt(0)
	s_barrier
	buffer_gl0_inv
	ds_load_b32 v0, v25
	v_lshlrev_b32_e32 v1, 3, v24
	s_waitcnt lgkmcnt(0)
	s_barrier
	buffer_gl0_inv
	v_lshl_add_u32 v0, v0, 3, v1
	ds_store_b64 v0, v[13:14]
	s_waitcnt lgkmcnt(0)
	s_barrier
	buffer_gl0_inv
	ds_load_b64 v[13:14], v21
	s_waitcnt lgkmcnt(0)
	s_barrier
	buffer_gl0_inv
	v_bfe_u32 v0, v13, 24, 1
	v_lshrrev_b32_e32 v5, 24, v13
	s_delay_alu instid0(VALU_DEP_2) | instskip(NEXT) | instid1(VALU_DEP_1)
	v_add_co_u32 v0, s9, v0, -1
	v_cndmask_b32_e64 v1, 0, 1, s9
	s_delay_alu instid0(VALU_DEP_3)
	v_lshlrev_b32_e32 v2, 30, v5
	v_lshlrev_b32_e32 v3, 29, v5
	;; [unrolled: 1-line block ×4, first 2 shown]
	v_cmp_ne_u32_e64 s9, 0, v1
	v_not_b32_e32 v1, v2
	v_cmp_gt_i32_e64 s10, 0, v2
	v_not_b32_e32 v2, v3
	v_lshlrev_b32_e32 v7, 26, v5
	v_xor_b32_e32 v0, s9, v0
	v_ashrrev_i32_e32 v1, 31, v1
	v_cmp_gt_i32_e64 s9, 0, v3
	v_not_b32_e32 v3, v4
	v_ashrrev_i32_e32 v2, 31, v2
	v_and_b32_e32 v0, exec_lo, v0
	v_xor_b32_e32 v1, s10, v1
	v_cmp_gt_i32_e64 s10, 0, v4
	v_not_b32_e32 v4, v6
	v_ashrrev_i32_e32 v3, 31, v3
	v_xor_b32_e32 v2, s9, v2
	v_and_b32_e32 v0, v0, v1
	v_lshlrev_b32_e32 v24, 25, v5
	v_cmp_gt_i32_e64 s9, 0, v6
	v_not_b32_e32 v1, v7
	v_ashrrev_i32_e32 v4, 31, v4
	v_xor_b32_e32 v3, s10, v3
	v_and_b32_e32 v0, v0, v2
	v_cmp_gt_i32_e64 s10, 0, v7
	v_not_b32_e32 v2, v24
	v_ashrrev_i32_e32 v1, 31, v1
	v_xor_b32_e32 v4, s9, v4
	v_and_b32_e32 v0, v0, v3
	v_not_b32_e32 v3, v13
	v_cmp_gt_i32_e64 s9, 0, v24
	v_ashrrev_i32_e32 v2, 31, v2
	v_xor_b32_e32 v1, s10, v1
	v_and_b32_e32 v0, v0, v4
	v_cmp_gt_i32_e64 s10, 0, v13
	v_ashrrev_i32_e32 v3, 31, v3
	v_xor_b32_e32 v2, s9, v2
	s_delay_alu instid0(VALU_DEP_4) | instskip(NEXT) | instid1(VALU_DEP_3)
	v_and_b32_e32 v0, v0, v1
	v_xor_b32_e32 v3, s10, v3
	s_delay_alu instid0(VALU_DEP_2) | instskip(SKIP_1) | instid1(VALU_DEP_2)
	v_dual_mov_b32 v1, s20 :: v_dual_and_b32 v0, v0, v2
	v_mov_b32_e32 v2, s21
	v_dual_mov_b32 v3, s14 :: v_dual_and_b32 v0, v0, v3
	v_mov_b32_e32 v4, s15
	ds_store_2addr_b64 v15, v[1:2], v[3:4] offset0:8 offset1:9
	ds_store_2addr_b64 v16, v[1:2], v[3:4] offset0:2 offset1:3
	v_mbcnt_lo_u32_b32 v24, v0, 0
	v_lshl_add_u32 v1, v5, 4, v22
	v_cmp_ne_u32_e64 s10, 0, v0
	s_waitcnt lgkmcnt(0)
	s_barrier
	v_cmp_eq_u32_e64 s9, 0, v24
	v_lshl_add_u32 v25, v1, 2, 64
	buffer_gl0_inv
	; wave barrier
	s_and_b32 s10, s10, s9
	s_delay_alu instid0(SALU_CYCLE_1)
	s_and_saveexec_b32 s9, s10
	s_cbranch_execz .LBB376_60
; %bb.59:                               ;   in Loop: Header=BB376_2 Depth=1
	v_bcnt_u32_b32 v0, v0, 0
	ds_store_b32 v25, v0
.LBB376_60:                             ;   in Loop: Header=BB376_2 Depth=1
	s_or_b32 exec_lo, exec_lo, s9
	; wave barrier
	s_waitcnt lgkmcnt(0)
	s_barrier
	buffer_gl0_inv
	ds_load_2addr_b64 v[4:7], v15 offset0:8 offset1:9
	ds_load_2addr_b64 v[0:3], v16 offset0:2 offset1:3
	s_waitcnt lgkmcnt(1)
	v_add_nc_u32_e32 v26, v5, v4
	s_delay_alu instid0(VALU_DEP_1) | instskip(SKIP_1) | instid1(VALU_DEP_1)
	v_add3_u32 v26, v26, v6, v7
	s_waitcnt lgkmcnt(0)
	v_add3_u32 v26, v26, v0, v1
	s_delay_alu instid0(VALU_DEP_1) | instskip(NEXT) | instid1(VALU_DEP_1)
	v_add3_u32 v3, v26, v2, v3
	v_mov_b32_dpp v26, v3 row_shr:1 row_mask:0xf bank_mask:0xf
	s_delay_alu instid0(VALU_DEP_1) | instskip(NEXT) | instid1(VALU_DEP_1)
	v_cndmask_b32_e64 v26, v26, 0, s0
	v_add_nc_u32_e32 v3, v26, v3
	s_delay_alu instid0(VALU_DEP_1) | instskip(NEXT) | instid1(VALU_DEP_1)
	v_mov_b32_dpp v26, v3 row_shr:2 row_mask:0xf bank_mask:0xf
	v_cndmask_b32_e64 v26, 0, v26, s1
	s_delay_alu instid0(VALU_DEP_1) | instskip(NEXT) | instid1(VALU_DEP_1)
	v_add_nc_u32_e32 v3, v3, v26
	v_mov_b32_dpp v26, v3 row_shr:4 row_mask:0xf bank_mask:0xf
	s_delay_alu instid0(VALU_DEP_1) | instskip(NEXT) | instid1(VALU_DEP_1)
	v_cndmask_b32_e64 v26, 0, v26, s2
	v_add_nc_u32_e32 v3, v3, v26
	s_delay_alu instid0(VALU_DEP_1) | instskip(NEXT) | instid1(VALU_DEP_1)
	v_mov_b32_dpp v26, v3 row_shr:8 row_mask:0xf bank_mask:0xf
	v_cndmask_b32_e64 v26, 0, v26, s3
	s_delay_alu instid0(VALU_DEP_1) | instskip(SKIP_3) | instid1(VALU_DEP_1)
	v_add_nc_u32_e32 v3, v3, v26
	ds_swizzle_b32 v26, v3 offset:swizzle(BROADCAST,32,15)
	s_waitcnt lgkmcnt(0)
	v_cndmask_b32_e64 v26, v26, 0, s4
	v_add_nc_u32_e32 v3, v3, v26
	s_and_saveexec_b32 s9, s8
	s_cbranch_execz .LBB376_62
; %bb.61:                               ;   in Loop: Header=BB376_2 Depth=1
	ds_store_b32 v17, v3
.LBB376_62:                             ;   in Loop: Header=BB376_2 Depth=1
	s_or_b32 exec_lo, exec_lo, s9
	s_waitcnt lgkmcnt(0)
	s_barrier
	buffer_gl0_inv
	s_and_saveexec_b32 s9, s5
	s_cbranch_execz .LBB376_64
; %bb.63:                               ;   in Loop: Header=BB376_2 Depth=1
	ds_load_b32 v26, v19
	s_waitcnt lgkmcnt(0)
	v_mov_b32_dpp v27, v26 row_shr:1 row_mask:0xf bank_mask:0xf
	s_delay_alu instid0(VALU_DEP_1) | instskip(NEXT) | instid1(VALU_DEP_1)
	v_cndmask_b32_e64 v27, v27, 0, s0
	v_add_nc_u32_e32 v26, v27, v26
	s_delay_alu instid0(VALU_DEP_1) | instskip(NEXT) | instid1(VALU_DEP_1)
	v_mov_b32_dpp v27, v26 row_shr:2 row_mask:0xf bank_mask:0xf
	v_cndmask_b32_e64 v27, 0, v27, s1
	s_delay_alu instid0(VALU_DEP_1) | instskip(NEXT) | instid1(VALU_DEP_1)
	v_add_nc_u32_e32 v26, v26, v27
	v_mov_b32_dpp v27, v26 row_shr:4 row_mask:0xf bank_mask:0xf
	s_delay_alu instid0(VALU_DEP_1) | instskip(NEXT) | instid1(VALU_DEP_1)
	v_cndmask_b32_e64 v27, 0, v27, s2
	v_add_nc_u32_e32 v26, v26, v27
	s_delay_alu instid0(VALU_DEP_1) | instskip(NEXT) | instid1(VALU_DEP_1)
	v_mov_b32_dpp v27, v26 row_shr:8 row_mask:0xf bank_mask:0xf
	v_cndmask_b32_e64 v27, 0, v27, s3
	s_delay_alu instid0(VALU_DEP_1)
	v_add_nc_u32_e32 v26, v26, v27
	ds_store_b32 v19, v26
.LBB376_64:                             ;   in Loop: Header=BB376_2 Depth=1
	s_or_b32 exec_lo, exec_lo, s9
	v_mov_b32_e32 v26, 0
	s_waitcnt lgkmcnt(0)
	s_barrier
	buffer_gl0_inv
	s_and_saveexec_b32 s9, s6
	s_cbranch_execz .LBB376_1
; %bb.65:                               ;   in Loop: Header=BB376_2 Depth=1
	ds_load_b32 v26, v20
	s_branch .LBB376_1
.LBB376_66:
	s_waitcnt lgkmcnt(0)
	v_xor_b32_e32 v1, 0x80000000, v14
	v_xor_b32_e32 v0, 0x80000000, v13
	v_lshlrev_b32_e32 v2, 3, v8
	s_add_u32 s0, s18, s12
	s_addc_u32 s1, s19, s13
	global_store_b64 v2, v[0:1], s[0:1]
	s_nop 0
	s_sendmsg sendmsg(MSG_DEALLOC_VGPRS)
	s_endpgm
	.section	.rodata,"a",@progbits
	.p2align	6, 0x0
	.amdhsa_kernel _Z16sort_keys_kernelI22helper_blocked_stripedN15benchmark_utils11custom_typeIiiEELj512ELj1ELj10EEvPKT0_PS4_
		.amdhsa_group_segment_fixed_size 16448
		.amdhsa_private_segment_fixed_size 0
		.amdhsa_kernarg_size 272
		.amdhsa_user_sgpr_count 15
		.amdhsa_user_sgpr_dispatch_ptr 0
		.amdhsa_user_sgpr_queue_ptr 0
		.amdhsa_user_sgpr_kernarg_segment_ptr 1
		.amdhsa_user_sgpr_dispatch_id 0
		.amdhsa_user_sgpr_private_segment_size 0
		.amdhsa_wavefront_size32 1
		.amdhsa_uses_dynamic_stack 0
		.amdhsa_enable_private_segment 0
		.amdhsa_system_sgpr_workgroup_id_x 1
		.amdhsa_system_sgpr_workgroup_id_y 0
		.amdhsa_system_sgpr_workgroup_id_z 0
		.amdhsa_system_sgpr_workgroup_info 0
		.amdhsa_system_vgpr_workitem_id 2
		.amdhsa_next_free_vgpr 28
		.amdhsa_next_free_sgpr 22
		.amdhsa_reserve_vcc 1
		.amdhsa_float_round_mode_32 0
		.amdhsa_float_round_mode_16_64 0
		.amdhsa_float_denorm_mode_32 3
		.amdhsa_float_denorm_mode_16_64 3
		.amdhsa_dx10_clamp 1
		.amdhsa_ieee_mode 1
		.amdhsa_fp16_overflow 0
		.amdhsa_workgroup_processor_mode 1
		.amdhsa_memory_ordered 1
		.amdhsa_forward_progress 0
		.amdhsa_shared_vgpr_count 0
		.amdhsa_exception_fp_ieee_invalid_op 0
		.amdhsa_exception_fp_denorm_src 0
		.amdhsa_exception_fp_ieee_div_zero 0
		.amdhsa_exception_fp_ieee_overflow 0
		.amdhsa_exception_fp_ieee_underflow 0
		.amdhsa_exception_fp_ieee_inexact 0
		.amdhsa_exception_int_div_zero 0
	.end_amdhsa_kernel
	.section	.text._Z16sort_keys_kernelI22helper_blocked_stripedN15benchmark_utils11custom_typeIiiEELj512ELj1ELj10EEvPKT0_PS4_,"axG",@progbits,_Z16sort_keys_kernelI22helper_blocked_stripedN15benchmark_utils11custom_typeIiiEELj512ELj1ELj10EEvPKT0_PS4_,comdat
.Lfunc_end376:
	.size	_Z16sort_keys_kernelI22helper_blocked_stripedN15benchmark_utils11custom_typeIiiEELj512ELj1ELj10EEvPKT0_PS4_, .Lfunc_end376-_Z16sort_keys_kernelI22helper_blocked_stripedN15benchmark_utils11custom_typeIiiEELj512ELj1ELj10EEvPKT0_PS4_
                                        ; -- End function
	.section	.AMDGPU.csdata,"",@progbits
; Kernel info:
; codeLenInByte = 8320
; NumSgprs: 24
; NumVgprs: 28
; ScratchSize: 0
; MemoryBound: 0
; FloatMode: 240
; IeeeMode: 1
; LDSByteSize: 16448 bytes/workgroup (compile time only)
; SGPRBlocks: 2
; VGPRBlocks: 3
; NumSGPRsForWavesPerEU: 24
; NumVGPRsForWavesPerEU: 28
; Occupancy: 16
; WaveLimiterHint : 0
; COMPUTE_PGM_RSRC2:SCRATCH_EN: 0
; COMPUTE_PGM_RSRC2:USER_SGPR: 15
; COMPUTE_PGM_RSRC2:TRAP_HANDLER: 0
; COMPUTE_PGM_RSRC2:TGID_X_EN: 1
; COMPUTE_PGM_RSRC2:TGID_Y_EN: 0
; COMPUTE_PGM_RSRC2:TGID_Z_EN: 0
; COMPUTE_PGM_RSRC2:TIDIG_COMP_CNT: 2
	.section	.text._Z17sort_pairs_kernelI22helper_blocked_stripedN15benchmark_utils11custom_typeIiiEELj512ELj1ELj10EEvPKT0_PS4_,"axG",@progbits,_Z17sort_pairs_kernelI22helper_blocked_stripedN15benchmark_utils11custom_typeIiiEELj512ELj1ELj10EEvPKT0_PS4_,comdat
	.protected	_Z17sort_pairs_kernelI22helper_blocked_stripedN15benchmark_utils11custom_typeIiiEELj512ELj1ELj10EEvPKT0_PS4_ ; -- Begin function _Z17sort_pairs_kernelI22helper_blocked_stripedN15benchmark_utils11custom_typeIiiEELj512ELj1ELj10EEvPKT0_PS4_
	.globl	_Z17sort_pairs_kernelI22helper_blocked_stripedN15benchmark_utils11custom_typeIiiEELj512ELj1ELj10EEvPKT0_PS4_
	.p2align	8
	.type	_Z17sort_pairs_kernelI22helper_blocked_stripedN15benchmark_utils11custom_typeIiiEELj512ELj1ELj10EEvPKT0_PS4_,@function
_Z17sort_pairs_kernelI22helper_blocked_stripedN15benchmark_utils11custom_typeIiiEELj512ELj1ELj10EEvPKT0_PS4_: ; @_Z17sort_pairs_kernelI22helper_blocked_stripedN15benchmark_utils11custom_typeIiiEELj512ELj1ELj10EEvPKT0_PS4_
; %bb.0:
	s_clause 0x1
	s_load_b128 s[16:19], s[0:1], 0x0
	s_load_b32 s8, s[0:1], 0x1c
	s_mov_b32 s21, 0
	s_lshl_b32 s20, s15, 9
	s_mov_b32 s14, s21
	s_mov_b32 s15, s21
	v_dual_mov_b32 v9, s14 :: v_dual_and_b32 v8, 0x3ff, v0
	s_lshl_b64 s[12:13], s[20:21], 3
	v_mov_b32_e32 v10, s15
	v_mbcnt_lo_u32_b32 v5, -1, 0
	s_delay_alu instid0(VALU_DEP_3)
	v_lshlrev_b32_e32 v1, 3, v8
	v_bfe_u32 v3, v0, 10, 10
	v_bfe_u32 v0, v0, 20, 10
	s_mov_b32 s20, s21
	v_and_b32_e32 v6, 16, v5
	v_add_nc_u32_e32 v7, -1, v5
	v_dual_mov_b32 v11, s20 :: v_dual_and_b32 v4, 15, v5
	v_mov_b32_e32 v12, s21
	s_waitcnt lgkmcnt(0)
	s_add_u32 s0, s16, s12
	s_addc_u32 s1, s17, s13
	s_lshr_b32 s9, s8, 16
	global_load_b64 v[1:2], v1, s[0:1]
	v_mad_u32_u24 v0, v0, s9, v3
	v_lshlrev_b32_e32 v19, 5, v8
	v_cmp_eq_u32_e64 s4, 0, v6
	v_and_b32_e32 v6, 0x1e0, v8
	v_cmp_gt_i32_e64 s7, 0, v7
	v_lshrrev_b32_e32 v13, 3, v8
	s_and_b32 s8, s8, 0xffff
	v_cmp_eq_u32_e64 s0, 0, v4
	v_cmp_lt_u32_e64 s1, 1, v4
	v_cmp_lt_u32_e64 s2, 3, v4
	;; [unrolled: 1-line block ×3, first 2 shown]
	v_mad_u64_u32 v[3:4], null, v0, s8, v[8:9]
	v_cndmask_b32_e64 v7, v7, v5, s7
	v_lshlrev_b32_e32 v17, 2, v8
	v_or_b32_e32 v14, 31, v6
	v_and_b32_e32 v21, 60, v13
	v_or_b32_e32 v0, v5, v6
	v_mad_i32_i24 v23, 0xffffffe4, v8, v19
	v_cmp_eq_u32_e32 vcc_lo, 0, v5
	v_cmp_gt_u32_e64 s5, 16, v8
	v_cmp_lt_u32_e64 s6, 31, v8
	v_cmp_eq_u32_e64 s7, 0, v8
	v_add_nc_u32_e32 v20, 64, v19
	v_lshlrev_b32_e32 v22, 2, v7
	v_cmp_eq_u32_e64 s8, v14, v8
	v_add_nc_u32_e32 v24, -4, v21
	v_lshlrev_b32_e32 v25, 3, v0
	v_lshrrev_b32_e32 v26, 5, v3
	v_add_nc_u32_e32 v27, v23, v17
	s_mov_b32 s16, 10
	s_waitcnt vmcnt(0)
	v_add_nc_u32_e32 v13, 1, v1
	v_add_nc_u32_e32 v14, 1, v2
	v_xor_b32_e32 v15, 0x80000000, v1
	v_xor_b32_e32 v16, 0x80000000, v2
	s_branch .LBB377_2
.LBB377_1:                              ;   in Loop: Header=BB377_2 Depth=1
	s_or_b32 exec_lo, exec_lo, s9
	s_waitcnt lgkmcnt(0)
	v_add_nc_u32_e32 v3, v28, v3
	s_add_i32 s16, s16, -1
	s_delay_alu instid0(SALU_CYCLE_1) | instskip(SKIP_3) | instid1(VALU_DEP_1)
	s_cmp_lg_u32 s16, 0
	ds_bpermute_b32 v3, v22, v3
	s_waitcnt lgkmcnt(0)
	v_cndmask_b32_e32 v3, v3, v28, vcc_lo
	v_cndmask_b32_e64 v3, v3, 0, s7
	s_delay_alu instid0(VALU_DEP_1) | instskip(NEXT) | instid1(VALU_DEP_1)
	v_add_nc_u32_e32 v4, v3, v4
	v_add_nc_u32_e32 v5, v4, v5
	s_delay_alu instid0(VALU_DEP_1) | instskip(NEXT) | instid1(VALU_DEP_1)
	v_add_nc_u32_e32 v6, v5, v6
	v_add_nc_u32_e32 v28, v6, v7
	;; [unrolled: 3-line block ×3, first 2 shown]
	s_delay_alu instid0(VALU_DEP_1)
	v_add_nc_u32_e32 v1, v0, v2
	ds_store_2addr_b64 v19, v[3:4], v[5:6] offset0:8 offset1:9
	ds_store_2addr_b64 v20, v[28:29], v[0:1] offset0:2 offset1:3
	s_waitcnt lgkmcnt(0)
	s_barrier
	buffer_gl0_inv
	ds_load_b32 v0, v16
	v_lshlrev_b32_e32 v1, 3, v15
	s_waitcnt lgkmcnt(0)
	s_barrier
	buffer_gl0_inv
	v_lshl_add_u32 v0, v0, 3, v1
	ds_store_b64 v0, v[13:14]
	s_waitcnt lgkmcnt(0)
	s_barrier
	buffer_gl0_inv
	ds_load_b64 v[15:16], v27
	s_waitcnt lgkmcnt(0)
	s_barrier
	buffer_gl0_inv
	ds_store_b64 v0, v[17:18]
	s_waitcnt lgkmcnt(0)
	s_barrier
	buffer_gl0_inv
	ds_load_b64 v[13:14], v27
	s_cbranch_scc0 .LBB377_66
.LBB377_2:                              ; =>This Inner Loop Header: Depth=1
	s_delay_alu instid0(VALU_DEP_1)
	v_and_b32_e32 v0, 1, v16
	v_lshlrev_b32_e32 v1, 30, v16
	v_lshlrev_b32_e32 v2, 29, v16
	;; [unrolled: 1-line block ×4, first 2 shown]
	v_add_co_u32 v0, s9, v0, -1
	s_delay_alu instid0(VALU_DEP_1)
	v_cndmask_b32_e64 v3, 0, 1, s9
	v_not_b32_e32 v7, v1
	v_cmp_gt_i32_e64 s10, 0, v1
	v_not_b32_e32 v1, v2
	v_lshlrev_b32_e32 v6, 26, v16
	v_cmp_ne_u32_e64 s9, 0, v3
	v_ashrrev_i32_e32 v7, 31, v7
	v_lshlrev_b32_e32 v3, 25, v16
	v_ashrrev_i32_e32 v1, 31, v1
	v_cmp_gt_i32_e64 s11, 0, v5
	v_xor_b32_e32 v0, s9, v0
	v_cmp_gt_i32_e64 s9, 0, v2
	v_not_b32_e32 v2, v4
	v_xor_b32_e32 v7, s10, v7
	v_cmp_gt_i32_e64 s10, 0, v4
	v_and_b32_e32 v0, exec_lo, v0
	v_xor_b32_e32 v1, s9, v1
	v_ashrrev_i32_e32 v2, 31, v2
	v_not_b32_e32 v4, v5
	v_not_b32_e32 v5, v6
	v_and_b32_e32 v0, v0, v7
	v_cmp_gt_i32_e64 s9, 0, v6
	v_xor_b32_e32 v2, s10, v2
	v_not_b32_e32 v6, v3
	ds_store_2addr_b64 v19, v[11:12], v[9:10] offset0:8 offset1:9
	ds_store_2addr_b64 v20, v[11:12], v[9:10] offset0:2 offset1:3
	v_and_b32_e32 v0, v0, v1
	v_ashrrev_i32_e32 v1, 31, v4
	v_ashrrev_i32_e32 v4, 31, v5
	v_lshlrev_b32_e32 v5, 24, v16
	s_waitcnt lgkmcnt(0)
	v_and_b32_e32 v0, v0, v2
	v_xor_b32_e32 v1, s11, v1
	v_xor_b32_e32 v2, s9, v4
	v_cmp_gt_i32_e64 s9, 0, v3
	v_not_b32_e32 v3, v5
	v_ashrrev_i32_e32 v4, 31, v6
	v_and_b32_e32 v0, v0, v1
	v_cmp_gt_i32_e64 s10, 0, v5
	s_barrier
	v_ashrrev_i32_e32 v1, 31, v3
	v_xor_b32_e32 v3, s9, v4
	v_and_b32_e32 v0, v0, v2
	buffer_gl0_inv
	v_xor_b32_e32 v1, s10, v1
	; wave barrier
	v_and_b32_e32 v0, v0, v3
	s_delay_alu instid0(VALU_DEP_1) | instskip(SKIP_1) | instid1(VALU_DEP_2)
	v_and_b32_e32 v0, v0, v1
	v_and_b32_e32 v1, 0xff, v16
	v_mbcnt_lo_u32_b32 v17, v0, 0
	s_delay_alu instid0(VALU_DEP_2) | instskip(SKIP_1) | instid1(VALU_DEP_3)
	v_lshl_add_u32 v1, v1, 4, v26
	v_cmp_ne_u32_e64 s10, 0, v0
	v_cmp_eq_u32_e64 s9, 0, v17
	s_delay_alu instid0(VALU_DEP_3) | instskip(NEXT) | instid1(VALU_DEP_2)
	v_lshl_add_u32 v18, v1, 2, 64
	s_and_b32 s10, s10, s9
	s_delay_alu instid0(SALU_CYCLE_1)
	s_and_saveexec_b32 s9, s10
	s_cbranch_execz .LBB377_4
; %bb.3:                                ;   in Loop: Header=BB377_2 Depth=1
	v_bcnt_u32_b32 v0, v0, 0
	ds_store_b32 v18, v0
.LBB377_4:                              ;   in Loop: Header=BB377_2 Depth=1
	s_or_b32 exec_lo, exec_lo, s9
	; wave barrier
	s_waitcnt lgkmcnt(0)
	s_barrier
	buffer_gl0_inv
	ds_load_2addr_b64 v[4:7], v19 offset0:8 offset1:9
	ds_load_2addr_b64 v[0:3], v20 offset0:2 offset1:3
	s_waitcnt lgkmcnt(1)
	v_add_nc_u32_e32 v28, v5, v4
	s_delay_alu instid0(VALU_DEP_1) | instskip(SKIP_1) | instid1(VALU_DEP_1)
	v_add3_u32 v28, v28, v6, v7
	s_waitcnt lgkmcnt(0)
	v_add3_u32 v28, v28, v0, v1
	s_delay_alu instid0(VALU_DEP_1) | instskip(NEXT) | instid1(VALU_DEP_1)
	v_add3_u32 v3, v28, v2, v3
	v_mov_b32_dpp v28, v3 row_shr:1 row_mask:0xf bank_mask:0xf
	s_delay_alu instid0(VALU_DEP_1) | instskip(NEXT) | instid1(VALU_DEP_1)
	v_cndmask_b32_e64 v28, v28, 0, s0
	v_add_nc_u32_e32 v3, v28, v3
	s_delay_alu instid0(VALU_DEP_1) | instskip(NEXT) | instid1(VALU_DEP_1)
	v_mov_b32_dpp v28, v3 row_shr:2 row_mask:0xf bank_mask:0xf
	v_cndmask_b32_e64 v28, 0, v28, s1
	s_delay_alu instid0(VALU_DEP_1) | instskip(NEXT) | instid1(VALU_DEP_1)
	v_add_nc_u32_e32 v3, v3, v28
	v_mov_b32_dpp v28, v3 row_shr:4 row_mask:0xf bank_mask:0xf
	s_delay_alu instid0(VALU_DEP_1) | instskip(NEXT) | instid1(VALU_DEP_1)
	v_cndmask_b32_e64 v28, 0, v28, s2
	v_add_nc_u32_e32 v3, v3, v28
	s_delay_alu instid0(VALU_DEP_1) | instskip(NEXT) | instid1(VALU_DEP_1)
	v_mov_b32_dpp v28, v3 row_shr:8 row_mask:0xf bank_mask:0xf
	v_cndmask_b32_e64 v28, 0, v28, s3
	s_delay_alu instid0(VALU_DEP_1) | instskip(SKIP_3) | instid1(VALU_DEP_1)
	v_add_nc_u32_e32 v3, v3, v28
	ds_swizzle_b32 v28, v3 offset:swizzle(BROADCAST,32,15)
	s_waitcnt lgkmcnt(0)
	v_cndmask_b32_e64 v28, v28, 0, s4
	v_add_nc_u32_e32 v3, v3, v28
	s_and_saveexec_b32 s9, s8
	s_cbranch_execz .LBB377_6
; %bb.5:                                ;   in Loop: Header=BB377_2 Depth=1
	ds_store_b32 v21, v3
.LBB377_6:                              ;   in Loop: Header=BB377_2 Depth=1
	s_or_b32 exec_lo, exec_lo, s9
	s_waitcnt lgkmcnt(0)
	s_barrier
	buffer_gl0_inv
	s_and_saveexec_b32 s9, s5
	s_cbranch_execz .LBB377_8
; %bb.7:                                ;   in Loop: Header=BB377_2 Depth=1
	ds_load_b32 v28, v23
	s_waitcnt lgkmcnt(0)
	v_mov_b32_dpp v29, v28 row_shr:1 row_mask:0xf bank_mask:0xf
	s_delay_alu instid0(VALU_DEP_1) | instskip(NEXT) | instid1(VALU_DEP_1)
	v_cndmask_b32_e64 v29, v29, 0, s0
	v_add_nc_u32_e32 v28, v29, v28
	s_delay_alu instid0(VALU_DEP_1) | instskip(NEXT) | instid1(VALU_DEP_1)
	v_mov_b32_dpp v29, v28 row_shr:2 row_mask:0xf bank_mask:0xf
	v_cndmask_b32_e64 v29, 0, v29, s1
	s_delay_alu instid0(VALU_DEP_1) | instskip(NEXT) | instid1(VALU_DEP_1)
	v_add_nc_u32_e32 v28, v28, v29
	v_mov_b32_dpp v29, v28 row_shr:4 row_mask:0xf bank_mask:0xf
	s_delay_alu instid0(VALU_DEP_1) | instskip(NEXT) | instid1(VALU_DEP_1)
	v_cndmask_b32_e64 v29, 0, v29, s2
	v_add_nc_u32_e32 v28, v28, v29
	s_delay_alu instid0(VALU_DEP_1) | instskip(NEXT) | instid1(VALU_DEP_1)
	v_mov_b32_dpp v29, v28 row_shr:8 row_mask:0xf bank_mask:0xf
	v_cndmask_b32_e64 v29, 0, v29, s3
	s_delay_alu instid0(VALU_DEP_1)
	v_add_nc_u32_e32 v28, v28, v29
	ds_store_b32 v23, v28
.LBB377_8:                              ;   in Loop: Header=BB377_2 Depth=1
	s_or_b32 exec_lo, exec_lo, s9
	v_mov_b32_e32 v28, 0
	s_waitcnt lgkmcnt(0)
	s_barrier
	buffer_gl0_inv
	s_and_saveexec_b32 s9, s6
	s_cbranch_execz .LBB377_10
; %bb.9:                                ;   in Loop: Header=BB377_2 Depth=1
	ds_load_b32 v28, v24
.LBB377_10:                             ;   in Loop: Header=BB377_2 Depth=1
	s_or_b32 exec_lo, exec_lo, s9
	s_waitcnt lgkmcnt(0)
	v_add_nc_u32_e32 v3, v28, v3
	ds_bpermute_b32 v3, v22, v3
	s_waitcnt lgkmcnt(0)
	v_cndmask_b32_e32 v3, v3, v28, vcc_lo
	s_delay_alu instid0(VALU_DEP_1) | instskip(NEXT) | instid1(VALU_DEP_1)
	v_cndmask_b32_e64 v3, v3, 0, s7
	v_add_nc_u32_e32 v4, v3, v4
	s_delay_alu instid0(VALU_DEP_1) | instskip(NEXT) | instid1(VALU_DEP_1)
	v_add_nc_u32_e32 v5, v4, v5
	v_add_nc_u32_e32 v6, v5, v6
	s_delay_alu instid0(VALU_DEP_1) | instskip(NEXT) | instid1(VALU_DEP_1)
	v_add_nc_u32_e32 v28, v6, v7
	;; [unrolled: 3-line block ×3, first 2 shown]
	v_add_nc_u32_e32 v1, v0, v2
	ds_store_2addr_b64 v19, v[3:4], v[5:6] offset0:8 offset1:9
	ds_store_2addr_b64 v20, v[28:29], v[0:1] offset0:2 offset1:3
	s_waitcnt lgkmcnt(0)
	s_barrier
	buffer_gl0_inv
	ds_load_b32 v0, v18
	v_lshlrev_b32_e32 v1, 3, v17
	s_waitcnt lgkmcnt(0)
	s_barrier
	buffer_gl0_inv
	v_lshl_add_u32 v0, v0, 3, v1
	ds_store_b64 v0, v[15:16]
	s_waitcnt lgkmcnt(0)
	s_barrier
	buffer_gl0_inv
	ds_load_b64 v[17:18], v25
	s_waitcnt lgkmcnt(0)
	s_barrier
	buffer_gl0_inv
	ds_store_b64 v0, v[13:14]
	s_waitcnt lgkmcnt(0)
	s_barrier
	buffer_gl0_inv
	v_bfe_u32 v1, v18, 8, 1
	v_lshrrev_b32_e32 v2, 8, v18
	s_delay_alu instid0(VALU_DEP_2) | instskip(NEXT) | instid1(VALU_DEP_1)
	v_add_co_u32 v1, s9, v1, -1
	v_cndmask_b32_e64 v3, 0, 1, s9
	s_delay_alu instid0(VALU_DEP_3)
	v_lshlrev_b32_e32 v4, 30, v2
	v_lshlrev_b32_e32 v5, 29, v2
	;; [unrolled: 1-line block ×4, first 2 shown]
	v_cmp_ne_u32_e64 s9, 0, v3
	v_not_b32_e32 v3, v4
	v_cmp_gt_i32_e64 s10, 0, v4
	v_not_b32_e32 v4, v5
	v_lshlrev_b32_e32 v15, 26, v2
	v_xor_b32_e32 v1, s9, v1
	v_ashrrev_i32_e32 v3, 31, v3
	v_cmp_gt_i32_e64 s9, 0, v5
	v_not_b32_e32 v5, v6
	v_ashrrev_i32_e32 v4, 31, v4
	v_and_b32_e32 v1, exec_lo, v1
	v_xor_b32_e32 v3, s10, v3
	v_cmp_gt_i32_e64 s10, 0, v6
	v_not_b32_e32 v6, v7
	v_ashrrev_i32_e32 v5, 31, v5
	v_xor_b32_e32 v4, s9, v4
	v_and_b32_e32 v1, v1, v3
	v_lshlrev_b32_e32 v16, 25, v2
	v_cmp_gt_i32_e64 s9, 0, v7
	v_not_b32_e32 v3, v15
	v_ashrrev_i32_e32 v6, 31, v6
	v_xor_b32_e32 v5, s10, v5
	v_and_b32_e32 v1, v1, v4
	v_lshlrev_b32_e32 v2, 24, v2
	v_cmp_gt_i32_e64 s10, 0, v15
	v_not_b32_e32 v4, v16
	v_ashrrev_i32_e32 v3, 31, v3
	v_xor_b32_e32 v6, s9, v6
	v_and_b32_e32 v1, v1, v5
	v_cmp_gt_i32_e64 s9, 0, v16
	v_not_b32_e32 v5, v2
	v_ashrrev_i32_e32 v4, 31, v4
	v_xor_b32_e32 v3, s10, v3
	v_and_b32_e32 v1, v1, v6
	v_cmp_gt_i32_e64 s10, 0, v2
	v_ashrrev_i32_e32 v2, 31, v5
	v_xor_b32_e32 v4, s9, v4
	ds_load_b64 v[15:16], v25
	v_and_b32_e32 v1, v1, v3
	s_waitcnt lgkmcnt(0)
	v_xor_b32_e32 v0, s10, v2
	v_lshrrev_b32_e32 v2, 4, v18
	s_barrier
	v_and_b32_e32 v1, v1, v4
	buffer_gl0_inv
	ds_store_2addr_b64 v19, v[11:12], v[9:10] offset0:8 offset1:9
	ds_store_2addr_b64 v20, v[11:12], v[9:10] offset0:2 offset1:3
	s_waitcnt lgkmcnt(0)
	s_barrier
	v_and_b32_e32 v0, v1, v0
	v_and_b32_e32 v1, 0xff0, v2
	buffer_gl0_inv
	; wave barrier
	v_mbcnt_lo_u32_b32 v13, v0, 0
	v_add_nc_u32_e32 v1, v1, v26
	v_cmp_ne_u32_e64 s10, 0, v0
	s_delay_alu instid0(VALU_DEP_3) | instskip(NEXT) | instid1(VALU_DEP_3)
	v_cmp_eq_u32_e64 s9, 0, v13
	v_lshl_add_u32 v14, v1, 2, 64
	s_delay_alu instid0(VALU_DEP_2) | instskip(NEXT) | instid1(SALU_CYCLE_1)
	s_and_b32 s10, s10, s9
	s_and_saveexec_b32 s9, s10
	s_cbranch_execz .LBB377_12
; %bb.11:                               ;   in Loop: Header=BB377_2 Depth=1
	v_bcnt_u32_b32 v0, v0, 0
	ds_store_b32 v14, v0
.LBB377_12:                             ;   in Loop: Header=BB377_2 Depth=1
	s_or_b32 exec_lo, exec_lo, s9
	; wave barrier
	s_waitcnt lgkmcnt(0)
	s_barrier
	buffer_gl0_inv
	ds_load_2addr_b64 v[4:7], v19 offset0:8 offset1:9
	ds_load_2addr_b64 v[0:3], v20 offset0:2 offset1:3
	s_waitcnt lgkmcnt(1)
	v_add_nc_u32_e32 v28, v5, v4
	s_delay_alu instid0(VALU_DEP_1) | instskip(SKIP_1) | instid1(VALU_DEP_1)
	v_add3_u32 v28, v28, v6, v7
	s_waitcnt lgkmcnt(0)
	v_add3_u32 v28, v28, v0, v1
	s_delay_alu instid0(VALU_DEP_1) | instskip(NEXT) | instid1(VALU_DEP_1)
	v_add3_u32 v3, v28, v2, v3
	v_mov_b32_dpp v28, v3 row_shr:1 row_mask:0xf bank_mask:0xf
	s_delay_alu instid0(VALU_DEP_1) | instskip(NEXT) | instid1(VALU_DEP_1)
	v_cndmask_b32_e64 v28, v28, 0, s0
	v_add_nc_u32_e32 v3, v28, v3
	s_delay_alu instid0(VALU_DEP_1) | instskip(NEXT) | instid1(VALU_DEP_1)
	v_mov_b32_dpp v28, v3 row_shr:2 row_mask:0xf bank_mask:0xf
	v_cndmask_b32_e64 v28, 0, v28, s1
	s_delay_alu instid0(VALU_DEP_1) | instskip(NEXT) | instid1(VALU_DEP_1)
	v_add_nc_u32_e32 v3, v3, v28
	v_mov_b32_dpp v28, v3 row_shr:4 row_mask:0xf bank_mask:0xf
	s_delay_alu instid0(VALU_DEP_1) | instskip(NEXT) | instid1(VALU_DEP_1)
	v_cndmask_b32_e64 v28, 0, v28, s2
	v_add_nc_u32_e32 v3, v3, v28
	s_delay_alu instid0(VALU_DEP_1) | instskip(NEXT) | instid1(VALU_DEP_1)
	v_mov_b32_dpp v28, v3 row_shr:8 row_mask:0xf bank_mask:0xf
	v_cndmask_b32_e64 v28, 0, v28, s3
	s_delay_alu instid0(VALU_DEP_1) | instskip(SKIP_3) | instid1(VALU_DEP_1)
	v_add_nc_u32_e32 v3, v3, v28
	ds_swizzle_b32 v28, v3 offset:swizzle(BROADCAST,32,15)
	s_waitcnt lgkmcnt(0)
	v_cndmask_b32_e64 v28, v28, 0, s4
	v_add_nc_u32_e32 v3, v3, v28
	s_and_saveexec_b32 s9, s8
	s_cbranch_execz .LBB377_14
; %bb.13:                               ;   in Loop: Header=BB377_2 Depth=1
	ds_store_b32 v21, v3
.LBB377_14:                             ;   in Loop: Header=BB377_2 Depth=1
	s_or_b32 exec_lo, exec_lo, s9
	s_waitcnt lgkmcnt(0)
	s_barrier
	buffer_gl0_inv
	s_and_saveexec_b32 s9, s5
	s_cbranch_execz .LBB377_16
; %bb.15:                               ;   in Loop: Header=BB377_2 Depth=1
	ds_load_b32 v28, v23
	s_waitcnt lgkmcnt(0)
	v_mov_b32_dpp v29, v28 row_shr:1 row_mask:0xf bank_mask:0xf
	s_delay_alu instid0(VALU_DEP_1) | instskip(NEXT) | instid1(VALU_DEP_1)
	v_cndmask_b32_e64 v29, v29, 0, s0
	v_add_nc_u32_e32 v28, v29, v28
	s_delay_alu instid0(VALU_DEP_1) | instskip(NEXT) | instid1(VALU_DEP_1)
	v_mov_b32_dpp v29, v28 row_shr:2 row_mask:0xf bank_mask:0xf
	v_cndmask_b32_e64 v29, 0, v29, s1
	s_delay_alu instid0(VALU_DEP_1) | instskip(NEXT) | instid1(VALU_DEP_1)
	v_add_nc_u32_e32 v28, v28, v29
	v_mov_b32_dpp v29, v28 row_shr:4 row_mask:0xf bank_mask:0xf
	s_delay_alu instid0(VALU_DEP_1) | instskip(NEXT) | instid1(VALU_DEP_1)
	v_cndmask_b32_e64 v29, 0, v29, s2
	v_add_nc_u32_e32 v28, v28, v29
	s_delay_alu instid0(VALU_DEP_1) | instskip(NEXT) | instid1(VALU_DEP_1)
	v_mov_b32_dpp v29, v28 row_shr:8 row_mask:0xf bank_mask:0xf
	v_cndmask_b32_e64 v29, 0, v29, s3
	s_delay_alu instid0(VALU_DEP_1)
	v_add_nc_u32_e32 v28, v28, v29
	ds_store_b32 v23, v28
.LBB377_16:                             ;   in Loop: Header=BB377_2 Depth=1
	s_or_b32 exec_lo, exec_lo, s9
	v_mov_b32_e32 v28, 0
	s_waitcnt lgkmcnt(0)
	s_barrier
	buffer_gl0_inv
	s_and_saveexec_b32 s9, s6
	s_cbranch_execz .LBB377_18
; %bb.17:                               ;   in Loop: Header=BB377_2 Depth=1
	ds_load_b32 v28, v24
.LBB377_18:                             ;   in Loop: Header=BB377_2 Depth=1
	s_or_b32 exec_lo, exec_lo, s9
	s_waitcnt lgkmcnt(0)
	v_add_nc_u32_e32 v3, v28, v3
	ds_bpermute_b32 v3, v22, v3
	s_waitcnt lgkmcnt(0)
	v_cndmask_b32_e32 v3, v3, v28, vcc_lo
	s_delay_alu instid0(VALU_DEP_1) | instskip(NEXT) | instid1(VALU_DEP_1)
	v_cndmask_b32_e64 v3, v3, 0, s7
	v_add_nc_u32_e32 v4, v3, v4
	s_delay_alu instid0(VALU_DEP_1) | instskip(NEXT) | instid1(VALU_DEP_1)
	v_add_nc_u32_e32 v5, v4, v5
	v_add_nc_u32_e32 v6, v5, v6
	s_delay_alu instid0(VALU_DEP_1) | instskip(NEXT) | instid1(VALU_DEP_1)
	v_add_nc_u32_e32 v28, v6, v7
	;; [unrolled: 3-line block ×3, first 2 shown]
	v_add_nc_u32_e32 v1, v0, v2
	ds_store_2addr_b64 v19, v[3:4], v[5:6] offset0:8 offset1:9
	ds_store_2addr_b64 v20, v[28:29], v[0:1] offset0:2 offset1:3
	s_waitcnt lgkmcnt(0)
	s_barrier
	buffer_gl0_inv
	ds_load_b32 v0, v14
	v_lshlrev_b32_e32 v1, 3, v13
	s_waitcnt lgkmcnt(0)
	s_barrier
	buffer_gl0_inv
	v_lshl_add_u32 v0, v0, 3, v1
	v_dual_mov_b32 v1, s20 :: v_dual_mov_b32 v2, s21
	ds_store_b64 v0, v[17:18]
	s_waitcnt lgkmcnt(0)
	s_barrier
	buffer_gl0_inv
	ds_load_b64 v[13:14], v25
	s_waitcnt lgkmcnt(0)
	s_barrier
	buffer_gl0_inv
	ds_store_b64 v0, v[15:16]
	s_waitcnt lgkmcnt(0)
	s_barrier
	buffer_gl0_inv
	ds_load_b64 v[15:16], v25
	s_waitcnt lgkmcnt(0)
	s_barrier
	buffer_gl0_inv
	v_bfe_u32 v3, v14, 16, 1
	v_lshrrev_b32_e32 v4, 16, v14
	s_delay_alu instid0(VALU_DEP_2) | instskip(NEXT) | instid1(VALU_DEP_1)
	v_add_co_u32 v3, s9, v3, -1
	v_cndmask_b32_e64 v5, 0, 1, s9
	s_delay_alu instid0(VALU_DEP_3)
	v_lshlrev_b32_e32 v6, 30, v4
	v_lshlrev_b32_e32 v7, 29, v4
	;; [unrolled: 1-line block ×4, first 2 shown]
	v_cmp_ne_u32_e64 s9, 0, v5
	v_not_b32_e32 v5, v6
	v_cmp_gt_i32_e64 s10, 0, v6
	v_not_b32_e32 v6, v7
	v_lshlrev_b32_e32 v28, 26, v4
	v_xor_b32_e32 v3, s9, v3
	v_ashrrev_i32_e32 v5, 31, v5
	v_cmp_gt_i32_e64 s9, 0, v7
	v_not_b32_e32 v7, v17
	v_ashrrev_i32_e32 v6, 31, v6
	v_and_b32_e32 v3, exec_lo, v3
	v_xor_b32_e32 v5, s10, v5
	v_cmp_gt_i32_e64 s10, 0, v17
	v_not_b32_e32 v17, v18
	v_ashrrev_i32_e32 v7, 31, v7
	v_xor_b32_e32 v6, s9, v6
	v_and_b32_e32 v3, v3, v5
	v_lshlrev_b32_e32 v29, 25, v4
	v_cmp_gt_i32_e64 s9, 0, v18
	v_not_b32_e32 v5, v28
	v_ashrrev_i32_e32 v17, 31, v17
	v_xor_b32_e32 v7, s10, v7
	v_and_b32_e32 v3, v3, v6
	v_lshlrev_b32_e32 v4, 24, v4
	v_cmp_gt_i32_e64 s10, 0, v28
	v_not_b32_e32 v6, v29
	v_ashrrev_i32_e32 v5, 31, v5
	v_xor_b32_e32 v17, s9, v17
	v_and_b32_e32 v3, v3, v7
	v_cmp_gt_i32_e64 s9, 0, v29
	v_not_b32_e32 v7, v4
	v_ashrrev_i32_e32 v6, 31, v6
	v_xor_b32_e32 v5, s10, v5
	v_and_b32_e32 v3, v3, v17
	v_cmp_gt_i32_e64 s10, 0, v4
	v_ashrrev_i32_e32 v4, 31, v7
	v_xor_b32_e32 v6, s9, v6
	s_delay_alu instid0(VALU_DEP_4) | instskip(NEXT) | instid1(VALU_DEP_3)
	v_and_b32_e32 v3, v3, v5
	v_xor_b32_e32 v0, s10, v4
	s_delay_alu instid0(VALU_DEP_2)
	v_and_b32_e32 v5, v3, v6
	v_mov_b32_e32 v3, s14
	v_lshrrev_b32_e32 v6, 12, v14
	v_mov_b32_e32 v4, s15
	ds_store_2addr_b64 v19, v[1:2], v[3:4] offset0:8 offset1:9
	ds_store_2addr_b64 v20, v[1:2], v[3:4] offset0:2 offset1:3
	v_and_b32_e32 v0, v5, v0
	v_and_b32_e32 v5, 0xff0, v6
	s_waitcnt lgkmcnt(0)
	s_barrier
	buffer_gl0_inv
	v_mbcnt_lo_u32_b32 v17, v0, 0
	v_add_nc_u32_e32 v1, v5, v26
	v_cmp_ne_u32_e64 s10, 0, v0
	; wave barrier
	s_delay_alu instid0(VALU_DEP_3) | instskip(NEXT) | instid1(VALU_DEP_3)
	v_cmp_eq_u32_e64 s9, 0, v17
	v_lshl_add_u32 v18, v1, 2, 64
	s_delay_alu instid0(VALU_DEP_2) | instskip(NEXT) | instid1(SALU_CYCLE_1)
	s_and_b32 s10, s10, s9
	s_and_saveexec_b32 s9, s10
	s_cbranch_execz .LBB377_20
; %bb.19:                               ;   in Loop: Header=BB377_2 Depth=1
	v_bcnt_u32_b32 v0, v0, 0
	ds_store_b32 v18, v0
.LBB377_20:                             ;   in Loop: Header=BB377_2 Depth=1
	s_or_b32 exec_lo, exec_lo, s9
	; wave barrier
	s_waitcnt lgkmcnt(0)
	s_barrier
	buffer_gl0_inv
	ds_load_2addr_b64 v[4:7], v19 offset0:8 offset1:9
	ds_load_2addr_b64 v[0:3], v20 offset0:2 offset1:3
	s_waitcnt lgkmcnt(1)
	v_add_nc_u32_e32 v28, v5, v4
	s_delay_alu instid0(VALU_DEP_1) | instskip(SKIP_1) | instid1(VALU_DEP_1)
	v_add3_u32 v28, v28, v6, v7
	s_waitcnt lgkmcnt(0)
	v_add3_u32 v28, v28, v0, v1
	s_delay_alu instid0(VALU_DEP_1) | instskip(NEXT) | instid1(VALU_DEP_1)
	v_add3_u32 v3, v28, v2, v3
	v_mov_b32_dpp v28, v3 row_shr:1 row_mask:0xf bank_mask:0xf
	s_delay_alu instid0(VALU_DEP_1) | instskip(NEXT) | instid1(VALU_DEP_1)
	v_cndmask_b32_e64 v28, v28, 0, s0
	v_add_nc_u32_e32 v3, v28, v3
	s_delay_alu instid0(VALU_DEP_1) | instskip(NEXT) | instid1(VALU_DEP_1)
	v_mov_b32_dpp v28, v3 row_shr:2 row_mask:0xf bank_mask:0xf
	v_cndmask_b32_e64 v28, 0, v28, s1
	s_delay_alu instid0(VALU_DEP_1) | instskip(NEXT) | instid1(VALU_DEP_1)
	v_add_nc_u32_e32 v3, v3, v28
	v_mov_b32_dpp v28, v3 row_shr:4 row_mask:0xf bank_mask:0xf
	s_delay_alu instid0(VALU_DEP_1) | instskip(NEXT) | instid1(VALU_DEP_1)
	v_cndmask_b32_e64 v28, 0, v28, s2
	v_add_nc_u32_e32 v3, v3, v28
	s_delay_alu instid0(VALU_DEP_1) | instskip(NEXT) | instid1(VALU_DEP_1)
	v_mov_b32_dpp v28, v3 row_shr:8 row_mask:0xf bank_mask:0xf
	v_cndmask_b32_e64 v28, 0, v28, s3
	s_delay_alu instid0(VALU_DEP_1) | instskip(SKIP_3) | instid1(VALU_DEP_1)
	v_add_nc_u32_e32 v3, v3, v28
	ds_swizzle_b32 v28, v3 offset:swizzle(BROADCAST,32,15)
	s_waitcnt lgkmcnt(0)
	v_cndmask_b32_e64 v28, v28, 0, s4
	v_add_nc_u32_e32 v3, v3, v28
	s_and_saveexec_b32 s9, s8
	s_cbranch_execz .LBB377_22
; %bb.21:                               ;   in Loop: Header=BB377_2 Depth=1
	ds_store_b32 v21, v3
.LBB377_22:                             ;   in Loop: Header=BB377_2 Depth=1
	s_or_b32 exec_lo, exec_lo, s9
	s_waitcnt lgkmcnt(0)
	s_barrier
	buffer_gl0_inv
	s_and_saveexec_b32 s9, s5
	s_cbranch_execz .LBB377_24
; %bb.23:                               ;   in Loop: Header=BB377_2 Depth=1
	ds_load_b32 v28, v23
	s_waitcnt lgkmcnt(0)
	v_mov_b32_dpp v29, v28 row_shr:1 row_mask:0xf bank_mask:0xf
	s_delay_alu instid0(VALU_DEP_1) | instskip(NEXT) | instid1(VALU_DEP_1)
	v_cndmask_b32_e64 v29, v29, 0, s0
	v_add_nc_u32_e32 v28, v29, v28
	s_delay_alu instid0(VALU_DEP_1) | instskip(NEXT) | instid1(VALU_DEP_1)
	v_mov_b32_dpp v29, v28 row_shr:2 row_mask:0xf bank_mask:0xf
	v_cndmask_b32_e64 v29, 0, v29, s1
	s_delay_alu instid0(VALU_DEP_1) | instskip(NEXT) | instid1(VALU_DEP_1)
	v_add_nc_u32_e32 v28, v28, v29
	v_mov_b32_dpp v29, v28 row_shr:4 row_mask:0xf bank_mask:0xf
	s_delay_alu instid0(VALU_DEP_1) | instskip(NEXT) | instid1(VALU_DEP_1)
	v_cndmask_b32_e64 v29, 0, v29, s2
	v_add_nc_u32_e32 v28, v28, v29
	s_delay_alu instid0(VALU_DEP_1) | instskip(NEXT) | instid1(VALU_DEP_1)
	v_mov_b32_dpp v29, v28 row_shr:8 row_mask:0xf bank_mask:0xf
	v_cndmask_b32_e64 v29, 0, v29, s3
	s_delay_alu instid0(VALU_DEP_1)
	v_add_nc_u32_e32 v28, v28, v29
	ds_store_b32 v23, v28
.LBB377_24:                             ;   in Loop: Header=BB377_2 Depth=1
	s_or_b32 exec_lo, exec_lo, s9
	v_mov_b32_e32 v28, 0
	s_waitcnt lgkmcnt(0)
	s_barrier
	buffer_gl0_inv
	s_and_saveexec_b32 s9, s6
	s_cbranch_execz .LBB377_26
; %bb.25:                               ;   in Loop: Header=BB377_2 Depth=1
	ds_load_b32 v28, v24
.LBB377_26:                             ;   in Loop: Header=BB377_2 Depth=1
	s_or_b32 exec_lo, exec_lo, s9
	s_waitcnt lgkmcnt(0)
	v_add_nc_u32_e32 v3, v28, v3
	ds_bpermute_b32 v3, v22, v3
	s_waitcnt lgkmcnt(0)
	v_cndmask_b32_e32 v3, v3, v28, vcc_lo
	s_delay_alu instid0(VALU_DEP_1) | instskip(NEXT) | instid1(VALU_DEP_1)
	v_cndmask_b32_e64 v3, v3, 0, s7
	v_add_nc_u32_e32 v4, v3, v4
	s_delay_alu instid0(VALU_DEP_1) | instskip(NEXT) | instid1(VALU_DEP_1)
	v_add_nc_u32_e32 v5, v4, v5
	v_add_nc_u32_e32 v6, v5, v6
	s_delay_alu instid0(VALU_DEP_1) | instskip(NEXT) | instid1(VALU_DEP_1)
	v_add_nc_u32_e32 v28, v6, v7
	;; [unrolled: 3-line block ×3, first 2 shown]
	v_add_nc_u32_e32 v1, v0, v2
	ds_store_2addr_b64 v19, v[3:4], v[5:6] offset0:8 offset1:9
	ds_store_2addr_b64 v20, v[28:29], v[0:1] offset0:2 offset1:3
	s_waitcnt lgkmcnt(0)
	s_barrier
	buffer_gl0_inv
	ds_load_b32 v0, v18
	v_lshlrev_b32_e32 v1, 3, v17
	s_waitcnt lgkmcnt(0)
	s_barrier
	buffer_gl0_inv
	v_lshl_add_u32 v0, v0, 3, v1
	ds_store_b64 v0, v[13:14]
	s_waitcnt lgkmcnt(0)
	s_barrier
	buffer_gl0_inv
	ds_load_b64 v[13:14], v25
	s_waitcnt lgkmcnt(0)
	s_barrier
	buffer_gl0_inv
	ds_store_b64 v0, v[15:16]
	s_waitcnt lgkmcnt(0)
	s_barrier
	buffer_gl0_inv
	ds_load_b64 v[15:16], v25
	s_waitcnt lgkmcnt(0)
	s_barrier
	buffer_gl0_inv
	v_bfe_u32 v1, v14, 24, 1
	v_lshrrev_b32_e32 v5, 24, v14
	s_delay_alu instid0(VALU_DEP_2) | instskip(NEXT) | instid1(VALU_DEP_1)
	v_add_co_u32 v1, s9, v1, -1
	v_cndmask_b32_e64 v2, 0, 1, s9
	s_delay_alu instid0(VALU_DEP_3)
	v_lshlrev_b32_e32 v3, 30, v5
	v_lshlrev_b32_e32 v4, 29, v5
	;; [unrolled: 1-line block ×4, first 2 shown]
	v_cmp_ne_u32_e64 s9, 0, v2
	v_not_b32_e32 v2, v3
	v_cmp_gt_i32_e64 s10, 0, v3
	v_not_b32_e32 v3, v4
	v_lshlrev_b32_e32 v17, 26, v5
	v_xor_b32_e32 v1, s9, v1
	v_ashrrev_i32_e32 v2, 31, v2
	v_cmp_gt_i32_e64 s9, 0, v4
	v_not_b32_e32 v4, v6
	v_ashrrev_i32_e32 v3, 31, v3
	v_and_b32_e32 v1, exec_lo, v1
	v_xor_b32_e32 v2, s10, v2
	v_cmp_gt_i32_e64 s10, 0, v6
	v_not_b32_e32 v6, v7
	v_ashrrev_i32_e32 v4, 31, v4
	v_xor_b32_e32 v3, s9, v3
	v_and_b32_e32 v1, v1, v2
	v_lshlrev_b32_e32 v18, 25, v5
	v_cmp_gt_i32_e64 s9, 0, v7
	v_not_b32_e32 v2, v17
	v_ashrrev_i32_e32 v6, 31, v6
	v_xor_b32_e32 v4, s10, v4
	v_and_b32_e32 v1, v1, v3
	v_cmp_gt_i32_e64 s10, 0, v17
	v_not_b32_e32 v3, v18
	v_ashrrev_i32_e32 v2, 31, v2
	v_xor_b32_e32 v6, s9, v6
	v_and_b32_e32 v1, v1, v4
	v_not_b32_e32 v4, v14
	v_cmp_gt_i32_e64 s9, 0, v18
	v_ashrrev_i32_e32 v3, 31, v3
	v_xor_b32_e32 v2, s10, v2
	v_and_b32_e32 v1, v1, v6
	v_cmp_gt_i32_e64 s10, 0, v14
	v_ashrrev_i32_e32 v4, 31, v4
	v_xor_b32_e32 v3, s9, v3
	s_delay_alu instid0(VALU_DEP_4) | instskip(NEXT) | instid1(VALU_DEP_3)
	v_and_b32_e32 v1, v1, v2
	v_xor_b32_e32 v0, s10, v4
	s_delay_alu instid0(VALU_DEP_2) | instskip(SKIP_1) | instid1(VALU_DEP_2)
	v_and_b32_e32 v3, v1, v3
	v_dual_mov_b32 v1, s20 :: v_dual_mov_b32 v2, s21
	v_dual_mov_b32 v3, s14 :: v_dual_and_b32 v0, v3, v0
	v_mov_b32_e32 v4, s15
	ds_store_2addr_b64 v19, v[1:2], v[3:4] offset0:8 offset1:9
	ds_store_2addr_b64 v20, v[1:2], v[3:4] offset0:2 offset1:3
	v_mbcnt_lo_u32_b32 v17, v0, 0
	v_lshl_add_u32 v1, v5, 4, v26
	v_cmp_ne_u32_e64 s10, 0, v0
	s_waitcnt lgkmcnt(0)
	s_barrier
	v_cmp_eq_u32_e64 s9, 0, v17
	v_lshl_add_u32 v18, v1, 2, 64
	buffer_gl0_inv
	; wave barrier
	s_and_b32 s10, s10, s9
	s_delay_alu instid0(SALU_CYCLE_1)
	s_and_saveexec_b32 s9, s10
	s_cbranch_execz .LBB377_28
; %bb.27:                               ;   in Loop: Header=BB377_2 Depth=1
	v_bcnt_u32_b32 v0, v0, 0
	ds_store_b32 v18, v0
.LBB377_28:                             ;   in Loop: Header=BB377_2 Depth=1
	s_or_b32 exec_lo, exec_lo, s9
	; wave barrier
	s_waitcnt lgkmcnt(0)
	s_barrier
	buffer_gl0_inv
	ds_load_2addr_b64 v[4:7], v19 offset0:8 offset1:9
	ds_load_2addr_b64 v[0:3], v20 offset0:2 offset1:3
	s_waitcnt lgkmcnt(1)
	v_add_nc_u32_e32 v28, v5, v4
	s_delay_alu instid0(VALU_DEP_1) | instskip(SKIP_1) | instid1(VALU_DEP_1)
	v_add3_u32 v28, v28, v6, v7
	s_waitcnt lgkmcnt(0)
	v_add3_u32 v28, v28, v0, v1
	s_delay_alu instid0(VALU_DEP_1) | instskip(NEXT) | instid1(VALU_DEP_1)
	v_add3_u32 v3, v28, v2, v3
	v_mov_b32_dpp v28, v3 row_shr:1 row_mask:0xf bank_mask:0xf
	s_delay_alu instid0(VALU_DEP_1) | instskip(NEXT) | instid1(VALU_DEP_1)
	v_cndmask_b32_e64 v28, v28, 0, s0
	v_add_nc_u32_e32 v3, v28, v3
	s_delay_alu instid0(VALU_DEP_1) | instskip(NEXT) | instid1(VALU_DEP_1)
	v_mov_b32_dpp v28, v3 row_shr:2 row_mask:0xf bank_mask:0xf
	v_cndmask_b32_e64 v28, 0, v28, s1
	s_delay_alu instid0(VALU_DEP_1) | instskip(NEXT) | instid1(VALU_DEP_1)
	v_add_nc_u32_e32 v3, v3, v28
	v_mov_b32_dpp v28, v3 row_shr:4 row_mask:0xf bank_mask:0xf
	s_delay_alu instid0(VALU_DEP_1) | instskip(NEXT) | instid1(VALU_DEP_1)
	v_cndmask_b32_e64 v28, 0, v28, s2
	v_add_nc_u32_e32 v3, v3, v28
	s_delay_alu instid0(VALU_DEP_1) | instskip(NEXT) | instid1(VALU_DEP_1)
	v_mov_b32_dpp v28, v3 row_shr:8 row_mask:0xf bank_mask:0xf
	v_cndmask_b32_e64 v28, 0, v28, s3
	s_delay_alu instid0(VALU_DEP_1) | instskip(SKIP_3) | instid1(VALU_DEP_1)
	v_add_nc_u32_e32 v3, v3, v28
	ds_swizzle_b32 v28, v3 offset:swizzle(BROADCAST,32,15)
	s_waitcnt lgkmcnt(0)
	v_cndmask_b32_e64 v28, v28, 0, s4
	v_add_nc_u32_e32 v3, v3, v28
	s_and_saveexec_b32 s9, s8
	s_cbranch_execz .LBB377_30
; %bb.29:                               ;   in Loop: Header=BB377_2 Depth=1
	ds_store_b32 v21, v3
.LBB377_30:                             ;   in Loop: Header=BB377_2 Depth=1
	s_or_b32 exec_lo, exec_lo, s9
	s_waitcnt lgkmcnt(0)
	s_barrier
	buffer_gl0_inv
	s_and_saveexec_b32 s9, s5
	s_cbranch_execz .LBB377_32
; %bb.31:                               ;   in Loop: Header=BB377_2 Depth=1
	ds_load_b32 v28, v23
	s_waitcnt lgkmcnt(0)
	v_mov_b32_dpp v29, v28 row_shr:1 row_mask:0xf bank_mask:0xf
	s_delay_alu instid0(VALU_DEP_1) | instskip(NEXT) | instid1(VALU_DEP_1)
	v_cndmask_b32_e64 v29, v29, 0, s0
	v_add_nc_u32_e32 v28, v29, v28
	s_delay_alu instid0(VALU_DEP_1) | instskip(NEXT) | instid1(VALU_DEP_1)
	v_mov_b32_dpp v29, v28 row_shr:2 row_mask:0xf bank_mask:0xf
	v_cndmask_b32_e64 v29, 0, v29, s1
	s_delay_alu instid0(VALU_DEP_1) | instskip(NEXT) | instid1(VALU_DEP_1)
	v_add_nc_u32_e32 v28, v28, v29
	v_mov_b32_dpp v29, v28 row_shr:4 row_mask:0xf bank_mask:0xf
	s_delay_alu instid0(VALU_DEP_1) | instskip(NEXT) | instid1(VALU_DEP_1)
	v_cndmask_b32_e64 v29, 0, v29, s2
	v_add_nc_u32_e32 v28, v28, v29
	s_delay_alu instid0(VALU_DEP_1) | instskip(NEXT) | instid1(VALU_DEP_1)
	v_mov_b32_dpp v29, v28 row_shr:8 row_mask:0xf bank_mask:0xf
	v_cndmask_b32_e64 v29, 0, v29, s3
	s_delay_alu instid0(VALU_DEP_1)
	v_add_nc_u32_e32 v28, v28, v29
	ds_store_b32 v23, v28
.LBB377_32:                             ;   in Loop: Header=BB377_2 Depth=1
	s_or_b32 exec_lo, exec_lo, s9
	v_mov_b32_e32 v28, 0
	s_waitcnt lgkmcnt(0)
	s_barrier
	buffer_gl0_inv
	s_and_saveexec_b32 s9, s6
	s_cbranch_execz .LBB377_34
; %bb.33:                               ;   in Loop: Header=BB377_2 Depth=1
	ds_load_b32 v28, v24
.LBB377_34:                             ;   in Loop: Header=BB377_2 Depth=1
	s_or_b32 exec_lo, exec_lo, s9
	s_waitcnt lgkmcnt(0)
	v_add_nc_u32_e32 v3, v28, v3
	ds_bpermute_b32 v3, v22, v3
	s_waitcnt lgkmcnt(0)
	v_cndmask_b32_e32 v3, v3, v28, vcc_lo
	s_delay_alu instid0(VALU_DEP_1) | instskip(NEXT) | instid1(VALU_DEP_1)
	v_cndmask_b32_e64 v3, v3, 0, s7
	v_add_nc_u32_e32 v4, v3, v4
	s_delay_alu instid0(VALU_DEP_1) | instskip(NEXT) | instid1(VALU_DEP_1)
	v_add_nc_u32_e32 v5, v4, v5
	v_add_nc_u32_e32 v6, v5, v6
	s_delay_alu instid0(VALU_DEP_1) | instskip(NEXT) | instid1(VALU_DEP_1)
	v_add_nc_u32_e32 v28, v6, v7
	;; [unrolled: 3-line block ×3, first 2 shown]
	v_add_nc_u32_e32 v1, v0, v2
	ds_store_2addr_b64 v19, v[3:4], v[5:6] offset0:8 offset1:9
	ds_store_2addr_b64 v20, v[28:29], v[0:1] offset0:2 offset1:3
	s_waitcnt lgkmcnt(0)
	s_barrier
	buffer_gl0_inv
	ds_load_b32 v0, v18
	v_lshlrev_b32_e32 v1, 3, v17
	s_waitcnt lgkmcnt(0)
	s_barrier
	buffer_gl0_inv
	v_lshl_add_u32 v0, v0, 3, v1
	v_dual_mov_b32 v1, s20 :: v_dual_mov_b32 v2, s21
	ds_store_b64 v0, v[13:14]
	s_waitcnt lgkmcnt(0)
	s_barrier
	buffer_gl0_inv
	ds_load_b64 v[13:14], v25
	s_waitcnt lgkmcnt(0)
	s_barrier
	buffer_gl0_inv
	ds_store_b64 v0, v[15:16]
	s_waitcnt lgkmcnt(0)
	s_barrier
	buffer_gl0_inv
	ds_load_b64 v[15:16], v25
	s_waitcnt lgkmcnt(0)
	s_barrier
	buffer_gl0_inv
	v_and_b32_e32 v3, 1, v13
	v_lshlrev_b32_e32 v4, 30, v13
	v_lshlrev_b32_e32 v5, 29, v13
	v_lshlrev_b32_e32 v6, 28, v13
	v_lshlrev_b32_e32 v17, 27, v13
	v_add_co_u32 v3, s9, v3, -1
	s_delay_alu instid0(VALU_DEP_1)
	v_cndmask_b32_e64 v7, 0, 1, s9
	v_not_b32_e32 v29, v4
	v_cmp_gt_i32_e64 s10, 0, v4
	v_not_b32_e32 v4, v5
	v_lshlrev_b32_e32 v18, 26, v13
	v_cmp_ne_u32_e64 s9, 0, v7
	v_ashrrev_i32_e32 v29, 31, v29
	v_lshlrev_b32_e32 v28, 25, v13
	v_ashrrev_i32_e32 v4, 31, v4
	v_lshlrev_b32_e32 v7, 24, v13
	v_xor_b32_e32 v3, s9, v3
	v_cmp_gt_i32_e64 s9, 0, v5
	v_not_b32_e32 v5, v6
	v_xor_b32_e32 v29, s10, v29
	v_cmp_gt_i32_e64 s10, 0, v6
	v_and_b32_e32 v3, exec_lo, v3
	v_not_b32_e32 v6, v17
	v_ashrrev_i32_e32 v5, 31, v5
	v_xor_b32_e32 v4, s9, v4
	v_cmp_gt_i32_e64 s9, 0, v17
	v_and_b32_e32 v3, v3, v29
	v_not_b32_e32 v17, v18
	v_ashrrev_i32_e32 v6, 31, v6
	v_xor_b32_e32 v5, s10, v5
	v_cmp_gt_i32_e64 s10, 0, v18
	v_and_b32_e32 v3, v3, v4
	;; [unrolled: 5-line block ×4, first 2 shown]
	v_ashrrev_i32_e32 v5, 31, v5
	v_xor_b32_e32 v4, s9, v4
	s_delay_alu instid0(VALU_DEP_3) | instskip(NEXT) | instid1(VALU_DEP_3)
	v_and_b32_e32 v3, v3, v17
	v_xor_b32_e32 v0, s10, v5
	s_delay_alu instid0(VALU_DEP_2)
	v_and_b32_e32 v5, v3, v4
	v_dual_mov_b32 v3, s14 :: v_dual_mov_b32 v4, s15
	ds_store_2addr_b64 v19, v[1:2], v[3:4] offset0:8 offset1:9
	ds_store_2addr_b64 v20, v[1:2], v[3:4] offset0:2 offset1:3
	v_and_b32_e32 v0, v5, v0
	v_and_b32_e32 v5, 0xff, v13
	s_waitcnt lgkmcnt(0)
	s_barrier
	buffer_gl0_inv
	v_mbcnt_lo_u32_b32 v17, v0, 0
	v_lshl_add_u32 v1, v5, 4, v26
	v_cmp_ne_u32_e64 s10, 0, v0
	; wave barrier
	s_delay_alu instid0(VALU_DEP_3) | instskip(NEXT) | instid1(VALU_DEP_3)
	v_cmp_eq_u32_e64 s9, 0, v17
	v_lshl_add_u32 v18, v1, 2, 64
	s_delay_alu instid0(VALU_DEP_2) | instskip(NEXT) | instid1(SALU_CYCLE_1)
	s_and_b32 s10, s10, s9
	s_and_saveexec_b32 s9, s10
	s_cbranch_execz .LBB377_36
; %bb.35:                               ;   in Loop: Header=BB377_2 Depth=1
	v_bcnt_u32_b32 v0, v0, 0
	ds_store_b32 v18, v0
.LBB377_36:                             ;   in Loop: Header=BB377_2 Depth=1
	s_or_b32 exec_lo, exec_lo, s9
	; wave barrier
	s_waitcnt lgkmcnt(0)
	s_barrier
	buffer_gl0_inv
	ds_load_2addr_b64 v[4:7], v19 offset0:8 offset1:9
	ds_load_2addr_b64 v[0:3], v20 offset0:2 offset1:3
	s_waitcnt lgkmcnt(1)
	v_add_nc_u32_e32 v28, v5, v4
	s_delay_alu instid0(VALU_DEP_1) | instskip(SKIP_1) | instid1(VALU_DEP_1)
	v_add3_u32 v28, v28, v6, v7
	s_waitcnt lgkmcnt(0)
	v_add3_u32 v28, v28, v0, v1
	s_delay_alu instid0(VALU_DEP_1) | instskip(NEXT) | instid1(VALU_DEP_1)
	v_add3_u32 v3, v28, v2, v3
	v_mov_b32_dpp v28, v3 row_shr:1 row_mask:0xf bank_mask:0xf
	s_delay_alu instid0(VALU_DEP_1) | instskip(NEXT) | instid1(VALU_DEP_1)
	v_cndmask_b32_e64 v28, v28, 0, s0
	v_add_nc_u32_e32 v3, v28, v3
	s_delay_alu instid0(VALU_DEP_1) | instskip(NEXT) | instid1(VALU_DEP_1)
	v_mov_b32_dpp v28, v3 row_shr:2 row_mask:0xf bank_mask:0xf
	v_cndmask_b32_e64 v28, 0, v28, s1
	s_delay_alu instid0(VALU_DEP_1) | instskip(NEXT) | instid1(VALU_DEP_1)
	v_add_nc_u32_e32 v3, v3, v28
	v_mov_b32_dpp v28, v3 row_shr:4 row_mask:0xf bank_mask:0xf
	s_delay_alu instid0(VALU_DEP_1) | instskip(NEXT) | instid1(VALU_DEP_1)
	v_cndmask_b32_e64 v28, 0, v28, s2
	v_add_nc_u32_e32 v3, v3, v28
	s_delay_alu instid0(VALU_DEP_1) | instskip(NEXT) | instid1(VALU_DEP_1)
	v_mov_b32_dpp v28, v3 row_shr:8 row_mask:0xf bank_mask:0xf
	v_cndmask_b32_e64 v28, 0, v28, s3
	s_delay_alu instid0(VALU_DEP_1) | instskip(SKIP_3) | instid1(VALU_DEP_1)
	v_add_nc_u32_e32 v3, v3, v28
	ds_swizzle_b32 v28, v3 offset:swizzle(BROADCAST,32,15)
	s_waitcnt lgkmcnt(0)
	v_cndmask_b32_e64 v28, v28, 0, s4
	v_add_nc_u32_e32 v3, v3, v28
	s_and_saveexec_b32 s9, s8
	s_cbranch_execz .LBB377_38
; %bb.37:                               ;   in Loop: Header=BB377_2 Depth=1
	ds_store_b32 v21, v3
.LBB377_38:                             ;   in Loop: Header=BB377_2 Depth=1
	s_or_b32 exec_lo, exec_lo, s9
	s_waitcnt lgkmcnt(0)
	s_barrier
	buffer_gl0_inv
	s_and_saveexec_b32 s9, s5
	s_cbranch_execz .LBB377_40
; %bb.39:                               ;   in Loop: Header=BB377_2 Depth=1
	ds_load_b32 v28, v23
	s_waitcnt lgkmcnt(0)
	v_mov_b32_dpp v29, v28 row_shr:1 row_mask:0xf bank_mask:0xf
	s_delay_alu instid0(VALU_DEP_1) | instskip(NEXT) | instid1(VALU_DEP_1)
	v_cndmask_b32_e64 v29, v29, 0, s0
	v_add_nc_u32_e32 v28, v29, v28
	s_delay_alu instid0(VALU_DEP_1) | instskip(NEXT) | instid1(VALU_DEP_1)
	v_mov_b32_dpp v29, v28 row_shr:2 row_mask:0xf bank_mask:0xf
	v_cndmask_b32_e64 v29, 0, v29, s1
	s_delay_alu instid0(VALU_DEP_1) | instskip(NEXT) | instid1(VALU_DEP_1)
	v_add_nc_u32_e32 v28, v28, v29
	v_mov_b32_dpp v29, v28 row_shr:4 row_mask:0xf bank_mask:0xf
	s_delay_alu instid0(VALU_DEP_1) | instskip(NEXT) | instid1(VALU_DEP_1)
	v_cndmask_b32_e64 v29, 0, v29, s2
	v_add_nc_u32_e32 v28, v28, v29
	s_delay_alu instid0(VALU_DEP_1) | instskip(NEXT) | instid1(VALU_DEP_1)
	v_mov_b32_dpp v29, v28 row_shr:8 row_mask:0xf bank_mask:0xf
	v_cndmask_b32_e64 v29, 0, v29, s3
	s_delay_alu instid0(VALU_DEP_1)
	v_add_nc_u32_e32 v28, v28, v29
	ds_store_b32 v23, v28
.LBB377_40:                             ;   in Loop: Header=BB377_2 Depth=1
	s_or_b32 exec_lo, exec_lo, s9
	v_mov_b32_e32 v28, 0
	s_waitcnt lgkmcnt(0)
	s_barrier
	buffer_gl0_inv
	s_and_saveexec_b32 s9, s6
	s_cbranch_execz .LBB377_42
; %bb.41:                               ;   in Loop: Header=BB377_2 Depth=1
	ds_load_b32 v28, v24
.LBB377_42:                             ;   in Loop: Header=BB377_2 Depth=1
	s_or_b32 exec_lo, exec_lo, s9
	s_waitcnt lgkmcnt(0)
	v_add_nc_u32_e32 v3, v28, v3
	ds_bpermute_b32 v3, v22, v3
	s_waitcnt lgkmcnt(0)
	v_cndmask_b32_e32 v3, v3, v28, vcc_lo
	s_delay_alu instid0(VALU_DEP_1) | instskip(NEXT) | instid1(VALU_DEP_1)
	v_cndmask_b32_e64 v3, v3, 0, s7
	v_add_nc_u32_e32 v4, v3, v4
	s_delay_alu instid0(VALU_DEP_1) | instskip(NEXT) | instid1(VALU_DEP_1)
	v_add_nc_u32_e32 v5, v4, v5
	v_add_nc_u32_e32 v6, v5, v6
	s_delay_alu instid0(VALU_DEP_1) | instskip(NEXT) | instid1(VALU_DEP_1)
	v_add_nc_u32_e32 v28, v6, v7
	;; [unrolled: 3-line block ×3, first 2 shown]
	v_add_nc_u32_e32 v1, v0, v2
	ds_store_2addr_b64 v19, v[3:4], v[5:6] offset0:8 offset1:9
	ds_store_2addr_b64 v20, v[28:29], v[0:1] offset0:2 offset1:3
	s_waitcnt lgkmcnt(0)
	s_barrier
	buffer_gl0_inv
	ds_load_b32 v0, v18
	v_lshlrev_b32_e32 v1, 3, v17
	s_waitcnt lgkmcnt(0)
	s_barrier
	buffer_gl0_inv
	v_lshl_add_u32 v0, v0, 3, v1
	v_dual_mov_b32 v1, s20 :: v_dual_mov_b32 v2, s21
	ds_store_b64 v0, v[13:14]
	s_waitcnt lgkmcnt(0)
	s_barrier
	buffer_gl0_inv
	ds_load_b64 v[13:14], v25
	s_waitcnt lgkmcnt(0)
	s_barrier
	buffer_gl0_inv
	ds_store_b64 v0, v[15:16]
	s_waitcnt lgkmcnt(0)
	s_barrier
	buffer_gl0_inv
	ds_load_b64 v[15:16], v25
	s_waitcnt lgkmcnt(0)
	s_barrier
	buffer_gl0_inv
	v_bfe_u32 v3, v13, 8, 1
	v_lshrrev_b32_e32 v4, 8, v13
	s_delay_alu instid0(VALU_DEP_2) | instskip(NEXT) | instid1(VALU_DEP_1)
	v_add_co_u32 v3, s9, v3, -1
	v_cndmask_b32_e64 v5, 0, 1, s9
	s_delay_alu instid0(VALU_DEP_3)
	v_lshlrev_b32_e32 v6, 30, v4
	v_lshlrev_b32_e32 v7, 29, v4
	;; [unrolled: 1-line block ×4, first 2 shown]
	v_cmp_ne_u32_e64 s9, 0, v5
	v_not_b32_e32 v5, v6
	v_cmp_gt_i32_e64 s10, 0, v6
	v_not_b32_e32 v6, v7
	v_lshlrev_b32_e32 v28, 26, v4
	v_xor_b32_e32 v3, s9, v3
	v_ashrrev_i32_e32 v5, 31, v5
	v_cmp_gt_i32_e64 s9, 0, v7
	v_not_b32_e32 v7, v17
	v_ashrrev_i32_e32 v6, 31, v6
	v_and_b32_e32 v3, exec_lo, v3
	v_xor_b32_e32 v5, s10, v5
	v_cmp_gt_i32_e64 s10, 0, v17
	v_not_b32_e32 v17, v18
	v_ashrrev_i32_e32 v7, 31, v7
	v_xor_b32_e32 v6, s9, v6
	v_and_b32_e32 v3, v3, v5
	v_lshlrev_b32_e32 v29, 25, v4
	v_cmp_gt_i32_e64 s9, 0, v18
	v_not_b32_e32 v5, v28
	v_ashrrev_i32_e32 v17, 31, v17
	v_xor_b32_e32 v7, s10, v7
	v_and_b32_e32 v3, v3, v6
	v_lshlrev_b32_e32 v4, 24, v4
	v_cmp_gt_i32_e64 s10, 0, v28
	v_not_b32_e32 v6, v29
	v_ashrrev_i32_e32 v5, 31, v5
	v_xor_b32_e32 v17, s9, v17
	v_and_b32_e32 v3, v3, v7
	v_cmp_gt_i32_e64 s9, 0, v29
	v_not_b32_e32 v7, v4
	v_ashrrev_i32_e32 v6, 31, v6
	v_xor_b32_e32 v5, s10, v5
	v_and_b32_e32 v3, v3, v17
	v_cmp_gt_i32_e64 s10, 0, v4
	v_ashrrev_i32_e32 v4, 31, v7
	v_xor_b32_e32 v6, s9, v6
	s_delay_alu instid0(VALU_DEP_4) | instskip(NEXT) | instid1(VALU_DEP_3)
	v_and_b32_e32 v3, v3, v5
	v_xor_b32_e32 v0, s10, v4
	s_delay_alu instid0(VALU_DEP_2)
	v_and_b32_e32 v5, v3, v6
	v_mov_b32_e32 v3, s14
	v_lshrrev_b32_e32 v6, 4, v13
	v_mov_b32_e32 v4, s15
	ds_store_2addr_b64 v19, v[1:2], v[3:4] offset0:8 offset1:9
	ds_store_2addr_b64 v20, v[1:2], v[3:4] offset0:2 offset1:3
	v_and_b32_e32 v0, v5, v0
	v_and_b32_e32 v5, 0xff0, v6
	s_waitcnt lgkmcnt(0)
	s_barrier
	buffer_gl0_inv
	v_mbcnt_lo_u32_b32 v17, v0, 0
	v_add_nc_u32_e32 v1, v5, v26
	v_cmp_ne_u32_e64 s10, 0, v0
	; wave barrier
	s_delay_alu instid0(VALU_DEP_3) | instskip(NEXT) | instid1(VALU_DEP_3)
	v_cmp_eq_u32_e64 s9, 0, v17
	v_lshl_add_u32 v18, v1, 2, 64
	s_delay_alu instid0(VALU_DEP_2) | instskip(NEXT) | instid1(SALU_CYCLE_1)
	s_and_b32 s10, s10, s9
	s_and_saveexec_b32 s9, s10
	s_cbranch_execz .LBB377_44
; %bb.43:                               ;   in Loop: Header=BB377_2 Depth=1
	v_bcnt_u32_b32 v0, v0, 0
	ds_store_b32 v18, v0
.LBB377_44:                             ;   in Loop: Header=BB377_2 Depth=1
	s_or_b32 exec_lo, exec_lo, s9
	; wave barrier
	s_waitcnt lgkmcnt(0)
	s_barrier
	buffer_gl0_inv
	ds_load_2addr_b64 v[4:7], v19 offset0:8 offset1:9
	ds_load_2addr_b64 v[0:3], v20 offset0:2 offset1:3
	s_waitcnt lgkmcnt(1)
	v_add_nc_u32_e32 v28, v5, v4
	s_delay_alu instid0(VALU_DEP_1) | instskip(SKIP_1) | instid1(VALU_DEP_1)
	v_add3_u32 v28, v28, v6, v7
	s_waitcnt lgkmcnt(0)
	v_add3_u32 v28, v28, v0, v1
	s_delay_alu instid0(VALU_DEP_1) | instskip(NEXT) | instid1(VALU_DEP_1)
	v_add3_u32 v3, v28, v2, v3
	v_mov_b32_dpp v28, v3 row_shr:1 row_mask:0xf bank_mask:0xf
	s_delay_alu instid0(VALU_DEP_1) | instskip(NEXT) | instid1(VALU_DEP_1)
	v_cndmask_b32_e64 v28, v28, 0, s0
	v_add_nc_u32_e32 v3, v28, v3
	s_delay_alu instid0(VALU_DEP_1) | instskip(NEXT) | instid1(VALU_DEP_1)
	v_mov_b32_dpp v28, v3 row_shr:2 row_mask:0xf bank_mask:0xf
	v_cndmask_b32_e64 v28, 0, v28, s1
	s_delay_alu instid0(VALU_DEP_1) | instskip(NEXT) | instid1(VALU_DEP_1)
	v_add_nc_u32_e32 v3, v3, v28
	v_mov_b32_dpp v28, v3 row_shr:4 row_mask:0xf bank_mask:0xf
	s_delay_alu instid0(VALU_DEP_1) | instskip(NEXT) | instid1(VALU_DEP_1)
	v_cndmask_b32_e64 v28, 0, v28, s2
	v_add_nc_u32_e32 v3, v3, v28
	s_delay_alu instid0(VALU_DEP_1) | instskip(NEXT) | instid1(VALU_DEP_1)
	v_mov_b32_dpp v28, v3 row_shr:8 row_mask:0xf bank_mask:0xf
	v_cndmask_b32_e64 v28, 0, v28, s3
	s_delay_alu instid0(VALU_DEP_1) | instskip(SKIP_3) | instid1(VALU_DEP_1)
	v_add_nc_u32_e32 v3, v3, v28
	ds_swizzle_b32 v28, v3 offset:swizzle(BROADCAST,32,15)
	s_waitcnt lgkmcnt(0)
	v_cndmask_b32_e64 v28, v28, 0, s4
	v_add_nc_u32_e32 v3, v3, v28
	s_and_saveexec_b32 s9, s8
	s_cbranch_execz .LBB377_46
; %bb.45:                               ;   in Loop: Header=BB377_2 Depth=1
	ds_store_b32 v21, v3
.LBB377_46:                             ;   in Loop: Header=BB377_2 Depth=1
	s_or_b32 exec_lo, exec_lo, s9
	s_waitcnt lgkmcnt(0)
	s_barrier
	buffer_gl0_inv
	s_and_saveexec_b32 s9, s5
	s_cbranch_execz .LBB377_48
; %bb.47:                               ;   in Loop: Header=BB377_2 Depth=1
	ds_load_b32 v28, v23
	s_waitcnt lgkmcnt(0)
	v_mov_b32_dpp v29, v28 row_shr:1 row_mask:0xf bank_mask:0xf
	s_delay_alu instid0(VALU_DEP_1) | instskip(NEXT) | instid1(VALU_DEP_1)
	v_cndmask_b32_e64 v29, v29, 0, s0
	v_add_nc_u32_e32 v28, v29, v28
	s_delay_alu instid0(VALU_DEP_1) | instskip(NEXT) | instid1(VALU_DEP_1)
	v_mov_b32_dpp v29, v28 row_shr:2 row_mask:0xf bank_mask:0xf
	v_cndmask_b32_e64 v29, 0, v29, s1
	s_delay_alu instid0(VALU_DEP_1) | instskip(NEXT) | instid1(VALU_DEP_1)
	v_add_nc_u32_e32 v28, v28, v29
	v_mov_b32_dpp v29, v28 row_shr:4 row_mask:0xf bank_mask:0xf
	s_delay_alu instid0(VALU_DEP_1) | instskip(NEXT) | instid1(VALU_DEP_1)
	v_cndmask_b32_e64 v29, 0, v29, s2
	v_add_nc_u32_e32 v28, v28, v29
	s_delay_alu instid0(VALU_DEP_1) | instskip(NEXT) | instid1(VALU_DEP_1)
	v_mov_b32_dpp v29, v28 row_shr:8 row_mask:0xf bank_mask:0xf
	v_cndmask_b32_e64 v29, 0, v29, s3
	s_delay_alu instid0(VALU_DEP_1)
	v_add_nc_u32_e32 v28, v28, v29
	ds_store_b32 v23, v28
.LBB377_48:                             ;   in Loop: Header=BB377_2 Depth=1
	s_or_b32 exec_lo, exec_lo, s9
	v_mov_b32_e32 v28, 0
	s_waitcnt lgkmcnt(0)
	s_barrier
	buffer_gl0_inv
	s_and_saveexec_b32 s9, s6
	s_cbranch_execz .LBB377_50
; %bb.49:                               ;   in Loop: Header=BB377_2 Depth=1
	ds_load_b32 v28, v24
.LBB377_50:                             ;   in Loop: Header=BB377_2 Depth=1
	s_or_b32 exec_lo, exec_lo, s9
	s_waitcnt lgkmcnt(0)
	v_add_nc_u32_e32 v3, v28, v3
	ds_bpermute_b32 v3, v22, v3
	s_waitcnt lgkmcnt(0)
	v_cndmask_b32_e32 v3, v3, v28, vcc_lo
	s_delay_alu instid0(VALU_DEP_1) | instskip(NEXT) | instid1(VALU_DEP_1)
	v_cndmask_b32_e64 v3, v3, 0, s7
	v_add_nc_u32_e32 v4, v3, v4
	s_delay_alu instid0(VALU_DEP_1) | instskip(NEXT) | instid1(VALU_DEP_1)
	v_add_nc_u32_e32 v5, v4, v5
	v_add_nc_u32_e32 v6, v5, v6
	s_delay_alu instid0(VALU_DEP_1) | instskip(NEXT) | instid1(VALU_DEP_1)
	v_add_nc_u32_e32 v28, v6, v7
	;; [unrolled: 3-line block ×3, first 2 shown]
	v_add_nc_u32_e32 v1, v0, v2
	ds_store_2addr_b64 v19, v[3:4], v[5:6] offset0:8 offset1:9
	ds_store_2addr_b64 v20, v[28:29], v[0:1] offset0:2 offset1:3
	s_waitcnt lgkmcnt(0)
	s_barrier
	buffer_gl0_inv
	ds_load_b32 v0, v18
	v_lshlrev_b32_e32 v1, 3, v17
	s_waitcnt lgkmcnt(0)
	s_barrier
	buffer_gl0_inv
	v_lshl_add_u32 v0, v0, 3, v1
	v_dual_mov_b32 v1, s20 :: v_dual_mov_b32 v2, s21
	ds_store_b64 v0, v[13:14]
	s_waitcnt lgkmcnt(0)
	s_barrier
	buffer_gl0_inv
	ds_load_b64 v[13:14], v25
	s_waitcnt lgkmcnt(0)
	s_barrier
	buffer_gl0_inv
	ds_store_b64 v0, v[15:16]
	s_waitcnt lgkmcnt(0)
	s_barrier
	buffer_gl0_inv
	ds_load_b64 v[15:16], v25
	s_waitcnt lgkmcnt(0)
	s_barrier
	buffer_gl0_inv
	v_bfe_u32 v3, v13, 16, 1
	v_lshrrev_b32_e32 v4, 16, v13
	s_delay_alu instid0(VALU_DEP_2) | instskip(NEXT) | instid1(VALU_DEP_1)
	v_add_co_u32 v3, s9, v3, -1
	v_cndmask_b32_e64 v5, 0, 1, s9
	s_delay_alu instid0(VALU_DEP_3)
	v_lshlrev_b32_e32 v6, 30, v4
	v_lshlrev_b32_e32 v7, 29, v4
	;; [unrolled: 1-line block ×4, first 2 shown]
	v_cmp_ne_u32_e64 s9, 0, v5
	v_not_b32_e32 v5, v6
	v_cmp_gt_i32_e64 s10, 0, v6
	v_not_b32_e32 v6, v7
	v_lshlrev_b32_e32 v28, 26, v4
	v_xor_b32_e32 v3, s9, v3
	v_ashrrev_i32_e32 v5, 31, v5
	v_cmp_gt_i32_e64 s9, 0, v7
	v_not_b32_e32 v7, v17
	v_ashrrev_i32_e32 v6, 31, v6
	v_and_b32_e32 v3, exec_lo, v3
	v_xor_b32_e32 v5, s10, v5
	v_cmp_gt_i32_e64 s10, 0, v17
	v_not_b32_e32 v17, v18
	v_ashrrev_i32_e32 v7, 31, v7
	v_xor_b32_e32 v6, s9, v6
	v_and_b32_e32 v3, v3, v5
	v_lshlrev_b32_e32 v29, 25, v4
	v_cmp_gt_i32_e64 s9, 0, v18
	v_not_b32_e32 v5, v28
	v_ashrrev_i32_e32 v17, 31, v17
	v_xor_b32_e32 v7, s10, v7
	v_and_b32_e32 v3, v3, v6
	v_lshlrev_b32_e32 v4, 24, v4
	v_cmp_gt_i32_e64 s10, 0, v28
	v_not_b32_e32 v6, v29
	v_ashrrev_i32_e32 v5, 31, v5
	v_xor_b32_e32 v17, s9, v17
	v_and_b32_e32 v3, v3, v7
	v_cmp_gt_i32_e64 s9, 0, v29
	v_not_b32_e32 v7, v4
	v_ashrrev_i32_e32 v6, 31, v6
	v_xor_b32_e32 v5, s10, v5
	v_and_b32_e32 v3, v3, v17
	v_cmp_gt_i32_e64 s10, 0, v4
	v_ashrrev_i32_e32 v4, 31, v7
	v_xor_b32_e32 v6, s9, v6
	s_delay_alu instid0(VALU_DEP_4) | instskip(NEXT) | instid1(VALU_DEP_3)
	v_and_b32_e32 v3, v3, v5
	v_xor_b32_e32 v0, s10, v4
	s_delay_alu instid0(VALU_DEP_2)
	v_and_b32_e32 v5, v3, v6
	v_mov_b32_e32 v3, s14
	v_lshrrev_b32_e32 v6, 12, v13
	v_mov_b32_e32 v4, s15
	ds_store_2addr_b64 v19, v[1:2], v[3:4] offset0:8 offset1:9
	ds_store_2addr_b64 v20, v[1:2], v[3:4] offset0:2 offset1:3
	v_and_b32_e32 v0, v5, v0
	v_and_b32_e32 v5, 0xff0, v6
	s_waitcnt lgkmcnt(0)
	s_barrier
	buffer_gl0_inv
	v_mbcnt_lo_u32_b32 v17, v0, 0
	v_add_nc_u32_e32 v1, v5, v26
	v_cmp_ne_u32_e64 s10, 0, v0
	; wave barrier
	s_delay_alu instid0(VALU_DEP_3) | instskip(NEXT) | instid1(VALU_DEP_3)
	v_cmp_eq_u32_e64 s9, 0, v17
	v_lshl_add_u32 v18, v1, 2, 64
	s_delay_alu instid0(VALU_DEP_2) | instskip(NEXT) | instid1(SALU_CYCLE_1)
	s_and_b32 s10, s10, s9
	s_and_saveexec_b32 s9, s10
	s_cbranch_execz .LBB377_52
; %bb.51:                               ;   in Loop: Header=BB377_2 Depth=1
	v_bcnt_u32_b32 v0, v0, 0
	ds_store_b32 v18, v0
.LBB377_52:                             ;   in Loop: Header=BB377_2 Depth=1
	s_or_b32 exec_lo, exec_lo, s9
	; wave barrier
	s_waitcnt lgkmcnt(0)
	s_barrier
	buffer_gl0_inv
	ds_load_2addr_b64 v[4:7], v19 offset0:8 offset1:9
	ds_load_2addr_b64 v[0:3], v20 offset0:2 offset1:3
	s_waitcnt lgkmcnt(1)
	v_add_nc_u32_e32 v28, v5, v4
	s_delay_alu instid0(VALU_DEP_1) | instskip(SKIP_1) | instid1(VALU_DEP_1)
	v_add3_u32 v28, v28, v6, v7
	s_waitcnt lgkmcnt(0)
	v_add3_u32 v28, v28, v0, v1
	s_delay_alu instid0(VALU_DEP_1) | instskip(NEXT) | instid1(VALU_DEP_1)
	v_add3_u32 v3, v28, v2, v3
	v_mov_b32_dpp v28, v3 row_shr:1 row_mask:0xf bank_mask:0xf
	s_delay_alu instid0(VALU_DEP_1) | instskip(NEXT) | instid1(VALU_DEP_1)
	v_cndmask_b32_e64 v28, v28, 0, s0
	v_add_nc_u32_e32 v3, v28, v3
	s_delay_alu instid0(VALU_DEP_1) | instskip(NEXT) | instid1(VALU_DEP_1)
	v_mov_b32_dpp v28, v3 row_shr:2 row_mask:0xf bank_mask:0xf
	v_cndmask_b32_e64 v28, 0, v28, s1
	s_delay_alu instid0(VALU_DEP_1) | instskip(NEXT) | instid1(VALU_DEP_1)
	v_add_nc_u32_e32 v3, v3, v28
	v_mov_b32_dpp v28, v3 row_shr:4 row_mask:0xf bank_mask:0xf
	s_delay_alu instid0(VALU_DEP_1) | instskip(NEXT) | instid1(VALU_DEP_1)
	v_cndmask_b32_e64 v28, 0, v28, s2
	v_add_nc_u32_e32 v3, v3, v28
	s_delay_alu instid0(VALU_DEP_1) | instskip(NEXT) | instid1(VALU_DEP_1)
	v_mov_b32_dpp v28, v3 row_shr:8 row_mask:0xf bank_mask:0xf
	v_cndmask_b32_e64 v28, 0, v28, s3
	s_delay_alu instid0(VALU_DEP_1) | instskip(SKIP_3) | instid1(VALU_DEP_1)
	v_add_nc_u32_e32 v3, v3, v28
	ds_swizzle_b32 v28, v3 offset:swizzle(BROADCAST,32,15)
	s_waitcnt lgkmcnt(0)
	v_cndmask_b32_e64 v28, v28, 0, s4
	v_add_nc_u32_e32 v3, v3, v28
	s_and_saveexec_b32 s9, s8
	s_cbranch_execz .LBB377_54
; %bb.53:                               ;   in Loop: Header=BB377_2 Depth=1
	ds_store_b32 v21, v3
.LBB377_54:                             ;   in Loop: Header=BB377_2 Depth=1
	s_or_b32 exec_lo, exec_lo, s9
	s_waitcnt lgkmcnt(0)
	s_barrier
	buffer_gl0_inv
	s_and_saveexec_b32 s9, s5
	s_cbranch_execz .LBB377_56
; %bb.55:                               ;   in Loop: Header=BB377_2 Depth=1
	ds_load_b32 v28, v23
	s_waitcnt lgkmcnt(0)
	v_mov_b32_dpp v29, v28 row_shr:1 row_mask:0xf bank_mask:0xf
	s_delay_alu instid0(VALU_DEP_1) | instskip(NEXT) | instid1(VALU_DEP_1)
	v_cndmask_b32_e64 v29, v29, 0, s0
	v_add_nc_u32_e32 v28, v29, v28
	s_delay_alu instid0(VALU_DEP_1) | instskip(NEXT) | instid1(VALU_DEP_1)
	v_mov_b32_dpp v29, v28 row_shr:2 row_mask:0xf bank_mask:0xf
	v_cndmask_b32_e64 v29, 0, v29, s1
	s_delay_alu instid0(VALU_DEP_1) | instskip(NEXT) | instid1(VALU_DEP_1)
	v_add_nc_u32_e32 v28, v28, v29
	v_mov_b32_dpp v29, v28 row_shr:4 row_mask:0xf bank_mask:0xf
	s_delay_alu instid0(VALU_DEP_1) | instskip(NEXT) | instid1(VALU_DEP_1)
	v_cndmask_b32_e64 v29, 0, v29, s2
	v_add_nc_u32_e32 v28, v28, v29
	s_delay_alu instid0(VALU_DEP_1) | instskip(NEXT) | instid1(VALU_DEP_1)
	v_mov_b32_dpp v29, v28 row_shr:8 row_mask:0xf bank_mask:0xf
	v_cndmask_b32_e64 v29, 0, v29, s3
	s_delay_alu instid0(VALU_DEP_1)
	v_add_nc_u32_e32 v28, v28, v29
	ds_store_b32 v23, v28
.LBB377_56:                             ;   in Loop: Header=BB377_2 Depth=1
	s_or_b32 exec_lo, exec_lo, s9
	v_mov_b32_e32 v28, 0
	s_waitcnt lgkmcnt(0)
	s_barrier
	buffer_gl0_inv
	s_and_saveexec_b32 s9, s6
	s_cbranch_execz .LBB377_58
; %bb.57:                               ;   in Loop: Header=BB377_2 Depth=1
	ds_load_b32 v28, v24
.LBB377_58:                             ;   in Loop: Header=BB377_2 Depth=1
	s_or_b32 exec_lo, exec_lo, s9
	s_waitcnt lgkmcnt(0)
	v_add_nc_u32_e32 v3, v28, v3
	ds_bpermute_b32 v3, v22, v3
	s_waitcnt lgkmcnt(0)
	v_cndmask_b32_e32 v3, v3, v28, vcc_lo
	s_delay_alu instid0(VALU_DEP_1) | instskip(NEXT) | instid1(VALU_DEP_1)
	v_cndmask_b32_e64 v3, v3, 0, s7
	v_add_nc_u32_e32 v4, v3, v4
	s_delay_alu instid0(VALU_DEP_1) | instskip(NEXT) | instid1(VALU_DEP_1)
	v_add_nc_u32_e32 v5, v4, v5
	v_add_nc_u32_e32 v6, v5, v6
	s_delay_alu instid0(VALU_DEP_1) | instskip(NEXT) | instid1(VALU_DEP_1)
	v_add_nc_u32_e32 v28, v6, v7
	;; [unrolled: 3-line block ×3, first 2 shown]
	v_add_nc_u32_e32 v1, v0, v2
	ds_store_2addr_b64 v19, v[3:4], v[5:6] offset0:8 offset1:9
	ds_store_2addr_b64 v20, v[28:29], v[0:1] offset0:2 offset1:3
	s_waitcnt lgkmcnt(0)
	s_barrier
	buffer_gl0_inv
	ds_load_b32 v0, v18
	v_lshlrev_b32_e32 v1, 3, v17
	s_waitcnt lgkmcnt(0)
	s_barrier
	buffer_gl0_inv
	v_lshl_add_u32 v0, v0, 3, v1
	ds_store_b64 v0, v[13:14]
	s_waitcnt lgkmcnt(0)
	s_barrier
	buffer_gl0_inv
	ds_load_b64 v[13:14], v25
	s_waitcnt lgkmcnt(0)
	s_barrier
	buffer_gl0_inv
	ds_store_b64 v0, v[15:16]
	s_waitcnt lgkmcnt(0)
	s_barrier
	buffer_gl0_inv
	v_bfe_u32 v1, v13, 24, 1
	v_lshrrev_b32_e32 v5, 24, v13
	s_delay_alu instid0(VALU_DEP_2) | instskip(NEXT) | instid1(VALU_DEP_1)
	v_add_co_u32 v1, s9, v1, -1
	v_cndmask_b32_e64 v2, 0, 1, s9
	s_delay_alu instid0(VALU_DEP_3)
	v_lshlrev_b32_e32 v3, 30, v5
	v_lshlrev_b32_e32 v4, 29, v5
	;; [unrolled: 1-line block ×4, first 2 shown]
	v_cmp_ne_u32_e64 s9, 0, v2
	v_not_b32_e32 v2, v3
	v_cmp_gt_i32_e64 s10, 0, v3
	v_not_b32_e32 v3, v4
	v_lshlrev_b32_e32 v17, 26, v5
	v_xor_b32_e32 v1, s9, v1
	v_ashrrev_i32_e32 v2, 31, v2
	v_cmp_gt_i32_e64 s9, 0, v4
	v_not_b32_e32 v4, v6
	v_ashrrev_i32_e32 v3, 31, v3
	v_and_b32_e32 v1, exec_lo, v1
	v_xor_b32_e32 v2, s10, v2
	v_cmp_gt_i32_e64 s10, 0, v6
	v_not_b32_e32 v6, v7
	v_ashrrev_i32_e32 v4, 31, v4
	v_xor_b32_e32 v3, s9, v3
	v_and_b32_e32 v1, v1, v2
	v_lshlrev_b32_e32 v18, 25, v5
	v_cmp_gt_i32_e64 s9, 0, v7
	v_not_b32_e32 v2, v17
	v_ashrrev_i32_e32 v6, 31, v6
	v_xor_b32_e32 v4, s10, v4
	v_and_b32_e32 v1, v1, v3
	v_cmp_gt_i32_e64 s10, 0, v17
	v_not_b32_e32 v3, v18
	v_ashrrev_i32_e32 v2, 31, v2
	v_xor_b32_e32 v6, s9, v6
	v_and_b32_e32 v1, v1, v4
	v_not_b32_e32 v4, v13
	v_cmp_gt_i32_e64 s9, 0, v18
	v_ashrrev_i32_e32 v3, 31, v3
	v_xor_b32_e32 v2, s10, v2
	v_and_b32_e32 v1, v1, v6
	v_cmp_gt_i32_e64 s10, 0, v13
	v_ashrrev_i32_e32 v4, 31, v4
	v_xor_b32_e32 v3, s9, v3
	ds_load_b64 v[17:18], v25
	v_and_b32_e32 v1, v1, v2
	s_waitcnt lgkmcnt(0)
	v_xor_b32_e32 v0, s10, v4
	s_barrier
	buffer_gl0_inv
	v_and_b32_e32 v3, v1, v3
	v_dual_mov_b32 v1, s20 :: v_dual_mov_b32 v2, s21
	s_delay_alu instid0(VALU_DEP_2)
	v_dual_mov_b32 v3, s14 :: v_dual_and_b32 v0, v3, v0
	v_mov_b32_e32 v4, s15
	ds_store_2addr_b64 v19, v[1:2], v[3:4] offset0:8 offset1:9
	ds_store_2addr_b64 v20, v[1:2], v[3:4] offset0:2 offset1:3
	v_mbcnt_lo_u32_b32 v15, v0, 0
	v_lshl_add_u32 v1, v5, 4, v26
	v_cmp_ne_u32_e64 s10, 0, v0
	s_waitcnt lgkmcnt(0)
	s_barrier
	v_cmp_eq_u32_e64 s9, 0, v15
	v_lshl_add_u32 v16, v1, 2, 64
	buffer_gl0_inv
	; wave barrier
	s_and_b32 s10, s10, s9
	s_delay_alu instid0(SALU_CYCLE_1)
	s_and_saveexec_b32 s9, s10
	s_cbranch_execz .LBB377_60
; %bb.59:                               ;   in Loop: Header=BB377_2 Depth=1
	v_bcnt_u32_b32 v0, v0, 0
	ds_store_b32 v16, v0
.LBB377_60:                             ;   in Loop: Header=BB377_2 Depth=1
	s_or_b32 exec_lo, exec_lo, s9
	; wave barrier
	s_waitcnt lgkmcnt(0)
	s_barrier
	buffer_gl0_inv
	ds_load_2addr_b64 v[4:7], v19 offset0:8 offset1:9
	ds_load_2addr_b64 v[0:3], v20 offset0:2 offset1:3
	s_waitcnt lgkmcnt(1)
	v_add_nc_u32_e32 v28, v5, v4
	s_delay_alu instid0(VALU_DEP_1) | instskip(SKIP_1) | instid1(VALU_DEP_1)
	v_add3_u32 v28, v28, v6, v7
	s_waitcnt lgkmcnt(0)
	v_add3_u32 v28, v28, v0, v1
	s_delay_alu instid0(VALU_DEP_1) | instskip(NEXT) | instid1(VALU_DEP_1)
	v_add3_u32 v3, v28, v2, v3
	v_mov_b32_dpp v28, v3 row_shr:1 row_mask:0xf bank_mask:0xf
	s_delay_alu instid0(VALU_DEP_1) | instskip(NEXT) | instid1(VALU_DEP_1)
	v_cndmask_b32_e64 v28, v28, 0, s0
	v_add_nc_u32_e32 v3, v28, v3
	s_delay_alu instid0(VALU_DEP_1) | instskip(NEXT) | instid1(VALU_DEP_1)
	v_mov_b32_dpp v28, v3 row_shr:2 row_mask:0xf bank_mask:0xf
	v_cndmask_b32_e64 v28, 0, v28, s1
	s_delay_alu instid0(VALU_DEP_1) | instskip(NEXT) | instid1(VALU_DEP_1)
	v_add_nc_u32_e32 v3, v3, v28
	v_mov_b32_dpp v28, v3 row_shr:4 row_mask:0xf bank_mask:0xf
	s_delay_alu instid0(VALU_DEP_1) | instskip(NEXT) | instid1(VALU_DEP_1)
	v_cndmask_b32_e64 v28, 0, v28, s2
	v_add_nc_u32_e32 v3, v3, v28
	s_delay_alu instid0(VALU_DEP_1) | instskip(NEXT) | instid1(VALU_DEP_1)
	v_mov_b32_dpp v28, v3 row_shr:8 row_mask:0xf bank_mask:0xf
	v_cndmask_b32_e64 v28, 0, v28, s3
	s_delay_alu instid0(VALU_DEP_1) | instskip(SKIP_3) | instid1(VALU_DEP_1)
	v_add_nc_u32_e32 v3, v3, v28
	ds_swizzle_b32 v28, v3 offset:swizzle(BROADCAST,32,15)
	s_waitcnt lgkmcnt(0)
	v_cndmask_b32_e64 v28, v28, 0, s4
	v_add_nc_u32_e32 v3, v3, v28
	s_and_saveexec_b32 s9, s8
	s_cbranch_execz .LBB377_62
; %bb.61:                               ;   in Loop: Header=BB377_2 Depth=1
	ds_store_b32 v21, v3
.LBB377_62:                             ;   in Loop: Header=BB377_2 Depth=1
	s_or_b32 exec_lo, exec_lo, s9
	s_waitcnt lgkmcnt(0)
	s_barrier
	buffer_gl0_inv
	s_and_saveexec_b32 s9, s5
	s_cbranch_execz .LBB377_64
; %bb.63:                               ;   in Loop: Header=BB377_2 Depth=1
	ds_load_b32 v28, v23
	s_waitcnt lgkmcnt(0)
	v_mov_b32_dpp v29, v28 row_shr:1 row_mask:0xf bank_mask:0xf
	s_delay_alu instid0(VALU_DEP_1) | instskip(NEXT) | instid1(VALU_DEP_1)
	v_cndmask_b32_e64 v29, v29, 0, s0
	v_add_nc_u32_e32 v28, v29, v28
	s_delay_alu instid0(VALU_DEP_1) | instskip(NEXT) | instid1(VALU_DEP_1)
	v_mov_b32_dpp v29, v28 row_shr:2 row_mask:0xf bank_mask:0xf
	v_cndmask_b32_e64 v29, 0, v29, s1
	s_delay_alu instid0(VALU_DEP_1) | instskip(NEXT) | instid1(VALU_DEP_1)
	v_add_nc_u32_e32 v28, v28, v29
	v_mov_b32_dpp v29, v28 row_shr:4 row_mask:0xf bank_mask:0xf
	s_delay_alu instid0(VALU_DEP_1) | instskip(NEXT) | instid1(VALU_DEP_1)
	v_cndmask_b32_e64 v29, 0, v29, s2
	v_add_nc_u32_e32 v28, v28, v29
	s_delay_alu instid0(VALU_DEP_1) | instskip(NEXT) | instid1(VALU_DEP_1)
	v_mov_b32_dpp v29, v28 row_shr:8 row_mask:0xf bank_mask:0xf
	v_cndmask_b32_e64 v29, 0, v29, s3
	s_delay_alu instid0(VALU_DEP_1)
	v_add_nc_u32_e32 v28, v28, v29
	ds_store_b32 v23, v28
.LBB377_64:                             ;   in Loop: Header=BB377_2 Depth=1
	s_or_b32 exec_lo, exec_lo, s9
	v_mov_b32_e32 v28, 0
	s_waitcnt lgkmcnt(0)
	s_barrier
	buffer_gl0_inv
	s_and_saveexec_b32 s9, s6
	s_cbranch_execz .LBB377_1
; %bb.65:                               ;   in Loop: Header=BB377_2 Depth=1
	ds_load_b32 v28, v24
	s_branch .LBB377_1
.LBB377_66:
	s_waitcnt lgkmcnt(0)
	v_add3_u32 v0, v13, v15, 0x80000000
	v_add3_u32 v1, v14, v16, 0x80000000
	v_lshlrev_b32_e32 v2, 3, v8
	s_add_u32 s0, s18, s12
	s_addc_u32 s1, s19, s13
	global_store_b64 v2, v[0:1], s[0:1]
	s_nop 0
	s_sendmsg sendmsg(MSG_DEALLOC_VGPRS)
	s_endpgm
	.section	.rodata,"a",@progbits
	.p2align	6, 0x0
	.amdhsa_kernel _Z17sort_pairs_kernelI22helper_blocked_stripedN15benchmark_utils11custom_typeIiiEELj512ELj1ELj10EEvPKT0_PS4_
		.amdhsa_group_segment_fixed_size 16448
		.amdhsa_private_segment_fixed_size 0
		.amdhsa_kernarg_size 272
		.amdhsa_user_sgpr_count 15
		.amdhsa_user_sgpr_dispatch_ptr 0
		.amdhsa_user_sgpr_queue_ptr 0
		.amdhsa_user_sgpr_kernarg_segment_ptr 1
		.amdhsa_user_sgpr_dispatch_id 0
		.amdhsa_user_sgpr_private_segment_size 0
		.amdhsa_wavefront_size32 1
		.amdhsa_uses_dynamic_stack 0
		.amdhsa_enable_private_segment 0
		.amdhsa_system_sgpr_workgroup_id_x 1
		.amdhsa_system_sgpr_workgroup_id_y 0
		.amdhsa_system_sgpr_workgroup_id_z 0
		.amdhsa_system_sgpr_workgroup_info 0
		.amdhsa_system_vgpr_workitem_id 2
		.amdhsa_next_free_vgpr 30
		.amdhsa_next_free_sgpr 22
		.amdhsa_reserve_vcc 1
		.amdhsa_float_round_mode_32 0
		.amdhsa_float_round_mode_16_64 0
		.amdhsa_float_denorm_mode_32 3
		.amdhsa_float_denorm_mode_16_64 3
		.amdhsa_dx10_clamp 1
		.amdhsa_ieee_mode 1
		.amdhsa_fp16_overflow 0
		.amdhsa_workgroup_processor_mode 1
		.amdhsa_memory_ordered 1
		.amdhsa_forward_progress 0
		.amdhsa_shared_vgpr_count 0
		.amdhsa_exception_fp_ieee_invalid_op 0
		.amdhsa_exception_fp_denorm_src 0
		.amdhsa_exception_fp_ieee_div_zero 0
		.amdhsa_exception_fp_ieee_overflow 0
		.amdhsa_exception_fp_ieee_underflow 0
		.amdhsa_exception_fp_ieee_inexact 0
		.amdhsa_exception_int_div_zero 0
	.end_amdhsa_kernel
	.section	.text._Z17sort_pairs_kernelI22helper_blocked_stripedN15benchmark_utils11custom_typeIiiEELj512ELj1ELj10EEvPKT0_PS4_,"axG",@progbits,_Z17sort_pairs_kernelI22helper_blocked_stripedN15benchmark_utils11custom_typeIiiEELj512ELj1ELj10EEvPKT0_PS4_,comdat
.Lfunc_end377:
	.size	_Z17sort_pairs_kernelI22helper_blocked_stripedN15benchmark_utils11custom_typeIiiEELj512ELj1ELj10EEvPKT0_PS4_, .Lfunc_end377-_Z17sort_pairs_kernelI22helper_blocked_stripedN15benchmark_utils11custom_typeIiiEELj512ELj1ELj10EEvPKT0_PS4_
                                        ; -- End function
	.section	.AMDGPU.csdata,"",@progbits
; Kernel info:
; codeLenInByte = 8708
; NumSgprs: 24
; NumVgprs: 30
; ScratchSize: 0
; MemoryBound: 0
; FloatMode: 240
; IeeeMode: 1
; LDSByteSize: 16448 bytes/workgroup (compile time only)
; SGPRBlocks: 2
; VGPRBlocks: 3
; NumSGPRsForWavesPerEU: 24
; NumVGPRsForWavesPerEU: 30
; Occupancy: 16
; WaveLimiterHint : 0
; COMPUTE_PGM_RSRC2:SCRATCH_EN: 0
; COMPUTE_PGM_RSRC2:USER_SGPR: 15
; COMPUTE_PGM_RSRC2:TRAP_HANDLER: 0
; COMPUTE_PGM_RSRC2:TGID_X_EN: 1
; COMPUTE_PGM_RSRC2:TGID_Y_EN: 0
; COMPUTE_PGM_RSRC2:TGID_Z_EN: 0
; COMPUTE_PGM_RSRC2:TIDIG_COMP_CNT: 2
	.section	.text._Z16sort_keys_kernelI22helper_blocked_stripedN15benchmark_utils11custom_typeIiiEELj512ELj3ELj10EEvPKT0_PS4_,"axG",@progbits,_Z16sort_keys_kernelI22helper_blocked_stripedN15benchmark_utils11custom_typeIiiEELj512ELj3ELj10EEvPKT0_PS4_,comdat
	.protected	_Z16sort_keys_kernelI22helper_blocked_stripedN15benchmark_utils11custom_typeIiiEELj512ELj3ELj10EEvPKT0_PS4_ ; -- Begin function _Z16sort_keys_kernelI22helper_blocked_stripedN15benchmark_utils11custom_typeIiiEELj512ELj3ELj10EEvPKT0_PS4_
	.globl	_Z16sort_keys_kernelI22helper_blocked_stripedN15benchmark_utils11custom_typeIiiEELj512ELj3ELj10EEvPKT0_PS4_
	.p2align	8
	.type	_Z16sort_keys_kernelI22helper_blocked_stripedN15benchmark_utils11custom_typeIiiEELj512ELj3ELj10EEvPKT0_PS4_,@function
_Z16sort_keys_kernelI22helper_blocked_stripedN15benchmark_utils11custom_typeIiiEELj512ELj3ELj10EEvPKT0_PS4_: ; @_Z16sort_keys_kernelI22helper_blocked_stripedN15benchmark_utils11custom_typeIiiEELj512ELj3ELj10EEvPKT0_PS4_
; %bb.0:
	s_clause 0x1
	s_load_b128 s[16:19], s[0:1], 0x0
	s_load_b32 s2, s[0:1], 0x1c
	s_mov_b32 s13, 0
	s_mul_i32 s12, s15, 0x600
	v_bfe_u32 v9, v0, 10, 10
	s_lshl_b64 s[14:15], s[12:13], 3
	s_mov_b32 s12, s13
	v_and_b32_e32 v8, 0x3ff, v0
	v_bfe_u32 v0, v0, 20, 10
	v_mbcnt_lo_u32_b32 v12, -1, 0
	s_mov_b32 s10, s13
	s_mov_b32 s11, s13
	v_mul_u32_u24_e32 v1, 3, v8
	s_delay_alu instid0(VALU_DEP_2) | instskip(NEXT) | instid1(VALU_DEP_2)
	v_cmp_eq_u32_e64 s8, 0, v12
	v_lshlrev_b32_e32 v7, 3, v1
	s_waitcnt lgkmcnt(0)
	s_add_u32 s0, s16, s14
	s_addc_u32 s1, s17, s15
	s_clause 0x2
	global_load_b64 v[5:6], v7, s[0:1] offset:16
	global_load_b128 v[1:4], v7, s[0:1]
	global_load_b64 v[1:2], v7, s[0:1]
	v_lshrrev_b32_e32 v7, 5, v8
	s_lshr_b32 s0, s2, 16
	s_delay_alu instid0(SALU_CYCLE_1) | instskip(SKIP_1) | instid1(VALU_DEP_2)
	v_mad_u32_u24 v0, v0, s0, v9
	s_and_b32 s0, s2, 0xffff
	v_mul_u32_u24_e32 v11, 0x60, v7
	v_lshlrev_b32_e32 v25, 2, v7
	s_delay_alu instid0(VALU_DEP_3) | instskip(NEXT) | instid1(VALU_DEP_3)
	v_mad_u64_u32 v[9:10], null, v0, s0, v[8:9]
	v_lshlrev_b32_e32 v13, 3, v11
	v_or_b32_e32 v0, v12, v11
	v_add_nc_u32_e32 v11, -1, v12
	v_and_b32_e32 v10, 15, v12
	v_add_nc_u32_e32 v27, -4, v25
	v_mad_u32_u24 v20, v12, 24, v13
	v_lshrrev_b32_e32 v23, 5, v9
	v_and_b32_e32 v9, 16, v12
	v_cmp_gt_i32_e32 vcc_lo, 0, v11
	v_lshlrev_b32_e32 v21, 3, v0
	v_cmp_eq_u32_e64 s0, 0, v10
	v_cmp_lt_u32_e64 s1, 1, v10
	v_cmp_eq_u32_e64 s4, 0, v9
	v_cndmask_b32_e32 v9, v11, v12, vcc_lo
	v_cmp_lt_u32_e64 s2, 3, v10
	v_cmp_lt_u32_e64 s3, 7, v10
	s_delay_alu instid0(VALU_DEP_3)
	v_dual_mov_b32 v9, s12 :: v_dual_lshlrev_b32 v24, 2, v9
	v_and_b32_e32 v0, 0x1e0, v8
	v_lshlrev_b32_e32 v19, 5, v8
	v_cmp_gt_u32_e64 s6, 16, v8
	v_cmp_lt_u32_e64 s7, 31, v8
	v_cmp_eq_u32_e64 s9, 0, v8
	v_or_b32_e32 v13, 31, v0
	v_mul_u32_u24_e32 v0, 3, v0
	v_mad_i32_i24 v26, 0xffffffe4, v8, v19
	v_add_nc_u32_e32 v22, 64, v19
	v_mov_b32_e32 v10, s13
	v_cmp_eq_u32_e64 s5, v13, v8
	v_or_b32_e32 v0, v12, v0
	v_dual_mov_b32 v12, s11 :: v_dual_mov_b32 v11, s10
	s_delay_alu instid0(VALU_DEP_2) | instskip(SKIP_1) | instid1(VALU_DEP_1)
	v_lshlrev_b32_e32 v28, 3, v0
	v_lshlrev_b32_e32 v0, 2, v8
	v_add_nc_u32_e32 v29, v26, v0
	s_branch .LBB378_2
.LBB378_1:                              ;   in Loop: Header=BB378_2 Depth=1
	s_barrier
	buffer_gl0_inv
	ds_store_b64 v6, v[13:14]
	ds_store_b64 v7, v[17:18]
	;; [unrolled: 1-line block ×3, first 2 shown]
	s_waitcnt lgkmcnt(0)
	s_barrier
	buffer_gl0_inv
	ds_load_2addr_stride64_b64 v[1:4], v29 offset1:8
	ds_load_b64 v[5:6], v29 offset:8192
	s_add_i32 s13, s13, 1
	s_delay_alu instid0(SALU_CYCLE_1)
	s_cmp_eq_u32 s13, 10
	s_waitcnt lgkmcnt(1)
	v_xor_b32_e32 v1, 0x80000000, v1
	v_xor_b32_e32 v2, 0x80000000, v2
	;; [unrolled: 1-line block ×4, first 2 shown]
	s_waitcnt lgkmcnt(0)
	v_xor_b32_e32 v5, 0x80000000, v5
	v_xor_b32_e32 v6, 0x80000000, v6
	s_cbranch_scc1 .LBB378_18
.LBB378_2:                              ; =>This Loop Header: Depth=1
                                        ;     Child Loop BB378_4 Depth 2
	s_waitcnt vmcnt(0)
	v_xor_b32_e32 v2, 0x80000000, v2
	v_xor_b32_e32 v1, 0x80000000, v1
	;; [unrolled: 1-line block ×6, first 2 shown]
	ds_store_2addr_b64 v20, v[1:2], v[3:4] offset1:1
	ds_store_b64 v20, v[5:6] offset:16
	; wave barrier
	ds_load_2addr_b64 v[0:3], v21 offset1:32
	ds_load_b64 v[4:5], v21 offset:512
	s_mov_b32 s16, 8
	s_mov_b32 s17, 32
	;; [unrolled: 1-line block ×3, first 2 shown]
	s_waitcnt lgkmcnt(0)
	s_barrier
	buffer_gl0_inv
	; wave barrier
	s_barrier
	s_branch .LBB378_4
.LBB378_3:                              ;   in Loop: Header=BB378_4 Depth=2
	s_barrier
	buffer_gl0_inv
	ds_store_b64 v6, v[13:14]
	ds_store_b64 v7, v[17:18]
	;; [unrolled: 1-line block ×3, first 2 shown]
	s_waitcnt lgkmcnt(0)
	s_barrier
	buffer_gl0_inv
	ds_load_2addr_b64 v[0:3], v28 offset1:32
	ds_load_b64 v[4:5], v28 offset:512
	s_add_i32 s17, s17, -8
	s_add_i32 s16, s16, 8
	s_add_i32 s20, s20, 8
	s_waitcnt lgkmcnt(0)
	s_barrier
	s_cbranch_execz .LBB378_1
.LBB378_4:                              ;   Parent Loop BB378_2 Depth=1
                                        ; =>  This Inner Loop Header: Depth=2
	s_min_i32 s11, s16, 32
	s_cmp_lt_u32 s20, 32
	v_dual_mov_b32 v14, v1 :: v_dual_mov_b32 v13, v0
	s_cselect_b32 vcc_lo, -1, 0
	s_cmp_gt_u32 s20, 24
	buffer_gl0_inv
	s_cselect_b32 s10, -1, 0
	s_sub_i32 s11, s11, 32
	v_lshrrev_b32_e32 v1, s20, v14
	s_add_i32 s12, s11, s17
	ds_store_2addr_b64 v19, v[9:10], v[11:12] offset0:8 offset1:9
	ds_store_2addr_b64 v22, v[9:10], v[11:12] offset0:2 offset1:3
	s_lshl_b32 s12, -1, s12
	s_waitcnt lgkmcnt(0)
	s_not_b32 s12, s12
	s_cmp_lg_u32 s11, s20
	s_barrier
	s_cselect_b32 s21, s12, -1
	s_max_i32 s22, s17, 0
	s_max_i32 s11, s20, 32
	v_and_b32_e32 v1, s21, v1
	s_sub_i32 s12, s11, s22
	s_sub_i32 s23, s11, 32
	;; [unrolled: 1-line block ×3, first 2 shown]
	v_lshrrev_b32_e32 v0, s23, v13
	s_min_i32 s11, s12, 32
	buffer_gl0_inv
	s_sub_i32 s11, s11, s23
	s_delay_alu instid0(SALU_CYCLE_1) | instskip(NEXT) | instid1(SALU_CYCLE_1)
	s_lshl_b32 s12, -1, s11
	; wave barrier
	s_not_b32 s12, s12
	s_cmp_lg_u32 s11, 32
	v_cndmask_b32_e32 v1, 0, v1, vcc_lo
	s_cselect_b32 s24, s12, -1
	s_delay_alu instid0(SALU_CYCLE_1) | instskip(NEXT) | instid1(VALU_DEP_1)
	v_and_b32_e32 v0, s24, v0
	v_lshlrev_b32_e32 v0, s22, v0
	s_delay_alu instid0(VALU_DEP_1) | instskip(NEXT) | instid1(VALU_DEP_1)
	v_cndmask_b32_e64 v0, 0, v0, s10
	v_or_b32_e32 v1, v1, v0
	s_delay_alu instid0(VALU_DEP_1)
	v_and_b32_e32 v0, 1, v1
	v_lshlrev_b32_e32 v6, 30, v1
	v_lshlrev_b32_e32 v7, 29, v1
	;; [unrolled: 1-line block ×4, first 2 shown]
	v_add_co_u32 v0, s11, v0, -1
	s_delay_alu instid0(VALU_DEP_1)
	v_cndmask_b32_e64 v16, 0, 1, s11
	v_not_b32_e32 v31, v6
	v_cmp_gt_i32_e64 s12, 0, v6
	v_not_b32_e32 v6, v7
	v_lshlrev_b32_e32 v18, 26, v1
	v_cmp_ne_u32_e64 s11, 0, v16
	v_ashrrev_i32_e32 v31, 31, v31
	v_lshlrev_b32_e32 v30, 25, v1
	v_ashrrev_i32_e32 v6, 31, v6
	v_lshlrev_b32_e32 v16, 24, v1
	v_xor_b32_e32 v0, s11, v0
	v_cmp_gt_i32_e64 s11, 0, v7
	v_not_b32_e32 v7, v15
	v_xor_b32_e32 v31, s12, v31
	v_cmp_gt_i32_e64 s12, 0, v15
	v_and_b32_e32 v0, exec_lo, v0
	v_not_b32_e32 v15, v17
	v_ashrrev_i32_e32 v7, 31, v7
	v_xor_b32_e32 v6, s11, v6
	v_cmp_gt_i32_e64 s11, 0, v17
	v_and_b32_e32 v0, v0, v31
	v_not_b32_e32 v17, v18
	v_ashrrev_i32_e32 v15, 31, v15
	v_xor_b32_e32 v7, s12, v7
	v_cmp_gt_i32_e64 s12, 0, v18
	v_and_b32_e32 v0, v0, v6
	;; [unrolled: 5-line block ×4, first 2 shown]
	v_mov_b32_e32 v16, v5
	v_ashrrev_i32_e32 v7, 31, v7
	v_xor_b32_e32 v6, s11, v6
	v_lshl_add_u32 v1, v1, 4, v23
	v_and_b32_e32 v0, v0, v17
	v_mov_b32_e32 v18, v3
	v_xor_b32_e32 v7, s12, v7
	v_mov_b32_e32 v17, v2
	v_mov_b32_e32 v15, v4
	v_and_b32_e32 v0, v0, v6
	v_lshl_add_u32 v31, v1, 2, 64
	s_delay_alu instid0(VALU_DEP_2) | instskip(NEXT) | instid1(VALU_DEP_1)
	v_and_b32_e32 v0, v0, v7
	v_mbcnt_lo_u32_b32 v30, v0, 0
	v_cmp_ne_u32_e64 s12, 0, v0
	s_delay_alu instid0(VALU_DEP_2) | instskip(NEXT) | instid1(VALU_DEP_1)
	v_cmp_eq_u32_e64 s11, 0, v30
	s_and_b32 s12, s11, s12
	s_delay_alu instid0(SALU_CYCLE_1)
	s_and_saveexec_b32 s11, s12
	s_cbranch_execz .LBB378_6
; %bb.5:                                ;   in Loop: Header=BB378_4 Depth=2
	v_bcnt_u32_b32 v0, v0, 0
	ds_store_b32 v31, v0
.LBB378_6:                              ;   in Loop: Header=BB378_4 Depth=2
	s_or_b32 exec_lo, exec_lo, s11
	v_lshrrev_b32_e32 v0, s23, v17
	v_lshrrev_b32_e32 v1, s20, v18
	; wave barrier
	s_delay_alu instid0(VALU_DEP_1) | instskip(NEXT) | instid1(VALU_DEP_1)
	v_and_b32_e32 v1, s21, v1
	v_dual_cndmask_b32 v1, 0, v1 :: v_dual_and_b32 v0, s24, v0
	s_delay_alu instid0(VALU_DEP_1) | instskip(NEXT) | instid1(VALU_DEP_1)
	v_lshlrev_b32_e32 v0, s22, v0
	v_cndmask_b32_e64 v0, 0, v0, s10
	s_delay_alu instid0(VALU_DEP_1) | instskip(NEXT) | instid1(VALU_DEP_1)
	v_or_b32_e32 v0, v1, v0
	v_and_b32_e32 v1, 1, v0
	v_lshlrev_b32_e32 v2, 30, v0
	v_lshlrev_b32_e32 v3, 29, v0
	;; [unrolled: 1-line block ×4, first 2 shown]
	v_add_co_u32 v1, s11, v1, -1
	s_delay_alu instid0(VALU_DEP_1)
	v_cndmask_b32_e64 v5, 0, 1, s11
	v_not_b32_e32 v33, v2
	v_cmp_gt_i32_e64 s12, 0, v2
	v_not_b32_e32 v2, v3
	v_lshlrev_b32_e32 v7, 26, v0
	v_cmp_ne_u32_e64 s11, 0, v5
	v_ashrrev_i32_e32 v33, 31, v33
	v_lshlrev_b32_e32 v32, 25, v0
	v_ashrrev_i32_e32 v2, 31, v2
	v_lshlrev_b32_e32 v5, 24, v0
	v_xor_b32_e32 v1, s11, v1
	v_cmp_gt_i32_e64 s11, 0, v3
	v_not_b32_e32 v3, v4
	v_xor_b32_e32 v33, s12, v33
	v_cmp_gt_i32_e64 s12, 0, v4
	v_and_b32_e32 v1, exec_lo, v1
	v_not_b32_e32 v4, v6
	v_ashrrev_i32_e32 v3, 31, v3
	v_xor_b32_e32 v2, s11, v2
	v_cmp_gt_i32_e64 s11, 0, v6
	v_and_b32_e32 v1, v1, v33
	v_not_b32_e32 v6, v7
	v_ashrrev_i32_e32 v4, 31, v4
	v_xor_b32_e32 v3, s12, v3
	v_cmp_gt_i32_e64 s12, 0, v7
	v_and_b32_e32 v1, v1, v2
	;; [unrolled: 5-line block ×3, first 2 shown]
	v_not_b32_e32 v3, v5
	v_ashrrev_i32_e32 v2, 31, v2
	v_xor_b32_e32 v6, s12, v6
	v_lshlrev_b32_e32 v0, 4, v0
	v_and_b32_e32 v1, v1, v4
	v_cmp_gt_i32_e64 s12, 0, v5
	v_ashrrev_i32_e32 v3, 31, v3
	v_xor_b32_e32 v2, s11, v2
	v_add_lshl_u32 v4, v0, v23, 2
	v_and_b32_e32 v1, v1, v6
	s_delay_alu instid0(VALU_DEP_4) | instskip(SKIP_3) | instid1(VALU_DEP_2)
	v_xor_b32_e32 v0, s12, v3
	ds_load_b32 v32, v4 offset:64
	v_and_b32_e32 v1, v1, v2
	v_add_nc_u32_e32 v34, 64, v4
	; wave barrier
	v_and_b32_e32 v0, v1, v0
	s_delay_alu instid0(VALU_DEP_1) | instskip(SKIP_1) | instid1(VALU_DEP_2)
	v_mbcnt_lo_u32_b32 v33, v0, 0
	v_cmp_ne_u32_e64 s12, 0, v0
	v_cmp_eq_u32_e64 s11, 0, v33
	s_delay_alu instid0(VALU_DEP_1) | instskip(NEXT) | instid1(SALU_CYCLE_1)
	s_and_b32 s12, s11, s12
	s_and_saveexec_b32 s11, s12
	s_cbranch_execz .LBB378_8
; %bb.7:                                ;   in Loop: Header=BB378_4 Depth=2
	s_waitcnt lgkmcnt(0)
	v_bcnt_u32_b32 v0, v0, v32
	ds_store_b32 v34, v0
.LBB378_8:                              ;   in Loop: Header=BB378_4 Depth=2
	s_or_b32 exec_lo, exec_lo, s11
	v_lshrrev_b32_e32 v0, s23, v15
	v_lshrrev_b32_e32 v1, s20, v16
	; wave barrier
	s_delay_alu instid0(VALU_DEP_1) | instskip(NEXT) | instid1(VALU_DEP_1)
	v_and_b32_e32 v1, s21, v1
	v_dual_cndmask_b32 v1, 0, v1 :: v_dual_and_b32 v0, s24, v0
	s_delay_alu instid0(VALU_DEP_1) | instskip(NEXT) | instid1(VALU_DEP_1)
	v_lshlrev_b32_e32 v0, s22, v0
	v_cndmask_b32_e64 v0, 0, v0, s10
	s_delay_alu instid0(VALU_DEP_1) | instskip(NEXT) | instid1(VALU_DEP_1)
	v_or_b32_e32 v0, v1, v0
	v_and_b32_e32 v1, 1, v0
	v_lshlrev_b32_e32 v2, 30, v0
	v_lshlrev_b32_e32 v3, 29, v0
	;; [unrolled: 1-line block ×4, first 2 shown]
	v_add_co_u32 v1, s10, v1, -1
	s_delay_alu instid0(VALU_DEP_1)
	v_cndmask_b32_e64 v5, 0, 1, s10
	v_not_b32_e32 v36, v2
	v_cmp_gt_i32_e64 s10, 0, v2
	v_not_b32_e32 v2, v3
	v_lshlrev_b32_e32 v7, 26, v0
	v_cmp_ne_u32_e32 vcc_lo, 0, v5
	v_ashrrev_i32_e32 v36, 31, v36
	v_lshlrev_b32_e32 v35, 25, v0
	v_ashrrev_i32_e32 v2, 31, v2
	v_lshlrev_b32_e32 v5, 24, v0
	v_xor_b32_e32 v1, vcc_lo, v1
	v_cmp_gt_i32_e32 vcc_lo, 0, v3
	v_not_b32_e32 v3, v4
	v_xor_b32_e32 v36, s10, v36
	v_cmp_gt_i32_e64 s10, 0, v4
	v_and_b32_e32 v1, exec_lo, v1
	v_not_b32_e32 v4, v6
	v_ashrrev_i32_e32 v3, 31, v3
	v_xor_b32_e32 v2, vcc_lo, v2
	v_cmp_gt_i32_e32 vcc_lo, 0, v6
	v_and_b32_e32 v1, v1, v36
	v_not_b32_e32 v6, v7
	v_ashrrev_i32_e32 v4, 31, v4
	v_xor_b32_e32 v3, s10, v3
	v_cmp_gt_i32_e64 s10, 0, v7
	v_and_b32_e32 v1, v1, v2
	v_not_b32_e32 v2, v35
	v_ashrrev_i32_e32 v6, 31, v6
	v_xor_b32_e32 v4, vcc_lo, v4
	v_cmp_gt_i32_e32 vcc_lo, 0, v35
	v_and_b32_e32 v1, v1, v3
	v_not_b32_e32 v3, v5
	v_ashrrev_i32_e32 v2, 31, v2
	v_xor_b32_e32 v6, s10, v6
	v_lshlrev_b32_e32 v0, 4, v0
	v_and_b32_e32 v1, v1, v4
	v_cmp_gt_i32_e64 s10, 0, v5
	v_ashrrev_i32_e32 v3, 31, v3
	v_xor_b32_e32 v2, vcc_lo, v2
	v_add_lshl_u32 v4, v0, v23, 2
	v_and_b32_e32 v1, v1, v6
	s_delay_alu instid0(VALU_DEP_4) | instskip(SKIP_3) | instid1(VALU_DEP_2)
	v_xor_b32_e32 v0, s10, v3
	ds_load_b32 v35, v4 offset:64
	v_and_b32_e32 v1, v1, v2
	v_add_nc_u32_e32 v37, 64, v4
	; wave barrier
	v_and_b32_e32 v0, v1, v0
	s_delay_alu instid0(VALU_DEP_1) | instskip(SKIP_1) | instid1(VALU_DEP_2)
	v_mbcnt_lo_u32_b32 v36, v0, 0
	v_cmp_ne_u32_e64 s10, 0, v0
	v_cmp_eq_u32_e32 vcc_lo, 0, v36
	s_delay_alu instid0(VALU_DEP_2) | instskip(NEXT) | instid1(SALU_CYCLE_1)
	s_and_b32 s11, vcc_lo, s10
	s_and_saveexec_b32 s10, s11
	s_cbranch_execz .LBB378_10
; %bb.9:                                ;   in Loop: Header=BB378_4 Depth=2
	s_waitcnt lgkmcnt(0)
	v_bcnt_u32_b32 v0, v0, v35
	ds_store_b32 v37, v0
.LBB378_10:                             ;   in Loop: Header=BB378_4 Depth=2
	s_or_b32 exec_lo, exec_lo, s10
	; wave barrier
	s_waitcnt lgkmcnt(0)
	s_barrier
	buffer_gl0_inv
	ds_load_2addr_b64 v[4:7], v19 offset0:8 offset1:9
	ds_load_2addr_b64 v[0:3], v22 offset0:2 offset1:3
	s_waitcnt lgkmcnt(1)
	v_add_nc_u32_e32 v38, v5, v4
	s_delay_alu instid0(VALU_DEP_1) | instskip(SKIP_1) | instid1(VALU_DEP_1)
	v_add3_u32 v38, v38, v6, v7
	s_waitcnt lgkmcnt(0)
	v_add3_u32 v38, v38, v0, v1
	s_delay_alu instid0(VALU_DEP_1) | instskip(NEXT) | instid1(VALU_DEP_1)
	v_add3_u32 v3, v38, v2, v3
	v_mov_b32_dpp v38, v3 row_shr:1 row_mask:0xf bank_mask:0xf
	s_delay_alu instid0(VALU_DEP_1) | instskip(NEXT) | instid1(VALU_DEP_1)
	v_cndmask_b32_e64 v38, v38, 0, s0
	v_add_nc_u32_e32 v3, v38, v3
	s_delay_alu instid0(VALU_DEP_1) | instskip(NEXT) | instid1(VALU_DEP_1)
	v_mov_b32_dpp v38, v3 row_shr:2 row_mask:0xf bank_mask:0xf
	v_cndmask_b32_e64 v38, 0, v38, s1
	s_delay_alu instid0(VALU_DEP_1) | instskip(NEXT) | instid1(VALU_DEP_1)
	v_add_nc_u32_e32 v3, v3, v38
	v_mov_b32_dpp v38, v3 row_shr:4 row_mask:0xf bank_mask:0xf
	s_delay_alu instid0(VALU_DEP_1) | instskip(NEXT) | instid1(VALU_DEP_1)
	v_cndmask_b32_e64 v38, 0, v38, s2
	v_add_nc_u32_e32 v3, v3, v38
	s_delay_alu instid0(VALU_DEP_1) | instskip(NEXT) | instid1(VALU_DEP_1)
	v_mov_b32_dpp v38, v3 row_shr:8 row_mask:0xf bank_mask:0xf
	v_cndmask_b32_e64 v38, 0, v38, s3
	s_delay_alu instid0(VALU_DEP_1) | instskip(SKIP_3) | instid1(VALU_DEP_1)
	v_add_nc_u32_e32 v3, v3, v38
	ds_swizzle_b32 v38, v3 offset:swizzle(BROADCAST,32,15)
	s_waitcnt lgkmcnt(0)
	v_cndmask_b32_e64 v38, v38, 0, s4
	v_add_nc_u32_e32 v3, v3, v38
	s_and_saveexec_b32 s10, s5
	s_cbranch_execz .LBB378_12
; %bb.11:                               ;   in Loop: Header=BB378_4 Depth=2
	ds_store_b32 v25, v3
.LBB378_12:                             ;   in Loop: Header=BB378_4 Depth=2
	s_or_b32 exec_lo, exec_lo, s10
	s_waitcnt lgkmcnt(0)
	s_barrier
	buffer_gl0_inv
	s_and_saveexec_b32 s10, s6
	s_cbranch_execz .LBB378_14
; %bb.13:                               ;   in Loop: Header=BB378_4 Depth=2
	ds_load_b32 v38, v26
	s_waitcnt lgkmcnt(0)
	v_mov_b32_dpp v39, v38 row_shr:1 row_mask:0xf bank_mask:0xf
	s_delay_alu instid0(VALU_DEP_1) | instskip(NEXT) | instid1(VALU_DEP_1)
	v_cndmask_b32_e64 v39, v39, 0, s0
	v_add_nc_u32_e32 v38, v39, v38
	s_delay_alu instid0(VALU_DEP_1) | instskip(NEXT) | instid1(VALU_DEP_1)
	v_mov_b32_dpp v39, v38 row_shr:2 row_mask:0xf bank_mask:0xf
	v_cndmask_b32_e64 v39, 0, v39, s1
	s_delay_alu instid0(VALU_DEP_1) | instskip(NEXT) | instid1(VALU_DEP_1)
	v_add_nc_u32_e32 v38, v38, v39
	v_mov_b32_dpp v39, v38 row_shr:4 row_mask:0xf bank_mask:0xf
	s_delay_alu instid0(VALU_DEP_1) | instskip(NEXT) | instid1(VALU_DEP_1)
	v_cndmask_b32_e64 v39, 0, v39, s2
	v_add_nc_u32_e32 v38, v38, v39
	s_delay_alu instid0(VALU_DEP_1) | instskip(NEXT) | instid1(VALU_DEP_1)
	v_mov_b32_dpp v39, v38 row_shr:8 row_mask:0xf bank_mask:0xf
	v_cndmask_b32_e64 v39, 0, v39, s3
	s_delay_alu instid0(VALU_DEP_1)
	v_add_nc_u32_e32 v38, v38, v39
	ds_store_b32 v26, v38
.LBB378_14:                             ;   in Loop: Header=BB378_4 Depth=2
	s_or_b32 exec_lo, exec_lo, s10
	v_mov_b32_e32 v38, 0
	s_waitcnt lgkmcnt(0)
	s_barrier
	buffer_gl0_inv
	s_and_saveexec_b32 s10, s7
	s_cbranch_execz .LBB378_16
; %bb.15:                               ;   in Loop: Header=BB378_4 Depth=2
	ds_load_b32 v38, v27
.LBB378_16:                             ;   in Loop: Header=BB378_4 Depth=2
	s_or_b32 exec_lo, exec_lo, s10
	s_waitcnt lgkmcnt(0)
	v_add_nc_u32_e32 v3, v38, v3
	s_cmp_gt_u32 s20, 55
	ds_bpermute_b32 v3, v24, v3
	s_waitcnt lgkmcnt(0)
	v_cndmask_b32_e64 v3, v3, v38, s8
	s_delay_alu instid0(VALU_DEP_1) | instskip(NEXT) | instid1(VALU_DEP_1)
	v_cndmask_b32_e64 v3, v3, 0, s9
	v_add_nc_u32_e32 v4, v3, v4
	s_delay_alu instid0(VALU_DEP_1) | instskip(NEXT) | instid1(VALU_DEP_1)
	v_add_nc_u32_e32 v5, v4, v5
	v_add_nc_u32_e32 v6, v5, v6
	s_delay_alu instid0(VALU_DEP_1) | instskip(NEXT) | instid1(VALU_DEP_1)
	v_add_nc_u32_e32 v38, v6, v7
	v_add_nc_u32_e32 v39, v38, v0
	s_delay_alu instid0(VALU_DEP_1) | instskip(NEXT) | instid1(VALU_DEP_1)
	v_add_nc_u32_e32 v0, v39, v1
	v_add_nc_u32_e32 v1, v0, v2
	ds_store_2addr_b64 v19, v[3:4], v[5:6] offset0:8 offset1:9
	ds_store_2addr_b64 v22, v[38:39], v[0:1] offset0:2 offset1:3
	s_waitcnt lgkmcnt(0)
	s_barrier
	buffer_gl0_inv
	ds_load_b32 v0, v34
	ds_load_b32 v1, v37
	ds_load_b32 v2, v31
	v_lshlrev_b32_e32 v3, 3, v30
	v_lshlrev_b32_e32 v4, 3, v33
	;; [unrolled: 1-line block ×5, first 2 shown]
	s_waitcnt lgkmcnt(0)
	v_lshlrev_b32_e32 v0, 3, v0
	v_lshlrev_b32_e32 v1, 3, v1
	v_lshl_add_u32 v6, v2, 3, v3
	s_delay_alu instid0(VALU_DEP_3) | instskip(NEXT) | instid1(VALU_DEP_3)
	v_add3_u32 v7, v4, v5, v0
	v_add3_u32 v30, v30, v31, v1
	s_cbranch_scc0 .LBB378_3
; %bb.17:                               ;   in Loop: Header=BB378_2 Depth=1
                                        ; implicit-def: $sgpr20
                                        ; implicit-def: $vgpr0_vgpr1
                                        ; implicit-def: $vgpr4_vgpr5
                                        ; implicit-def: $sgpr17
                                        ; implicit-def: $sgpr16
	s_branch .LBB378_1
.LBB378_18:
	v_lshlrev_b32_e32 v0, 3, v8
	s_add_u32 s0, s18, s14
	s_addc_u32 s1, s19, s15
	s_delay_alu instid0(VALU_DEP_1) | instskip(NEXT) | instid1(VALU_DEP_1)
	v_add_co_u32 v7, s2, s0, v0
	v_add_co_ci_u32_e64 v8, null, s1, 0, s2
	s_delay_alu instid0(VALU_DEP_2) | instskip(NEXT) | instid1(VALU_DEP_2)
	v_add_co_u32 v7, vcc_lo, v7, 0x2000
	v_add_co_ci_u32_e32 v8, vcc_lo, 0, v8, vcc_lo
	s_clause 0x2
	global_store_b64 v0, v[1:2], s[0:1]
	global_store_b64 v[7:8], v[3:4], off offset:-4096
	global_store_b64 v[7:8], v[5:6], off
	s_nop 0
	s_sendmsg sendmsg(MSG_DEALLOC_VGPRS)
	s_endpgm
	.section	.rodata,"a",@progbits
	.p2align	6, 0x0
	.amdhsa_kernel _Z16sort_keys_kernelI22helper_blocked_stripedN15benchmark_utils11custom_typeIiiEELj512ELj3ELj10EEvPKT0_PS4_
		.amdhsa_group_segment_fixed_size 16448
		.amdhsa_private_segment_fixed_size 0
		.amdhsa_kernarg_size 272
		.amdhsa_user_sgpr_count 15
		.amdhsa_user_sgpr_dispatch_ptr 0
		.amdhsa_user_sgpr_queue_ptr 0
		.amdhsa_user_sgpr_kernarg_segment_ptr 1
		.amdhsa_user_sgpr_dispatch_id 0
		.amdhsa_user_sgpr_private_segment_size 0
		.amdhsa_wavefront_size32 1
		.amdhsa_uses_dynamic_stack 0
		.amdhsa_enable_private_segment 0
		.amdhsa_system_sgpr_workgroup_id_x 1
		.amdhsa_system_sgpr_workgroup_id_y 0
		.amdhsa_system_sgpr_workgroup_id_z 0
		.amdhsa_system_sgpr_workgroup_info 0
		.amdhsa_system_vgpr_workitem_id 2
		.amdhsa_next_free_vgpr 40
		.amdhsa_next_free_sgpr 25
		.amdhsa_reserve_vcc 1
		.amdhsa_float_round_mode_32 0
		.amdhsa_float_round_mode_16_64 0
		.amdhsa_float_denorm_mode_32 3
		.amdhsa_float_denorm_mode_16_64 3
		.amdhsa_dx10_clamp 1
		.amdhsa_ieee_mode 1
		.amdhsa_fp16_overflow 0
		.amdhsa_workgroup_processor_mode 1
		.amdhsa_memory_ordered 1
		.amdhsa_forward_progress 0
		.amdhsa_shared_vgpr_count 0
		.amdhsa_exception_fp_ieee_invalid_op 0
		.amdhsa_exception_fp_denorm_src 0
		.amdhsa_exception_fp_ieee_div_zero 0
		.amdhsa_exception_fp_ieee_overflow 0
		.amdhsa_exception_fp_ieee_underflow 0
		.amdhsa_exception_fp_ieee_inexact 0
		.amdhsa_exception_int_div_zero 0
	.end_amdhsa_kernel
	.section	.text._Z16sort_keys_kernelI22helper_blocked_stripedN15benchmark_utils11custom_typeIiiEELj512ELj3ELj10EEvPKT0_PS4_,"axG",@progbits,_Z16sort_keys_kernelI22helper_blocked_stripedN15benchmark_utils11custom_typeIiiEELj512ELj3ELj10EEvPKT0_PS4_,comdat
.Lfunc_end378:
	.size	_Z16sort_keys_kernelI22helper_blocked_stripedN15benchmark_utils11custom_typeIiiEELj512ELj3ELj10EEvPKT0_PS4_, .Lfunc_end378-_Z16sort_keys_kernelI22helper_blocked_stripedN15benchmark_utils11custom_typeIiiEELj512ELj3ELj10EEvPKT0_PS4_
                                        ; -- End function
	.section	.AMDGPU.csdata,"",@progbits
; Kernel info:
; codeLenInByte = 2728
; NumSgprs: 27
; NumVgprs: 40
; ScratchSize: 0
; MemoryBound: 0
; FloatMode: 240
; IeeeMode: 1
; LDSByteSize: 16448 bytes/workgroup (compile time only)
; SGPRBlocks: 3
; VGPRBlocks: 4
; NumSGPRsForWavesPerEU: 27
; NumVGPRsForWavesPerEU: 40
; Occupancy: 16
; WaveLimiterHint : 1
; COMPUTE_PGM_RSRC2:SCRATCH_EN: 0
; COMPUTE_PGM_RSRC2:USER_SGPR: 15
; COMPUTE_PGM_RSRC2:TRAP_HANDLER: 0
; COMPUTE_PGM_RSRC2:TGID_X_EN: 1
; COMPUTE_PGM_RSRC2:TGID_Y_EN: 0
; COMPUTE_PGM_RSRC2:TGID_Z_EN: 0
; COMPUTE_PGM_RSRC2:TIDIG_COMP_CNT: 2
	.section	.text._Z17sort_pairs_kernelI22helper_blocked_stripedN15benchmark_utils11custom_typeIiiEELj512ELj3ELj10EEvPKT0_PS4_,"axG",@progbits,_Z17sort_pairs_kernelI22helper_blocked_stripedN15benchmark_utils11custom_typeIiiEELj512ELj3ELj10EEvPKT0_PS4_,comdat
	.protected	_Z17sort_pairs_kernelI22helper_blocked_stripedN15benchmark_utils11custom_typeIiiEELj512ELj3ELj10EEvPKT0_PS4_ ; -- Begin function _Z17sort_pairs_kernelI22helper_blocked_stripedN15benchmark_utils11custom_typeIiiEELj512ELj3ELj10EEvPKT0_PS4_
	.globl	_Z17sort_pairs_kernelI22helper_blocked_stripedN15benchmark_utils11custom_typeIiiEELj512ELj3ELj10EEvPKT0_PS4_
	.p2align	8
	.type	_Z17sort_pairs_kernelI22helper_blocked_stripedN15benchmark_utils11custom_typeIiiEELj512ELj3ELj10EEvPKT0_PS4_,@function
_Z17sort_pairs_kernelI22helper_blocked_stripedN15benchmark_utils11custom_typeIiiEELj512ELj3ELj10EEvPKT0_PS4_: ; @_Z17sort_pairs_kernelI22helper_blocked_stripedN15benchmark_utils11custom_typeIiiEELj512ELj3ELj10EEvPKT0_PS4_
; %bb.0:
	s_clause 0x1
	s_load_b128 s[16:19], s[0:1], 0x0
	s_load_b32 s9, s[0:1], 0x1c
	v_and_b32_e32 v9, 0x3ff, v0
	s_mov_b32 s13, 0
	s_mul_i32 s12, s15, 0x600
	v_mbcnt_lo_u32_b32 v7, -1, 0
	s_lshl_b64 s[14:15], s[12:13], 3
	v_mul_u32_u24_e32 v1, 3, v9
	s_mov_b32 s12, s13
	s_delay_alu instid0(VALU_DEP_2) | instskip(NEXT) | instid1(VALU_DEP_2)
	v_add_nc_u32_e32 v16, -1, v7
	v_dual_mov_b32 v12, s12 :: v_dual_lshlrev_b32 v5, 3, v1
	v_dual_mov_b32 v13, s13 :: v_dual_and_b32 v8, 16, v7
	s_delay_alu instid0(VALU_DEP_3) | instskip(SKIP_1) | instid1(VALU_DEP_3)
	v_cmp_gt_i32_e32 vcc_lo, 0, v16
	v_and_b32_e32 v6, 15, v7
	v_cmp_eq_u32_e64 s5, 0, v8
	s_waitcnt lgkmcnt(0)
	s_add_u32 s0, s16, s14
	s_addc_u32 s1, s17, s15
	s_clause 0x1
	global_load_b128 v[1:4], v5, s[0:1]
	global_load_b64 v[14:15], v5, s[0:1] offset:16
	s_mov_b32 s1, s13
	s_mov_b32 s0, s13
	v_mov_b32_e32 v11, s1
	v_bfe_u32 v5, v0, 10, 10
	v_bfe_u32 v0, v0, 20, 10
	v_mov_b32_e32 v10, s0
	v_lshrrev_b32_e32 v17, 5, v9
	v_lshlrev_b32_e32 v30, 5, v9
	v_cmp_eq_u32_e64 s1, 0, v6
	v_cmp_lt_u32_e64 s2, 1, v6
	v_cmp_lt_u32_e64 s3, 3, v6
	;; [unrolled: 1-line block ×3, first 2 shown]
	v_and_b32_e32 v6, 0x1e0, v9
	v_dual_cndmask_b32 v8, v16, v7 :: v_dual_add_nc_u32 v31, 64, v30
	s_lshr_b32 s10, s9, 16
	v_mul_u32_u24_e32 v16, 0x60, v17
	v_mad_u32_u24 v0, v0, s10, v5
	s_delay_alu instid0(VALU_DEP_3)
	v_lshlrev_b32_e32 v32, 2, v8
	v_mul_u32_u24_e32 v8, 3, v6
	s_and_b32 s9, s9, 0xffff
	v_or_b32_e32 v19, 31, v6
	v_mad_u64_u32 v[5:6], null, v0, s9, v[9:10]
	v_lshlrev_b32_e32 v18, 2, v9
	v_lshlrev_b32_e32 v33, 2, v17
	v_mad_i32_i24 v34, 0xffffffe4, v9, v30
	v_lshlrev_b32_e32 v17, 3, v16
	v_or_b32_e32 v0, v7, v16
	v_or_b32_e32 v6, v7, v8
	v_cmp_eq_u32_e64 s0, 0, v7
	v_cmp_gt_u32_e64 s6, 16, v9
	v_cmp_lt_u32_e64 s7, 31, v9
	v_cmp_eq_u32_e64 s8, 0, v9
	v_cmp_eq_u32_e64 s9, v19, v9
	v_add_nc_u32_e32 v35, -4, v33
	v_mad_u32_u24 v36, v7, 24, v17
	v_lshlrev_b32_e32 v37, 3, v0
	v_lshlrev_b32_e32 v38, 3, v6
	v_lshrrev_b32_e32 v39, 5, v5
	v_add_nc_u32_e32 v40, v34, v18
	s_waitcnt vmcnt(1)
	v_add_nc_u32_e32 v6, 1, v2
	v_add_nc_u32_e32 v5, 1, v1
	;; [unrolled: 1-line block ×4, first 2 shown]
	s_waitcnt vmcnt(0)
	v_add_nc_u32_e32 v17, 1, v15
	v_add_nc_u32_e32 v16, 1, v14
	s_branch .LBB379_2
.LBB379_1:                              ;   in Loop: Header=BB379_2 Depth=1
	s_barrier
	buffer_gl0_inv
	ds_store_b64 v8, v[14:15]
	ds_store_b64 v41, v[24:25]
	;; [unrolled: 1-line block ×3, first 2 shown]
	s_waitcnt lgkmcnt(0)
	s_barrier
	buffer_gl0_inv
	ds_load_2addr_stride64_b64 v[1:4], v40 offset1:8
	ds_load_b64 v[14:15], v40 offset:8192
	s_waitcnt lgkmcnt(0)
	s_barrier
	buffer_gl0_inv
	ds_store_b64 v8, v[18:19]
	ds_store_b64 v41, v[16:17]
	ds_store_b64 v42, v[20:21]
	s_waitcnt lgkmcnt(0)
	s_barrier
	buffer_gl0_inv
	ds_load_2addr_stride64_b64 v[5:8], v40 offset1:8
	ds_load_b64 v[16:17], v40 offset:8192
	s_add_i32 s13, s13, 1
	s_delay_alu instid0(SALU_CYCLE_1)
	s_cmp_lg_u32 s13, 10
	v_xor_b32_e32 v1, 0x80000000, v1
	v_xor_b32_e32 v2, 0x80000000, v2
	;; [unrolled: 1-line block ×6, first 2 shown]
	s_cbranch_scc0 .LBB379_18
.LBB379_2:                              ; =>This Loop Header: Depth=1
                                        ;     Child Loop BB379_4 Depth 2
	v_xor_b32_e32 v2, 0x80000000, v2
	v_xor_b32_e32 v1, 0x80000000, v1
	v_xor_b32_e32 v4, 0x80000000, v4
	v_xor_b32_e32 v3, 0x80000000, v3
	v_xor_b32_e32 v15, 0x80000000, v15
	v_xor_b32_e32 v14, 0x80000000, v14
	ds_store_2addr_b64 v36, v[1:2], v[3:4] offset1:1
	ds_store_b64 v36, v[14:15] offset:16
	; wave barrier
	ds_load_2addr_b64 v[0:3], v37 offset1:32
	ds_load_b64 v[26:27], v37 offset:512
	; wave barrier
	s_waitcnt lgkmcnt(5)
	ds_store_2addr_b64 v36, v[5:6], v[7:8] offset1:1
	s_waitcnt lgkmcnt(5)
	ds_store_b64 v36, v[16:17] offset:16
	; wave barrier
	ds_load_2addr_b64 v[4:7], v37 offset1:32
	ds_load_b64 v[28:29], v37 offset:512
	s_mov_b32 s16, 8
	s_mov_b32 s17, 32
	;; [unrolled: 1-line block ×3, first 2 shown]
	s_waitcnt lgkmcnt(0)
	s_barrier
	s_branch .LBB379_4
.LBB379_3:                              ;   in Loop: Header=BB379_4 Depth=2
	s_barrier
	buffer_gl0_inv
	ds_store_b64 v8, v[14:15]
	ds_store_b64 v41, v[24:25]
	;; [unrolled: 1-line block ×3, first 2 shown]
	s_waitcnt lgkmcnt(0)
	s_barrier
	buffer_gl0_inv
	ds_load_2addr_b64 v[0:3], v38 offset1:32
	ds_load_b64 v[26:27], v38 offset:512
	s_waitcnt lgkmcnt(0)
	s_barrier
	buffer_gl0_inv
	ds_store_b64 v8, v[18:19]
	ds_store_b64 v41, v[16:17]
	ds_store_b64 v42, v[20:21]
	s_waitcnt lgkmcnt(0)
	s_barrier
	buffer_gl0_inv
	ds_load_2addr_b64 v[4:7], v38 offset1:32
	ds_load_b64 v[28:29], v38 offset:512
	s_add_i32 s17, s17, -8
	s_add_i32 s16, s16, 8
	s_add_i32 s20, s20, 8
	s_waitcnt lgkmcnt(0)
	s_barrier
	s_cbranch_execz .LBB379_1
.LBB379_4:                              ;   Parent Loop BB379_2 Depth=1
                                        ; =>  This Inner Loop Header: Depth=2
	s_min_i32 s11, s16, 32
	s_cmp_lt_u32 s20, 32
	v_dual_mov_b32 v15, v1 :: v_dual_mov_b32 v14, v0
	s_cselect_b32 vcc_lo, -1, 0
	s_cmp_gt_u32 s20, 24
	buffer_gl0_inv
	s_cselect_b32 s10, -1, 0
	s_sub_i32 s11, s11, 32
	v_lshrrev_b32_e32 v1, s20, v15
	s_add_i32 s12, s11, s17
	ds_store_2addr_b64 v30, v[12:13], v[10:11] offset0:8 offset1:9
	ds_store_2addr_b64 v31, v[12:13], v[10:11] offset0:2 offset1:3
	s_lshl_b32 s12, -1, s12
	s_waitcnt lgkmcnt(0)
	s_not_b32 s12, s12
	s_cmp_lg_u32 s11, s20
	s_barrier
	s_cselect_b32 s21, s12, -1
	s_max_i32 s22, s17, 0
	s_max_i32 s11, s20, 32
	v_and_b32_e32 v1, s21, v1
	s_sub_i32 s12, s11, s22
	s_sub_i32 s23, s11, 32
	;; [unrolled: 1-line block ×3, first 2 shown]
	v_lshrrev_b32_e32 v0, s23, v14
	s_min_i32 s11, s12, 32
	buffer_gl0_inv
	s_sub_i32 s11, s11, s23
	s_delay_alu instid0(SALU_CYCLE_1) | instskip(NEXT) | instid1(SALU_CYCLE_1)
	s_lshl_b32 s12, -1, s11
	; wave barrier
	s_not_b32 s12, s12
	s_cmp_lg_u32 s11, 32
	v_cndmask_b32_e32 v1, 0, v1, vcc_lo
	s_cselect_b32 s24, s12, -1
	s_delay_alu instid0(SALU_CYCLE_1) | instskip(SKIP_1) | instid1(VALU_DEP_2)
	v_dual_mov_b32 v25, v3 :: v_dual_and_b32 v0, s24, v0
	v_mov_b32_e32 v24, v2
	v_lshlrev_b32_e32 v0, s22, v0
	s_delay_alu instid0(VALU_DEP_1) | instskip(NEXT) | instid1(VALU_DEP_1)
	v_cndmask_b32_e64 v0, 0, v0, s10
	v_or_b32_e32 v1, v1, v0
	s_delay_alu instid0(VALU_DEP_1)
	v_and_b32_e32 v0, 1, v1
	v_lshlrev_b32_e32 v8, 30, v1
	v_lshlrev_b32_e32 v16, 29, v1
	;; [unrolled: 1-line block ×4, first 2 shown]
	v_add_co_u32 v0, s11, v0, -1
	s_delay_alu instid0(VALU_DEP_1)
	v_cndmask_b32_e64 v18, 0, 1, s11
	v_not_b32_e32 v22, v8
	v_cmp_gt_i32_e64 s12, 0, v8
	v_not_b32_e32 v8, v16
	v_lshlrev_b32_e32 v20, 26, v1
	v_cmp_ne_u32_e64 s11, 0, v18
	v_ashrrev_i32_e32 v22, 31, v22
	v_lshlrev_b32_e32 v21, 25, v1
	v_ashrrev_i32_e32 v8, 31, v8
	v_lshlrev_b32_e32 v18, 24, v1
	v_xor_b32_e32 v0, s11, v0
	v_cmp_gt_i32_e64 s11, 0, v16
	v_not_b32_e32 v16, v17
	v_xor_b32_e32 v22, s12, v22
	v_cmp_gt_i32_e64 s12, 0, v17
	v_and_b32_e32 v0, exec_lo, v0
	v_not_b32_e32 v17, v19
	v_ashrrev_i32_e32 v16, 31, v16
	v_xor_b32_e32 v8, s11, v8
	v_cmp_gt_i32_e64 s11, 0, v19
	v_and_b32_e32 v0, v0, v22
	v_mov_b32_e32 v22, v26
	v_ashrrev_i32_e32 v17, 31, v17
	v_xor_b32_e32 v16, s12, v16
	v_mov_b32_e32 v23, v27
	v_not_b32_e32 v19, v20
	v_and_b32_e32 v0, v0, v8
	v_cmp_gt_i32_e64 s12, 0, v20
	v_not_b32_e32 v8, v21
	v_xor_b32_e32 v17, s11, v17
	v_ashrrev_i32_e32 v19, 31, v19
	v_and_b32_e32 v0, v0, v16
	v_cmp_gt_i32_e64 s11, 0, v21
	v_not_b32_e32 v16, v18
	v_ashrrev_i32_e32 v8, 31, v8
	v_xor_b32_e32 v19, s12, v19
	v_and_b32_e32 v0, v0, v17
	v_cmp_gt_i32_e64 s12, 0, v18
	v_ashrrev_i32_e32 v16, 31, v16
	v_xor_b32_e32 v8, s11, v8
	v_lshl_add_u32 v1, v1, 4, v39
	v_dual_mov_b32 v19, v5 :: v_dual_and_b32 v0, v0, v19
	s_delay_alu instid0(VALU_DEP_4) | instskip(SKIP_1) | instid1(VALU_DEP_3)
	v_xor_b32_e32 v20, s12, v16
	v_dual_mov_b32 v17, v7 :: v_dual_mov_b32 v18, v4
	v_and_b32_e32 v0, v0, v8
	v_mov_b32_e32 v16, v6
	v_lshl_add_u32 v26, v1, 2, 64
	s_delay_alu instid0(VALU_DEP_3) | instskip(SKIP_1) | instid1(VALU_DEP_2)
	v_and_b32_e32 v0, v0, v20
	v_dual_mov_b32 v20, v28 :: v_dual_mov_b32 v21, v29
	v_mbcnt_lo_u32_b32 v8, v0, 0
	v_cmp_ne_u32_e64 s12, 0, v0
	s_delay_alu instid0(VALU_DEP_2) | instskip(NEXT) | instid1(VALU_DEP_1)
	v_cmp_eq_u32_e64 s11, 0, v8
	s_and_b32 s12, s11, s12
	s_delay_alu instid0(SALU_CYCLE_1)
	s_and_saveexec_b32 s11, s12
	s_cbranch_execz .LBB379_6
; %bb.5:                                ;   in Loop: Header=BB379_4 Depth=2
	v_bcnt_u32_b32 v0, v0, 0
	ds_store_b32 v26, v0
.LBB379_6:                              ;   in Loop: Header=BB379_4 Depth=2
	s_or_b32 exec_lo, exec_lo, s11
	v_lshrrev_b32_e32 v0, s23, v24
	v_lshrrev_b32_e32 v1, s20, v25
	; wave barrier
	s_delay_alu instid0(VALU_DEP_1) | instskip(NEXT) | instid1(VALU_DEP_1)
	v_and_b32_e32 v1, s21, v1
	v_dual_cndmask_b32 v1, 0, v1 :: v_dual_and_b32 v0, s24, v0
	s_delay_alu instid0(VALU_DEP_1) | instskip(NEXT) | instid1(VALU_DEP_1)
	v_lshlrev_b32_e32 v0, s22, v0
	v_cndmask_b32_e64 v0, 0, v0, s10
	s_delay_alu instid0(VALU_DEP_1) | instskip(NEXT) | instid1(VALU_DEP_1)
	v_or_b32_e32 v0, v1, v0
	v_and_b32_e32 v1, 1, v0
	v_lshlrev_b32_e32 v2, 30, v0
	v_lshlrev_b32_e32 v3, 29, v0
	;; [unrolled: 1-line block ×4, first 2 shown]
	v_add_co_u32 v1, s11, v1, -1
	s_delay_alu instid0(VALU_DEP_1)
	v_cndmask_b32_e64 v5, 0, 1, s11
	v_not_b32_e32 v28, v2
	v_cmp_gt_i32_e64 s12, 0, v2
	v_not_b32_e32 v2, v3
	v_lshlrev_b32_e32 v7, 26, v0
	v_cmp_ne_u32_e64 s11, 0, v5
	v_ashrrev_i32_e32 v28, 31, v28
	v_lshlrev_b32_e32 v27, 25, v0
	v_ashrrev_i32_e32 v2, 31, v2
	v_lshlrev_b32_e32 v5, 24, v0
	v_xor_b32_e32 v1, s11, v1
	v_cmp_gt_i32_e64 s11, 0, v3
	v_not_b32_e32 v3, v4
	v_xor_b32_e32 v28, s12, v28
	v_cmp_gt_i32_e64 s12, 0, v4
	v_and_b32_e32 v1, exec_lo, v1
	v_not_b32_e32 v4, v6
	v_ashrrev_i32_e32 v3, 31, v3
	v_xor_b32_e32 v2, s11, v2
	v_cmp_gt_i32_e64 s11, 0, v6
	v_and_b32_e32 v1, v1, v28
	v_not_b32_e32 v6, v7
	v_ashrrev_i32_e32 v4, 31, v4
	v_xor_b32_e32 v3, s12, v3
	v_cmp_gt_i32_e64 s12, 0, v7
	v_and_b32_e32 v1, v1, v2
	;; [unrolled: 5-line block ×3, first 2 shown]
	v_not_b32_e32 v3, v5
	v_ashrrev_i32_e32 v2, 31, v2
	v_xor_b32_e32 v6, s12, v6
	v_lshlrev_b32_e32 v0, 4, v0
	v_and_b32_e32 v1, v1, v4
	v_cmp_gt_i32_e64 s12, 0, v5
	v_ashrrev_i32_e32 v3, 31, v3
	v_xor_b32_e32 v2, s11, v2
	v_add_lshl_u32 v4, v0, v39, 2
	v_and_b32_e32 v1, v1, v6
	s_delay_alu instid0(VALU_DEP_4) | instskip(SKIP_3) | instid1(VALU_DEP_2)
	v_xor_b32_e32 v0, s12, v3
	ds_load_b32 v27, v4 offset:64
	v_and_b32_e32 v1, v1, v2
	v_add_nc_u32_e32 v29, 64, v4
	; wave barrier
	v_and_b32_e32 v0, v1, v0
	s_delay_alu instid0(VALU_DEP_1) | instskip(SKIP_1) | instid1(VALU_DEP_2)
	v_mbcnt_lo_u32_b32 v28, v0, 0
	v_cmp_ne_u32_e64 s12, 0, v0
	v_cmp_eq_u32_e64 s11, 0, v28
	s_delay_alu instid0(VALU_DEP_1) | instskip(NEXT) | instid1(SALU_CYCLE_1)
	s_and_b32 s12, s11, s12
	s_and_saveexec_b32 s11, s12
	s_cbranch_execz .LBB379_8
; %bb.7:                                ;   in Loop: Header=BB379_4 Depth=2
	s_waitcnt lgkmcnt(0)
	v_bcnt_u32_b32 v0, v0, v27
	ds_store_b32 v29, v0
.LBB379_8:                              ;   in Loop: Header=BB379_4 Depth=2
	s_or_b32 exec_lo, exec_lo, s11
	v_lshrrev_b32_e32 v0, s23, v22
	v_lshrrev_b32_e32 v1, s20, v23
	; wave barrier
	s_delay_alu instid0(VALU_DEP_1) | instskip(NEXT) | instid1(VALU_DEP_1)
	v_and_b32_e32 v1, s21, v1
	v_dual_cndmask_b32 v1, 0, v1 :: v_dual_and_b32 v0, s24, v0
	s_delay_alu instid0(VALU_DEP_1) | instskip(NEXT) | instid1(VALU_DEP_1)
	v_lshlrev_b32_e32 v0, s22, v0
	v_cndmask_b32_e64 v0, 0, v0, s10
	s_delay_alu instid0(VALU_DEP_1) | instskip(NEXT) | instid1(VALU_DEP_1)
	v_or_b32_e32 v0, v1, v0
	v_and_b32_e32 v1, 1, v0
	v_lshlrev_b32_e32 v2, 30, v0
	v_lshlrev_b32_e32 v3, 29, v0
	;; [unrolled: 1-line block ×4, first 2 shown]
	v_add_co_u32 v1, s10, v1, -1
	s_delay_alu instid0(VALU_DEP_1)
	v_cndmask_b32_e64 v5, 0, 1, s10
	v_not_b32_e32 v42, v2
	v_cmp_gt_i32_e64 s10, 0, v2
	v_not_b32_e32 v2, v3
	v_lshlrev_b32_e32 v7, 26, v0
	v_cmp_ne_u32_e32 vcc_lo, 0, v5
	v_ashrrev_i32_e32 v42, 31, v42
	v_lshlrev_b32_e32 v41, 25, v0
	v_ashrrev_i32_e32 v2, 31, v2
	v_lshlrev_b32_e32 v5, 24, v0
	v_xor_b32_e32 v1, vcc_lo, v1
	v_cmp_gt_i32_e32 vcc_lo, 0, v3
	v_not_b32_e32 v3, v4
	v_xor_b32_e32 v42, s10, v42
	v_cmp_gt_i32_e64 s10, 0, v4
	v_and_b32_e32 v1, exec_lo, v1
	v_not_b32_e32 v4, v6
	v_ashrrev_i32_e32 v3, 31, v3
	v_xor_b32_e32 v2, vcc_lo, v2
	v_cmp_gt_i32_e32 vcc_lo, 0, v6
	v_and_b32_e32 v1, v1, v42
	v_not_b32_e32 v6, v7
	v_ashrrev_i32_e32 v4, 31, v4
	v_xor_b32_e32 v3, s10, v3
	v_cmp_gt_i32_e64 s10, 0, v7
	v_and_b32_e32 v1, v1, v2
	v_not_b32_e32 v2, v41
	v_ashrrev_i32_e32 v6, 31, v6
	v_xor_b32_e32 v4, vcc_lo, v4
	v_cmp_gt_i32_e32 vcc_lo, 0, v41
	v_and_b32_e32 v1, v1, v3
	v_not_b32_e32 v3, v5
	v_ashrrev_i32_e32 v2, 31, v2
	v_xor_b32_e32 v6, s10, v6
	v_lshlrev_b32_e32 v0, 4, v0
	v_and_b32_e32 v1, v1, v4
	v_cmp_gt_i32_e64 s10, 0, v5
	v_ashrrev_i32_e32 v3, 31, v3
	v_xor_b32_e32 v2, vcc_lo, v2
	v_add_lshl_u32 v4, v0, v39, 2
	v_and_b32_e32 v1, v1, v6
	s_delay_alu instid0(VALU_DEP_4) | instskip(SKIP_3) | instid1(VALU_DEP_2)
	v_xor_b32_e32 v0, s10, v3
	ds_load_b32 v41, v4 offset:64
	v_and_b32_e32 v1, v1, v2
	v_add_nc_u32_e32 v43, 64, v4
	; wave barrier
	v_and_b32_e32 v0, v1, v0
	s_delay_alu instid0(VALU_DEP_1) | instskip(SKIP_1) | instid1(VALU_DEP_2)
	v_mbcnt_lo_u32_b32 v42, v0, 0
	v_cmp_ne_u32_e64 s10, 0, v0
	v_cmp_eq_u32_e32 vcc_lo, 0, v42
	s_delay_alu instid0(VALU_DEP_2) | instskip(NEXT) | instid1(SALU_CYCLE_1)
	s_and_b32 s11, vcc_lo, s10
	s_and_saveexec_b32 s10, s11
	s_cbranch_execz .LBB379_10
; %bb.9:                                ;   in Loop: Header=BB379_4 Depth=2
	s_waitcnt lgkmcnt(0)
	v_bcnt_u32_b32 v0, v0, v41
	ds_store_b32 v43, v0
.LBB379_10:                             ;   in Loop: Header=BB379_4 Depth=2
	s_or_b32 exec_lo, exec_lo, s10
	; wave barrier
	s_waitcnt lgkmcnt(0)
	s_barrier
	buffer_gl0_inv
	ds_load_2addr_b64 v[4:7], v30 offset0:8 offset1:9
	ds_load_2addr_b64 v[0:3], v31 offset0:2 offset1:3
	s_waitcnt lgkmcnt(1)
	v_add_nc_u32_e32 v44, v5, v4
	s_delay_alu instid0(VALU_DEP_1) | instskip(SKIP_1) | instid1(VALU_DEP_1)
	v_add3_u32 v44, v44, v6, v7
	s_waitcnt lgkmcnt(0)
	v_add3_u32 v44, v44, v0, v1
	s_delay_alu instid0(VALU_DEP_1) | instskip(NEXT) | instid1(VALU_DEP_1)
	v_add3_u32 v3, v44, v2, v3
	v_mov_b32_dpp v44, v3 row_shr:1 row_mask:0xf bank_mask:0xf
	s_delay_alu instid0(VALU_DEP_1) | instskip(NEXT) | instid1(VALU_DEP_1)
	v_cndmask_b32_e64 v44, v44, 0, s1
	v_add_nc_u32_e32 v3, v44, v3
	s_delay_alu instid0(VALU_DEP_1) | instskip(NEXT) | instid1(VALU_DEP_1)
	v_mov_b32_dpp v44, v3 row_shr:2 row_mask:0xf bank_mask:0xf
	v_cndmask_b32_e64 v44, 0, v44, s2
	s_delay_alu instid0(VALU_DEP_1) | instskip(NEXT) | instid1(VALU_DEP_1)
	v_add_nc_u32_e32 v3, v3, v44
	v_mov_b32_dpp v44, v3 row_shr:4 row_mask:0xf bank_mask:0xf
	s_delay_alu instid0(VALU_DEP_1) | instskip(NEXT) | instid1(VALU_DEP_1)
	v_cndmask_b32_e64 v44, 0, v44, s3
	v_add_nc_u32_e32 v3, v3, v44
	s_delay_alu instid0(VALU_DEP_1) | instskip(NEXT) | instid1(VALU_DEP_1)
	v_mov_b32_dpp v44, v3 row_shr:8 row_mask:0xf bank_mask:0xf
	v_cndmask_b32_e64 v44, 0, v44, s4
	s_delay_alu instid0(VALU_DEP_1) | instskip(SKIP_3) | instid1(VALU_DEP_1)
	v_add_nc_u32_e32 v3, v3, v44
	ds_swizzle_b32 v44, v3 offset:swizzle(BROADCAST,32,15)
	s_waitcnt lgkmcnt(0)
	v_cndmask_b32_e64 v44, v44, 0, s5
	v_add_nc_u32_e32 v3, v3, v44
	s_and_saveexec_b32 s10, s9
	s_cbranch_execz .LBB379_12
; %bb.11:                               ;   in Loop: Header=BB379_4 Depth=2
	ds_store_b32 v33, v3
.LBB379_12:                             ;   in Loop: Header=BB379_4 Depth=2
	s_or_b32 exec_lo, exec_lo, s10
	s_waitcnt lgkmcnt(0)
	s_barrier
	buffer_gl0_inv
	s_and_saveexec_b32 s10, s6
	s_cbranch_execz .LBB379_14
; %bb.13:                               ;   in Loop: Header=BB379_4 Depth=2
	ds_load_b32 v44, v34
	s_waitcnt lgkmcnt(0)
	v_mov_b32_dpp v45, v44 row_shr:1 row_mask:0xf bank_mask:0xf
	s_delay_alu instid0(VALU_DEP_1) | instskip(NEXT) | instid1(VALU_DEP_1)
	v_cndmask_b32_e64 v45, v45, 0, s1
	v_add_nc_u32_e32 v44, v45, v44
	s_delay_alu instid0(VALU_DEP_1) | instskip(NEXT) | instid1(VALU_DEP_1)
	v_mov_b32_dpp v45, v44 row_shr:2 row_mask:0xf bank_mask:0xf
	v_cndmask_b32_e64 v45, 0, v45, s2
	s_delay_alu instid0(VALU_DEP_1) | instskip(NEXT) | instid1(VALU_DEP_1)
	v_add_nc_u32_e32 v44, v44, v45
	v_mov_b32_dpp v45, v44 row_shr:4 row_mask:0xf bank_mask:0xf
	s_delay_alu instid0(VALU_DEP_1) | instskip(NEXT) | instid1(VALU_DEP_1)
	v_cndmask_b32_e64 v45, 0, v45, s3
	v_add_nc_u32_e32 v44, v44, v45
	s_delay_alu instid0(VALU_DEP_1) | instskip(NEXT) | instid1(VALU_DEP_1)
	v_mov_b32_dpp v45, v44 row_shr:8 row_mask:0xf bank_mask:0xf
	v_cndmask_b32_e64 v45, 0, v45, s4
	s_delay_alu instid0(VALU_DEP_1)
	v_add_nc_u32_e32 v44, v44, v45
	ds_store_b32 v34, v44
.LBB379_14:                             ;   in Loop: Header=BB379_4 Depth=2
	s_or_b32 exec_lo, exec_lo, s10
	v_mov_b32_e32 v44, 0
	s_waitcnt lgkmcnt(0)
	s_barrier
	buffer_gl0_inv
	s_and_saveexec_b32 s10, s7
	s_cbranch_execz .LBB379_16
; %bb.15:                               ;   in Loop: Header=BB379_4 Depth=2
	ds_load_b32 v44, v35
.LBB379_16:                             ;   in Loop: Header=BB379_4 Depth=2
	s_or_b32 exec_lo, exec_lo, s10
	s_waitcnt lgkmcnt(0)
	v_add_nc_u32_e32 v3, v44, v3
	s_cmp_gt_u32 s20, 55
	ds_bpermute_b32 v3, v32, v3
	s_waitcnt lgkmcnt(0)
	v_cndmask_b32_e64 v3, v3, v44, s0
	s_delay_alu instid0(VALU_DEP_1) | instskip(NEXT) | instid1(VALU_DEP_1)
	v_cndmask_b32_e64 v3, v3, 0, s8
	v_add_nc_u32_e32 v4, v3, v4
	s_delay_alu instid0(VALU_DEP_1) | instskip(NEXT) | instid1(VALU_DEP_1)
	v_add_nc_u32_e32 v5, v4, v5
	v_add_nc_u32_e32 v6, v5, v6
	s_delay_alu instid0(VALU_DEP_1) | instskip(SKIP_1) | instid1(VALU_DEP_2)
	v_add_nc_u32_e32 v44, v6, v7
	v_lshlrev_b32_e32 v7, 3, v41
	v_add_nc_u32_e32 v45, v44, v0
	s_delay_alu instid0(VALU_DEP_1) | instskip(NEXT) | instid1(VALU_DEP_1)
	v_add_nc_u32_e32 v0, v45, v1
	v_add_nc_u32_e32 v1, v0, v2
	ds_store_2addr_b64 v30, v[3:4], v[5:6] offset0:8 offset1:9
	ds_store_2addr_b64 v31, v[44:45], v[0:1] offset0:2 offset1:3
	s_waitcnt lgkmcnt(0)
	s_barrier
	buffer_gl0_inv
	ds_load_b32 v0, v29
	ds_load_b32 v1, v43
	;; [unrolled: 1-line block ×3, first 2 shown]
	v_lshlrev_b32_e32 v3, 3, v8
	v_lshlrev_b32_e32 v4, 3, v28
	;; [unrolled: 1-line block ×4, first 2 shown]
	s_waitcnt lgkmcnt(0)
	v_lshlrev_b32_e32 v0, 3, v0
	v_lshlrev_b32_e32 v1, 3, v1
	v_lshl_add_u32 v8, v2, 3, v3
	s_delay_alu instid0(VALU_DEP_3) | instskip(NEXT) | instid1(VALU_DEP_3)
	v_add3_u32 v41, v4, v5, v0
	v_add3_u32 v42, v6, v7, v1
	s_cbranch_scc0 .LBB379_3
; %bb.17:                               ;   in Loop: Header=BB379_2 Depth=1
                                        ; implicit-def: $sgpr20
                                        ; implicit-def: $vgpr4_vgpr5
                                        ; implicit-def: $vgpr28_vgpr29
                                        ; implicit-def: $vgpr0_vgpr1
                                        ; implicit-def: $vgpr26_vgpr27
                                        ; implicit-def: $sgpr17
                                        ; implicit-def: $sgpr16
	s_branch .LBB379_1
.LBB379_18:
	v_lshlrev_b32_e32 v9, 3, v9
	s_add_u32 s0, s18, s14
	s_waitcnt lgkmcnt(1)
	v_add_nc_u32_e32 v0, v1, v5
	s_addc_u32 s1, s19, s15
	v_add_nc_u32_e32 v1, v2, v6
	v_add_co_u32 v5, s2, s0, v9
	v_add_nc_u32_e32 v2, v3, v7
	v_add_co_ci_u32_e64 v7, null, s1, 0, s2
	s_delay_alu instid0(VALU_DEP_3) | instskip(SKIP_1) | instid1(VALU_DEP_3)
	v_add_co_u32 v6, vcc_lo, v5, 0x2000
	v_add_nc_u32_e32 v3, v4, v8
	v_add_co_ci_u32_e32 v7, vcc_lo, 0, v7, vcc_lo
	s_waitcnt lgkmcnt(0)
	v_add_nc_u32_e32 v4, v14, v16
	v_add_nc_u32_e32 v5, v15, v17
	s_clause 0x2
	global_store_b64 v9, v[0:1], s[0:1]
	global_store_b64 v[6:7], v[2:3], off offset:-4096
	global_store_b64 v[6:7], v[4:5], off
	s_nop 0
	s_sendmsg sendmsg(MSG_DEALLOC_VGPRS)
	s_endpgm
	.section	.rodata,"a",@progbits
	.p2align	6, 0x0
	.amdhsa_kernel _Z17sort_pairs_kernelI22helper_blocked_stripedN15benchmark_utils11custom_typeIiiEELj512ELj3ELj10EEvPKT0_PS4_
		.amdhsa_group_segment_fixed_size 16448
		.amdhsa_private_segment_fixed_size 0
		.amdhsa_kernarg_size 272
		.amdhsa_user_sgpr_count 15
		.amdhsa_user_sgpr_dispatch_ptr 0
		.amdhsa_user_sgpr_queue_ptr 0
		.amdhsa_user_sgpr_kernarg_segment_ptr 1
		.amdhsa_user_sgpr_dispatch_id 0
		.amdhsa_user_sgpr_private_segment_size 0
		.amdhsa_wavefront_size32 1
		.amdhsa_uses_dynamic_stack 0
		.amdhsa_enable_private_segment 0
		.amdhsa_system_sgpr_workgroup_id_x 1
		.amdhsa_system_sgpr_workgroup_id_y 0
		.amdhsa_system_sgpr_workgroup_id_z 0
		.amdhsa_system_sgpr_workgroup_info 0
		.amdhsa_system_vgpr_workitem_id 2
		.amdhsa_next_free_vgpr 46
		.amdhsa_next_free_sgpr 25
		.amdhsa_reserve_vcc 1
		.amdhsa_float_round_mode_32 0
		.amdhsa_float_round_mode_16_64 0
		.amdhsa_float_denorm_mode_32 3
		.amdhsa_float_denorm_mode_16_64 3
		.amdhsa_dx10_clamp 1
		.amdhsa_ieee_mode 1
		.amdhsa_fp16_overflow 0
		.amdhsa_workgroup_processor_mode 1
		.amdhsa_memory_ordered 1
		.amdhsa_forward_progress 0
		.amdhsa_shared_vgpr_count 0
		.amdhsa_exception_fp_ieee_invalid_op 0
		.amdhsa_exception_fp_denorm_src 0
		.amdhsa_exception_fp_ieee_div_zero 0
		.amdhsa_exception_fp_ieee_overflow 0
		.amdhsa_exception_fp_ieee_underflow 0
		.amdhsa_exception_fp_ieee_inexact 0
		.amdhsa_exception_int_div_zero 0
	.end_amdhsa_kernel
	.section	.text._Z17sort_pairs_kernelI22helper_blocked_stripedN15benchmark_utils11custom_typeIiiEELj512ELj3ELj10EEvPKT0_PS4_,"axG",@progbits,_Z17sort_pairs_kernelI22helper_blocked_stripedN15benchmark_utils11custom_typeIiiEELj512ELj3ELj10EEvPKT0_PS4_,comdat
.Lfunc_end379:
	.size	_Z17sort_pairs_kernelI22helper_blocked_stripedN15benchmark_utils11custom_typeIiiEELj512ELj3ELj10EEvPKT0_PS4_, .Lfunc_end379-_Z17sort_pairs_kernelI22helper_blocked_stripedN15benchmark_utils11custom_typeIiiEELj512ELj3ELj10EEvPKT0_PS4_
                                        ; -- End function
	.section	.AMDGPU.csdata,"",@progbits
; Kernel info:
; codeLenInByte = 2960
; NumSgprs: 27
; NumVgprs: 46
; ScratchSize: 0
; MemoryBound: 0
; FloatMode: 240
; IeeeMode: 1
; LDSByteSize: 16448 bytes/workgroup (compile time only)
; SGPRBlocks: 3
; VGPRBlocks: 5
; NumSGPRsForWavesPerEU: 27
; NumVGPRsForWavesPerEU: 46
; Occupancy: 16
; WaveLimiterHint : 1
; COMPUTE_PGM_RSRC2:SCRATCH_EN: 0
; COMPUTE_PGM_RSRC2:USER_SGPR: 15
; COMPUTE_PGM_RSRC2:TRAP_HANDLER: 0
; COMPUTE_PGM_RSRC2:TGID_X_EN: 1
; COMPUTE_PGM_RSRC2:TGID_Y_EN: 0
; COMPUTE_PGM_RSRC2:TGID_Z_EN: 0
; COMPUTE_PGM_RSRC2:TIDIG_COMP_CNT: 2
	.section	.text._Z16sort_keys_kernelI22helper_blocked_stripedN15benchmark_utils11custom_typeIiiEELj512ELj4ELj10EEvPKT0_PS4_,"axG",@progbits,_Z16sort_keys_kernelI22helper_blocked_stripedN15benchmark_utils11custom_typeIiiEELj512ELj4ELj10EEvPKT0_PS4_,comdat
	.protected	_Z16sort_keys_kernelI22helper_blocked_stripedN15benchmark_utils11custom_typeIiiEELj512ELj4ELj10EEvPKT0_PS4_ ; -- Begin function _Z16sort_keys_kernelI22helper_blocked_stripedN15benchmark_utils11custom_typeIiiEELj512ELj4ELj10EEvPKT0_PS4_
	.globl	_Z16sort_keys_kernelI22helper_blocked_stripedN15benchmark_utils11custom_typeIiiEELj512ELj4ELj10EEvPKT0_PS4_
	.p2align	8
	.type	_Z16sort_keys_kernelI22helper_blocked_stripedN15benchmark_utils11custom_typeIiiEELj512ELj4ELj10EEvPKT0_PS4_,@function
_Z16sort_keys_kernelI22helper_blocked_stripedN15benchmark_utils11custom_typeIiiEELj512ELj4ELj10EEvPKT0_PS4_: ; @_Z16sort_keys_kernelI22helper_blocked_stripedN15benchmark_utils11custom_typeIiiEELj512ELj4ELj10EEvPKT0_PS4_
; %bb.0:
	s_clause 0x1
	s_load_b128 s[16:19], s[0:1], 0x0
	s_load_b32 s2, s[0:1], 0x1c
	s_mov_b32 s23, 0
	s_lshl_b32 s22, s15, 11
	v_bfe_u32 v10, v0, 10, 10
	s_lshl_b64 s[20:21], s[22:23], 3
	s_mov_b32 s22, s23
	v_and_b32_e32 v9, 0x3ff, v0
	v_bfe_u32 v0, v0, 20, 10
	v_mbcnt_lo_u32_b32 v12, -1, 0
	s_mov_b32 s14, s23
	s_mov_b32 s15, s23
	v_lshlrev_b32_e32 v22, 5, v9
	s_delay_alu instid0(VALU_DEP_2) | instskip(SKIP_2) | instid1(VALU_DEP_3)
	v_and_b32_e32 v13, 3, v12
	v_and_b32_e32 v24, 28, v12
	v_cmp_eq_u32_e64 s12, 0, v12
	v_cmp_eq_u32_e64 s3, 3, v13
	s_waitcnt lgkmcnt(0)
	s_add_u32 s0, s16, s20
	s_addc_u32 s1, s17, s21
	s_clause 0x2
	global_load_b128 v[1:4], v22, s[0:1] offset:16
	global_load_b128 v[5:8], v22, s[0:1]
	global_load_b64 v[5:6], v22, s[0:1]
	s_lshr_b32 s0, s2, 16
	s_and_b32 s2, s2, 0xffff
	v_mad_u32_u24 v0, v0, s0, v10
	v_cmp_eq_u32_e64 s0, 0, v13
	v_cmp_eq_u32_e64 s1, 1, v13
	s_delay_alu instid0(VALU_DEP_3) | instskip(SKIP_3) | instid1(VALU_DEP_3)
	v_mad_u64_u32 v[10:11], null, v0, s2, v[9:10]
	v_add_nc_u32_e32 v11, -1, v12
	v_and_b32_e32 v0, 15, v12
	v_cmp_eq_u32_e64 s2, 2, v13
	v_cmp_gt_i32_e32 vcc_lo, 0, v11
	v_lshrrev_b32_e32 v29, 5, v10
	v_and_b32_e32 v10, 16, v12
	v_cmp_eq_u32_e64 s4, 0, v0
	v_cmp_lt_u32_e64 s5, 1, v0
	v_cmp_lt_u32_e64 s6, 3, v0
	;; [unrolled: 1-line block ×3, first 2 shown]
	v_cmp_eq_u32_e64 s8, 0, v10
	v_cndmask_b32_e32 v10, v11, v12, vcc_lo
	v_lshrrev_b32_e32 v11, 3, v9
	s_delay_alu instid0(VALU_DEP_1) | instskip(NEXT) | instid1(VALU_DEP_3)
	v_and_b32_e32 v31, 60, v11
	v_lshlrev_b32_e32 v30, 2, v10
	v_dual_mov_b32 v10, s22 :: v_dual_lshlrev_b32 v23, 2, v9
	v_or_b32_e32 v0, 31, v9
	v_cmp_gt_u32_e64 s10, 16, v9
	v_cmp_lt_u32_e64 s11, 31, v9
	v_cmp_eq_u32_e64 s13, 0, v9
	v_add_nc_u32_e32 v33, -4, v31
	v_cmp_eq_u32_e64 s9, v0, v9
	v_and_or_b32 v0, 0x780, v23, v12
	v_dual_mov_b32 v12, s14 :: v_dual_mov_b32 v11, s23
	v_add_nc_u32_e32 v28, 64, v22
	v_mad_i32_i24 v32, 0xffffffe4, v9, v22
	s_delay_alu instid0(VALU_DEP_4)
	v_dual_mov_b32 v13, s15 :: v_dual_lshlrev_b32 v34, 3, v0
	v_or_b32_e32 v25, 32, v24
	v_or_b32_e32 v26, 64, v24
	;; [unrolled: 1-line block ×3, first 2 shown]
	s_branch .LBB380_2
.LBB380_1:                              ;   in Loop: Header=BB380_2 Depth=1
	v_add_nc_u32_e32 v4, v32, v23
	s_barrier
	buffer_gl0_inv
	ds_store_b64 v35, v[14:15]
	ds_store_b64 v36, v[20:21]
	;; [unrolled: 1-line block ×4, first 2 shown]
	s_waitcnt lgkmcnt(0)
	s_barrier
	buffer_gl0_inv
	ds_load_2addr_stride64_b64 v[0:3], v4 offset1:8
	ds_load_2addr_stride64_b64 v[14:17], v4 offset0:16 offset1:24
	s_add_i32 s23, s23, 1
	s_delay_alu instid0(SALU_CYCLE_1)
	s_cmp_eq_u32 s23, 10
	s_waitcnt lgkmcnt(1)
	v_xor_b32_e32 v5, 0x80000000, v0
	v_xor_b32_e32 v6, 0x80000000, v1
	v_xor_b32_e32 v7, 0x80000000, v2
	v_xor_b32_e32 v8, 0x80000000, v3
	s_waitcnt lgkmcnt(0)
	v_xor_b32_e32 v1, 0x80000000, v14
	v_xor_b32_e32 v2, 0x80000000, v15
	;; [unrolled: 1-line block ×4, first 2 shown]
	s_cbranch_scc1 .LBB380_20
.LBB380_2:                              ; =>This Loop Header: Depth=1
                                        ;     Child Loop BB380_4 Depth 2
	s_waitcnt vmcnt(0)
	v_xor_b32_e32 v0, 0x80000000, v6
	v_xor_b32_e32 v5, 0x80000000, v5
	;; [unrolled: 1-line block ×5, first 2 shown]
	ds_bpermute_b32 v8, v24, v0
	ds_bpermute_b32 v14, v24, v5
	;; [unrolled: 1-line block ×4, first 2 shown]
	v_xor_b32_e32 v2, 0x80000000, v2
	v_xor_b32_e32 v3, 0x80000000, v3
	ds_bpermute_b32 v17, v25, v0
	ds_bpermute_b32 v20, v24, v15
	v_xor_b32_e32 v4, 0x80000000, v4
	ds_bpermute_b32 v18, v25, v5
	ds_bpermute_b32 v19, v24, v2
	;; [unrolled: 1-line block ×11, first 2 shown]
	s_waitcnt lgkmcnt(16)
	v_cndmask_b32_e64 v8, 0, v8, s0
	s_waitcnt lgkmcnt(15)
	v_cndmask_b32_e64 v14, 0, v14, s0
	ds_bpermute_b32 v43, v26, v7
	ds_bpermute_b32 v7, v27, v7
	ds_bpermute_b32 v6, v27, v6
	s_waitcnt lgkmcnt(16)
	v_cndmask_b32_e64 v1, v8, v1, s1
	v_cndmask_b32_e64 v8, v14, v16, s1
	ds_bpermute_b32 v14, v27, v0
	s_waitcnt lgkmcnt(16)
	v_cndmask_b32_e64 v0, 0, v17, s0
	ds_bpermute_b32 v38, v25, v15
	s_waitcnt lgkmcnt(15)
	v_cndmask_b32_e64 v16, 0, v18, s0
	v_cndmask_b32_e64 v8, v8, v20, s2
	s_waitcnt lgkmcnt(14)
	v_cndmask_b32_e64 v1, v1, v19, s2
	s_waitcnt lgkmcnt(12)
	v_cndmask_b32_e64 v17, v0, v35, s1
	ds_bpermute_b32 v18, v26, v2
	ds_bpermute_b32 v19, v26, v15
	v_cndmask_b32_e64 v0, v8, v21, s3
	ds_bpermute_b32 v8, v25, v4
	ds_bpermute_b32 v2, v27, v2
	;; [unrolled: 1-line block ×3, first 2 shown]
	s_waitcnt lgkmcnt(16)
	v_cndmask_b32_e64 v16, v16, v36, s1
	s_waitcnt lgkmcnt(15)
	v_cndmask_b32_e64 v1, v1, v37, s3
	ds_bpermute_b32 v20, v25, v3
	ds_bpermute_b32 v21, v26, v4
	ds_bpermute_b32 v35, v26, v3
	ds_bpermute_b32 v36, v27, v4
	ds_bpermute_b32 v37, v27, v3
	s_waitcnt lgkmcnt(19)
	v_cndmask_b32_e64 v3, v17, v39, s2
	s_waitcnt lgkmcnt(17)
	v_cndmask_b32_e64 v4, 0, v41, s0
	v_cndmask_b32_e64 v17, 0, v40, s0
	s_waitcnt lgkmcnt(11)
	v_cndmask_b32_e64 v14, 0, v14, s0
	;; [unrolled: 3-line block ×3, first 2 shown]
	v_cndmask_b32_e64 v4, v4, v43, s1
	v_cndmask_b32_e64 v17, v17, v42, s1
	;; [unrolled: 1-line block ×4, first 2 shown]
	s_waitcnt lgkmcnt(7)
	v_cndmask_b32_e64 v3, v3, v8, s3
	v_cndmask_b32_e64 v4, v4, v18, s2
	;; [unrolled: 1-line block ×3, first 2 shown]
	s_waitcnt lgkmcnt(6)
	v_cndmask_b32_e64 v7, v7, v2, s2
	s_waitcnt lgkmcnt(5)
	v_cndmask_b32_e64 v8, v5, v15, s2
	;; [unrolled: 2-line block ×7, first 2 shown]
	s_mov_b32 s17, 8
	s_mov_b32 s22, 32
	;; [unrolled: 1-line block ×3, first 2 shown]
	s_barrier
	s_branch .LBB380_4
.LBB380_3:                              ;   in Loop: Header=BB380_4 Depth=2
	s_barrier
	buffer_gl0_inv
	ds_store_b64 v35, v[14:15]
	ds_store_b64 v36, v[20:21]
	;; [unrolled: 1-line block ×4, first 2 shown]
	s_waitcnt lgkmcnt(0)
	s_barrier
	buffer_gl0_inv
	ds_load_2addr_b64 v[0:3], v34 offset1:32
	ds_load_2addr_b64 v[4:7], v34 offset0:64 offset1:96
	s_add_i32 s22, s22, -8
	s_add_i32 s17, s17, 8
	s_add_i32 s24, s24, 8
	s_waitcnt lgkmcnt(0)
	s_barrier
	s_cbranch_execz .LBB380_1
.LBB380_4:                              ;   Parent Loop BB380_2 Depth=1
                                        ; =>  This Inner Loop Header: Depth=2
	s_min_i32 s15, s17, 32
	s_cmp_lt_u32 s24, 32
	v_dual_mov_b32 v15, v1 :: v_dual_mov_b32 v14, v0
	s_cselect_b32 vcc_lo, -1, 0
	s_cmp_gt_u32 s24, 24
	buffer_gl0_inv
	s_cselect_b32 s14, -1, 0
	s_sub_i32 s15, s15, 32
	v_lshrrev_b32_e32 v1, s24, v15
	s_add_i32 s16, s15, s22
	ds_store_2addr_b64 v22, v[10:11], v[12:13] offset0:8 offset1:9
	ds_store_2addr_b64 v28, v[10:11], v[12:13] offset0:2 offset1:3
	s_lshl_b32 s16, -1, s16
	s_waitcnt lgkmcnt(0)
	s_not_b32 s16, s16
	s_cmp_lg_u32 s15, s24
	s_barrier
	s_cselect_b32 s25, s16, -1
	s_max_i32 s26, s22, 0
	s_max_i32 s15, s24, 32
	v_and_b32_e32 v1, s25, v1
	s_sub_i32 s16, s15, s26
	s_sub_i32 s27, s15, 32
	;; [unrolled: 1-line block ×3, first 2 shown]
	v_lshrrev_b32_e32 v0, s27, v14
	s_min_i32 s15, s16, 32
	buffer_gl0_inv
	s_sub_i32 s15, s15, s27
	s_delay_alu instid0(SALU_CYCLE_1) | instskip(NEXT) | instid1(SALU_CYCLE_1)
	s_lshl_b32 s16, -1, s15
	; wave barrier
	s_not_b32 s16, s16
	s_cmp_lg_u32 s15, 32
	v_cndmask_b32_e32 v1, 0, v1, vcc_lo
	s_cselect_b32 s28, s16, -1
	s_delay_alu instid0(SALU_CYCLE_1) | instskip(NEXT) | instid1(VALU_DEP_1)
	v_and_b32_e32 v0, s28, v0
	v_lshlrev_b32_e32 v0, s26, v0
	s_delay_alu instid0(VALU_DEP_1) | instskip(NEXT) | instid1(VALU_DEP_1)
	v_cndmask_b32_e64 v0, 0, v0, s14
	v_or_b32_e32 v1, v1, v0
	s_delay_alu instid0(VALU_DEP_1)
	v_and_b32_e32 v0, 1, v1
	v_lshlrev_b32_e32 v8, 30, v1
	v_lshlrev_b32_e32 v16, 29, v1
	;; [unrolled: 1-line block ×4, first 2 shown]
	v_add_co_u32 v0, s15, v0, -1
	s_delay_alu instid0(VALU_DEP_1)
	v_cndmask_b32_e64 v18, 0, 1, s15
	v_not_b32_e32 v35, v8
	v_cmp_gt_i32_e64 s16, 0, v8
	v_not_b32_e32 v8, v16
	v_lshlrev_b32_e32 v20, 26, v1
	v_cmp_ne_u32_e64 s15, 0, v18
	v_ashrrev_i32_e32 v35, 31, v35
	v_lshlrev_b32_e32 v21, 25, v1
	v_ashrrev_i32_e32 v8, 31, v8
	v_lshlrev_b32_e32 v18, 24, v1
	v_xor_b32_e32 v0, s15, v0
	v_cmp_gt_i32_e64 s15, 0, v16
	v_not_b32_e32 v16, v17
	v_xor_b32_e32 v35, s16, v35
	v_cmp_gt_i32_e64 s16, 0, v17
	v_and_b32_e32 v0, exec_lo, v0
	v_not_b32_e32 v17, v19
	v_ashrrev_i32_e32 v16, 31, v16
	v_xor_b32_e32 v8, s15, v8
	v_cmp_gt_i32_e64 s15, 0, v19
	v_and_b32_e32 v0, v0, v35
	v_not_b32_e32 v19, v20
	v_ashrrev_i32_e32 v17, 31, v17
	v_xor_b32_e32 v16, s16, v16
	v_cmp_gt_i32_e64 s16, 0, v20
	v_and_b32_e32 v0, v0, v8
	;; [unrolled: 5-line block ×4, first 2 shown]
	v_ashrrev_i32_e32 v16, 31, v16
	v_xor_b32_e32 v8, s15, v8
	v_lshl_add_u32 v1, v1, 4, v29
	s_delay_alu instid0(VALU_DEP_4) | instskip(NEXT) | instid1(VALU_DEP_4)
	v_dual_mov_b32 v21, v3 :: v_dual_and_b32 v0, v0, v19
	v_xor_b32_e32 v16, s16, v16
	v_dual_mov_b32 v19, v5 :: v_dual_mov_b32 v20, v2
	v_mov_b32_e32 v18, v4
	s_delay_alu instid0(VALU_DEP_4) | instskip(SKIP_1) | instid1(VALU_DEP_2)
	v_and_b32_e32 v0, v0, v8
	v_lshl_add_u32 v35, v1, 2, 64
	v_dual_mov_b32 v17, v7 :: v_dual_and_b32 v0, v0, v16
	v_mov_b32_e32 v16, v6
	s_delay_alu instid0(VALU_DEP_2) | instskip(SKIP_1) | instid1(VALU_DEP_2)
	v_mbcnt_lo_u32_b32 v8, v0, 0
	v_cmp_ne_u32_e64 s16, 0, v0
	v_cmp_eq_u32_e64 s15, 0, v8
	s_delay_alu instid0(VALU_DEP_1) | instskip(NEXT) | instid1(SALU_CYCLE_1)
	s_and_b32 s16, s15, s16
	s_and_saveexec_b32 s15, s16
	s_cbranch_execz .LBB380_6
; %bb.5:                                ;   in Loop: Header=BB380_4 Depth=2
	v_bcnt_u32_b32 v0, v0, 0
	ds_store_b32 v35, v0
.LBB380_6:                              ;   in Loop: Header=BB380_4 Depth=2
	s_or_b32 exec_lo, exec_lo, s15
	v_lshrrev_b32_e32 v0, s27, v20
	v_lshrrev_b32_e32 v1, s24, v21
	; wave barrier
	s_delay_alu instid0(VALU_DEP_1) | instskip(NEXT) | instid1(VALU_DEP_1)
	v_and_b32_e32 v1, s25, v1
	v_dual_cndmask_b32 v1, 0, v1 :: v_dual_and_b32 v0, s28, v0
	s_delay_alu instid0(VALU_DEP_1) | instskip(NEXT) | instid1(VALU_DEP_1)
	v_lshlrev_b32_e32 v0, s26, v0
	v_cndmask_b32_e64 v0, 0, v0, s14
	s_delay_alu instid0(VALU_DEP_1) | instskip(NEXT) | instid1(VALU_DEP_1)
	v_or_b32_e32 v0, v1, v0
	v_and_b32_e32 v1, 1, v0
	v_lshlrev_b32_e32 v2, 30, v0
	v_lshlrev_b32_e32 v3, 29, v0
	;; [unrolled: 1-line block ×4, first 2 shown]
	v_add_co_u32 v1, s15, v1, -1
	s_delay_alu instid0(VALU_DEP_1)
	v_cndmask_b32_e64 v5, 0, 1, s15
	v_not_b32_e32 v37, v2
	v_cmp_gt_i32_e64 s16, 0, v2
	v_not_b32_e32 v2, v3
	v_lshlrev_b32_e32 v7, 26, v0
	v_cmp_ne_u32_e64 s15, 0, v5
	v_ashrrev_i32_e32 v37, 31, v37
	v_lshlrev_b32_e32 v36, 25, v0
	v_ashrrev_i32_e32 v2, 31, v2
	v_lshlrev_b32_e32 v5, 24, v0
	v_xor_b32_e32 v1, s15, v1
	v_cmp_gt_i32_e64 s15, 0, v3
	v_not_b32_e32 v3, v4
	v_xor_b32_e32 v37, s16, v37
	v_cmp_gt_i32_e64 s16, 0, v4
	v_and_b32_e32 v1, exec_lo, v1
	v_not_b32_e32 v4, v6
	v_ashrrev_i32_e32 v3, 31, v3
	v_xor_b32_e32 v2, s15, v2
	v_cmp_gt_i32_e64 s15, 0, v6
	v_and_b32_e32 v1, v1, v37
	v_not_b32_e32 v6, v7
	v_ashrrev_i32_e32 v4, 31, v4
	v_xor_b32_e32 v3, s16, v3
	v_cmp_gt_i32_e64 s16, 0, v7
	v_and_b32_e32 v1, v1, v2
	;; [unrolled: 5-line block ×3, first 2 shown]
	v_not_b32_e32 v3, v5
	v_ashrrev_i32_e32 v2, 31, v2
	v_xor_b32_e32 v6, s16, v6
	v_lshlrev_b32_e32 v0, 4, v0
	v_and_b32_e32 v1, v1, v4
	v_cmp_gt_i32_e64 s16, 0, v5
	v_ashrrev_i32_e32 v3, 31, v3
	v_xor_b32_e32 v2, s15, v2
	v_add_lshl_u32 v4, v0, v29, 2
	v_and_b32_e32 v1, v1, v6
	s_delay_alu instid0(VALU_DEP_4) | instskip(SKIP_3) | instid1(VALU_DEP_2)
	v_xor_b32_e32 v0, s16, v3
	ds_load_b32 v36, v4 offset:64
	v_and_b32_e32 v1, v1, v2
	v_add_nc_u32_e32 v38, 64, v4
	; wave barrier
	v_and_b32_e32 v0, v1, v0
	s_delay_alu instid0(VALU_DEP_1) | instskip(SKIP_1) | instid1(VALU_DEP_2)
	v_mbcnt_lo_u32_b32 v37, v0, 0
	v_cmp_ne_u32_e64 s16, 0, v0
	v_cmp_eq_u32_e64 s15, 0, v37
	s_delay_alu instid0(VALU_DEP_1) | instskip(NEXT) | instid1(SALU_CYCLE_1)
	s_and_b32 s16, s15, s16
	s_and_saveexec_b32 s15, s16
	s_cbranch_execz .LBB380_8
; %bb.7:                                ;   in Loop: Header=BB380_4 Depth=2
	s_waitcnt lgkmcnt(0)
	v_bcnt_u32_b32 v0, v0, v36
	ds_store_b32 v38, v0
.LBB380_8:                              ;   in Loop: Header=BB380_4 Depth=2
	s_or_b32 exec_lo, exec_lo, s15
	v_lshrrev_b32_e32 v0, s27, v18
	v_lshrrev_b32_e32 v1, s24, v19
	; wave barrier
	s_delay_alu instid0(VALU_DEP_1) | instskip(NEXT) | instid1(VALU_DEP_1)
	v_and_b32_e32 v1, s25, v1
	v_dual_cndmask_b32 v1, 0, v1 :: v_dual_and_b32 v0, s28, v0
	s_delay_alu instid0(VALU_DEP_1) | instskip(NEXT) | instid1(VALU_DEP_1)
	v_lshlrev_b32_e32 v0, s26, v0
	v_cndmask_b32_e64 v0, 0, v0, s14
	s_delay_alu instid0(VALU_DEP_1) | instskip(NEXT) | instid1(VALU_DEP_1)
	v_or_b32_e32 v0, v1, v0
	v_and_b32_e32 v1, 1, v0
	v_lshlrev_b32_e32 v2, 30, v0
	v_lshlrev_b32_e32 v3, 29, v0
	v_lshlrev_b32_e32 v4, 28, v0
	v_lshlrev_b32_e32 v6, 27, v0
	v_add_co_u32 v1, s15, v1, -1
	s_delay_alu instid0(VALU_DEP_1)
	v_cndmask_b32_e64 v5, 0, 1, s15
	v_not_b32_e32 v40, v2
	v_cmp_gt_i32_e64 s16, 0, v2
	v_not_b32_e32 v2, v3
	v_lshlrev_b32_e32 v7, 26, v0
	v_cmp_ne_u32_e64 s15, 0, v5
	v_ashrrev_i32_e32 v40, 31, v40
	v_lshlrev_b32_e32 v39, 25, v0
	v_ashrrev_i32_e32 v2, 31, v2
	v_lshlrev_b32_e32 v5, 24, v0
	v_xor_b32_e32 v1, s15, v1
	v_cmp_gt_i32_e64 s15, 0, v3
	v_not_b32_e32 v3, v4
	v_xor_b32_e32 v40, s16, v40
	v_cmp_gt_i32_e64 s16, 0, v4
	v_and_b32_e32 v1, exec_lo, v1
	v_not_b32_e32 v4, v6
	v_ashrrev_i32_e32 v3, 31, v3
	v_xor_b32_e32 v2, s15, v2
	v_cmp_gt_i32_e64 s15, 0, v6
	v_and_b32_e32 v1, v1, v40
	v_not_b32_e32 v6, v7
	v_ashrrev_i32_e32 v4, 31, v4
	v_xor_b32_e32 v3, s16, v3
	v_cmp_gt_i32_e64 s16, 0, v7
	v_and_b32_e32 v1, v1, v2
	;; [unrolled: 5-line block ×3, first 2 shown]
	v_not_b32_e32 v3, v5
	v_ashrrev_i32_e32 v2, 31, v2
	v_xor_b32_e32 v6, s16, v6
	v_lshlrev_b32_e32 v0, 4, v0
	v_and_b32_e32 v1, v1, v4
	v_cmp_gt_i32_e64 s16, 0, v5
	v_ashrrev_i32_e32 v3, 31, v3
	v_xor_b32_e32 v2, s15, v2
	v_add_lshl_u32 v4, v0, v29, 2
	v_and_b32_e32 v1, v1, v6
	s_delay_alu instid0(VALU_DEP_4) | instskip(SKIP_3) | instid1(VALU_DEP_2)
	v_xor_b32_e32 v0, s16, v3
	ds_load_b32 v39, v4 offset:64
	v_and_b32_e32 v1, v1, v2
	v_add_nc_u32_e32 v41, 64, v4
	; wave barrier
	v_and_b32_e32 v0, v1, v0
	s_delay_alu instid0(VALU_DEP_1) | instskip(SKIP_1) | instid1(VALU_DEP_2)
	v_mbcnt_lo_u32_b32 v40, v0, 0
	v_cmp_ne_u32_e64 s16, 0, v0
	v_cmp_eq_u32_e64 s15, 0, v40
	s_delay_alu instid0(VALU_DEP_1) | instskip(NEXT) | instid1(SALU_CYCLE_1)
	s_and_b32 s16, s15, s16
	s_and_saveexec_b32 s15, s16
	s_cbranch_execz .LBB380_10
; %bb.9:                                ;   in Loop: Header=BB380_4 Depth=2
	s_waitcnt lgkmcnt(0)
	v_bcnt_u32_b32 v0, v0, v39
	ds_store_b32 v41, v0
.LBB380_10:                             ;   in Loop: Header=BB380_4 Depth=2
	s_or_b32 exec_lo, exec_lo, s15
	v_lshrrev_b32_e32 v0, s27, v16
	v_lshrrev_b32_e32 v1, s24, v17
	; wave barrier
	s_delay_alu instid0(VALU_DEP_1) | instskip(NEXT) | instid1(VALU_DEP_1)
	v_and_b32_e32 v1, s25, v1
	v_dual_cndmask_b32 v1, 0, v1 :: v_dual_and_b32 v0, s28, v0
	s_delay_alu instid0(VALU_DEP_1) | instskip(NEXT) | instid1(VALU_DEP_1)
	v_lshlrev_b32_e32 v0, s26, v0
	v_cndmask_b32_e64 v0, 0, v0, s14
	s_delay_alu instid0(VALU_DEP_1) | instskip(NEXT) | instid1(VALU_DEP_1)
	v_or_b32_e32 v0, v1, v0
	v_and_b32_e32 v1, 1, v0
	v_lshlrev_b32_e32 v2, 30, v0
	v_lshlrev_b32_e32 v3, 29, v0
	;; [unrolled: 1-line block ×4, first 2 shown]
	v_add_co_u32 v1, s14, v1, -1
	s_delay_alu instid0(VALU_DEP_1)
	v_cndmask_b32_e64 v5, 0, 1, s14
	v_not_b32_e32 v43, v2
	v_cmp_gt_i32_e64 s14, 0, v2
	v_not_b32_e32 v2, v3
	v_lshlrev_b32_e32 v7, 26, v0
	v_cmp_ne_u32_e32 vcc_lo, 0, v5
	v_ashrrev_i32_e32 v43, 31, v43
	v_lshlrev_b32_e32 v42, 25, v0
	v_ashrrev_i32_e32 v2, 31, v2
	v_lshlrev_b32_e32 v5, 24, v0
	v_xor_b32_e32 v1, vcc_lo, v1
	v_cmp_gt_i32_e32 vcc_lo, 0, v3
	v_not_b32_e32 v3, v4
	v_xor_b32_e32 v43, s14, v43
	v_cmp_gt_i32_e64 s14, 0, v4
	v_and_b32_e32 v1, exec_lo, v1
	v_not_b32_e32 v4, v6
	v_ashrrev_i32_e32 v3, 31, v3
	v_xor_b32_e32 v2, vcc_lo, v2
	v_cmp_gt_i32_e32 vcc_lo, 0, v6
	v_and_b32_e32 v1, v1, v43
	v_not_b32_e32 v6, v7
	v_ashrrev_i32_e32 v4, 31, v4
	v_xor_b32_e32 v3, s14, v3
	v_cmp_gt_i32_e64 s14, 0, v7
	v_and_b32_e32 v1, v1, v2
	v_not_b32_e32 v2, v42
	v_ashrrev_i32_e32 v6, 31, v6
	v_xor_b32_e32 v4, vcc_lo, v4
	v_cmp_gt_i32_e32 vcc_lo, 0, v42
	v_and_b32_e32 v1, v1, v3
	v_not_b32_e32 v3, v5
	v_ashrrev_i32_e32 v2, 31, v2
	v_xor_b32_e32 v6, s14, v6
	v_lshlrev_b32_e32 v0, 4, v0
	v_and_b32_e32 v1, v1, v4
	v_cmp_gt_i32_e64 s14, 0, v5
	v_ashrrev_i32_e32 v3, 31, v3
	v_xor_b32_e32 v2, vcc_lo, v2
	v_add_lshl_u32 v4, v0, v29, 2
	v_and_b32_e32 v1, v1, v6
	s_delay_alu instid0(VALU_DEP_4) | instskip(SKIP_3) | instid1(VALU_DEP_2)
	v_xor_b32_e32 v0, s14, v3
	ds_load_b32 v42, v4 offset:64
	v_and_b32_e32 v1, v1, v2
	v_add_nc_u32_e32 v44, 64, v4
	; wave barrier
	v_and_b32_e32 v0, v1, v0
	s_delay_alu instid0(VALU_DEP_1) | instskip(SKIP_1) | instid1(VALU_DEP_2)
	v_mbcnt_lo_u32_b32 v43, v0, 0
	v_cmp_ne_u32_e64 s14, 0, v0
	v_cmp_eq_u32_e32 vcc_lo, 0, v43
	s_delay_alu instid0(VALU_DEP_2) | instskip(NEXT) | instid1(SALU_CYCLE_1)
	s_and_b32 s15, vcc_lo, s14
	s_and_saveexec_b32 s14, s15
	s_cbranch_execz .LBB380_12
; %bb.11:                               ;   in Loop: Header=BB380_4 Depth=2
	s_waitcnt lgkmcnt(0)
	v_bcnt_u32_b32 v0, v0, v42
	ds_store_b32 v44, v0
.LBB380_12:                             ;   in Loop: Header=BB380_4 Depth=2
	s_or_b32 exec_lo, exec_lo, s14
	; wave barrier
	s_waitcnt lgkmcnt(0)
	s_barrier
	buffer_gl0_inv
	ds_load_2addr_b64 v[4:7], v22 offset0:8 offset1:9
	ds_load_2addr_b64 v[0:3], v28 offset0:2 offset1:3
	s_waitcnt lgkmcnt(1)
	v_add_nc_u32_e32 v45, v5, v4
	s_delay_alu instid0(VALU_DEP_1) | instskip(SKIP_1) | instid1(VALU_DEP_1)
	v_add3_u32 v45, v45, v6, v7
	s_waitcnt lgkmcnt(0)
	v_add3_u32 v45, v45, v0, v1
	s_delay_alu instid0(VALU_DEP_1) | instskip(NEXT) | instid1(VALU_DEP_1)
	v_add3_u32 v3, v45, v2, v3
	v_mov_b32_dpp v45, v3 row_shr:1 row_mask:0xf bank_mask:0xf
	s_delay_alu instid0(VALU_DEP_1) | instskip(NEXT) | instid1(VALU_DEP_1)
	v_cndmask_b32_e64 v45, v45, 0, s4
	v_add_nc_u32_e32 v3, v45, v3
	s_delay_alu instid0(VALU_DEP_1) | instskip(NEXT) | instid1(VALU_DEP_1)
	v_mov_b32_dpp v45, v3 row_shr:2 row_mask:0xf bank_mask:0xf
	v_cndmask_b32_e64 v45, 0, v45, s5
	s_delay_alu instid0(VALU_DEP_1) | instskip(NEXT) | instid1(VALU_DEP_1)
	v_add_nc_u32_e32 v3, v3, v45
	v_mov_b32_dpp v45, v3 row_shr:4 row_mask:0xf bank_mask:0xf
	s_delay_alu instid0(VALU_DEP_1) | instskip(NEXT) | instid1(VALU_DEP_1)
	v_cndmask_b32_e64 v45, 0, v45, s6
	v_add_nc_u32_e32 v3, v3, v45
	s_delay_alu instid0(VALU_DEP_1) | instskip(NEXT) | instid1(VALU_DEP_1)
	v_mov_b32_dpp v45, v3 row_shr:8 row_mask:0xf bank_mask:0xf
	v_cndmask_b32_e64 v45, 0, v45, s7
	s_delay_alu instid0(VALU_DEP_1) | instskip(SKIP_3) | instid1(VALU_DEP_1)
	v_add_nc_u32_e32 v3, v3, v45
	ds_swizzle_b32 v45, v3 offset:swizzle(BROADCAST,32,15)
	s_waitcnt lgkmcnt(0)
	v_cndmask_b32_e64 v45, v45, 0, s8
	v_add_nc_u32_e32 v3, v3, v45
	s_and_saveexec_b32 s14, s9
	s_cbranch_execz .LBB380_14
; %bb.13:                               ;   in Loop: Header=BB380_4 Depth=2
	ds_store_b32 v31, v3
.LBB380_14:                             ;   in Loop: Header=BB380_4 Depth=2
	s_or_b32 exec_lo, exec_lo, s14
	s_waitcnt lgkmcnt(0)
	s_barrier
	buffer_gl0_inv
	s_and_saveexec_b32 s14, s10
	s_cbranch_execz .LBB380_16
; %bb.15:                               ;   in Loop: Header=BB380_4 Depth=2
	ds_load_b32 v45, v32
	s_waitcnt lgkmcnt(0)
	v_mov_b32_dpp v46, v45 row_shr:1 row_mask:0xf bank_mask:0xf
	s_delay_alu instid0(VALU_DEP_1) | instskip(NEXT) | instid1(VALU_DEP_1)
	v_cndmask_b32_e64 v46, v46, 0, s4
	v_add_nc_u32_e32 v45, v46, v45
	s_delay_alu instid0(VALU_DEP_1) | instskip(NEXT) | instid1(VALU_DEP_1)
	v_mov_b32_dpp v46, v45 row_shr:2 row_mask:0xf bank_mask:0xf
	v_cndmask_b32_e64 v46, 0, v46, s5
	s_delay_alu instid0(VALU_DEP_1) | instskip(NEXT) | instid1(VALU_DEP_1)
	v_add_nc_u32_e32 v45, v45, v46
	v_mov_b32_dpp v46, v45 row_shr:4 row_mask:0xf bank_mask:0xf
	s_delay_alu instid0(VALU_DEP_1) | instskip(NEXT) | instid1(VALU_DEP_1)
	v_cndmask_b32_e64 v46, 0, v46, s6
	v_add_nc_u32_e32 v45, v45, v46
	s_delay_alu instid0(VALU_DEP_1) | instskip(NEXT) | instid1(VALU_DEP_1)
	v_mov_b32_dpp v46, v45 row_shr:8 row_mask:0xf bank_mask:0xf
	v_cndmask_b32_e64 v46, 0, v46, s7
	s_delay_alu instid0(VALU_DEP_1)
	v_add_nc_u32_e32 v45, v45, v46
	ds_store_b32 v32, v45
.LBB380_16:                             ;   in Loop: Header=BB380_4 Depth=2
	s_or_b32 exec_lo, exec_lo, s14
	v_mov_b32_e32 v45, 0
	s_waitcnt lgkmcnt(0)
	s_barrier
	buffer_gl0_inv
	s_and_saveexec_b32 s14, s11
	s_cbranch_execz .LBB380_18
; %bb.17:                               ;   in Loop: Header=BB380_4 Depth=2
	ds_load_b32 v45, v33
.LBB380_18:                             ;   in Loop: Header=BB380_4 Depth=2
	s_or_b32 exec_lo, exec_lo, s14
	s_waitcnt lgkmcnt(0)
	v_add_nc_u32_e32 v3, v45, v3
	s_cmp_gt_u32 s24, 55
	ds_bpermute_b32 v3, v30, v3
	s_waitcnt lgkmcnt(0)
	v_cndmask_b32_e64 v3, v3, v45, s12
	s_delay_alu instid0(VALU_DEP_1) | instskip(NEXT) | instid1(VALU_DEP_1)
	v_cndmask_b32_e64 v3, v3, 0, s13
	v_add_nc_u32_e32 v4, v3, v4
	s_delay_alu instid0(VALU_DEP_1) | instskip(NEXT) | instid1(VALU_DEP_1)
	v_add_nc_u32_e32 v5, v4, v5
	v_add_nc_u32_e32 v6, v5, v6
	s_delay_alu instid0(VALU_DEP_1) | instskip(SKIP_1) | instid1(VALU_DEP_2)
	v_add_nc_u32_e32 v45, v6, v7
	v_lshlrev_b32_e32 v7, 3, v40
	v_add_nc_u32_e32 v46, v45, v0
	s_delay_alu instid0(VALU_DEP_1) | instskip(NEXT) | instid1(VALU_DEP_1)
	v_add_nc_u32_e32 v0, v46, v1
	v_add_nc_u32_e32 v1, v0, v2
	ds_store_2addr_b64 v22, v[3:4], v[5:6] offset0:8 offset1:9
	ds_store_2addr_b64 v28, v[45:46], v[0:1] offset0:2 offset1:3
	s_waitcnt lgkmcnt(0)
	s_barrier
	buffer_gl0_inv
	ds_load_b32 v0, v38
	ds_load_b32 v1, v41
	;; [unrolled: 1-line block ×4, first 2 shown]
	v_lshlrev_b32_e32 v4, 3, v8
	v_lshlrev_b32_e32 v5, 3, v37
	;; [unrolled: 1-line block ×6, first 2 shown]
	s_waitcnt lgkmcnt(0)
	v_lshlrev_b32_e32 v0, 3, v0
	v_lshlrev_b32_e32 v1, 3, v1
	;; [unrolled: 1-line block ×3, first 2 shown]
	v_lshl_add_u32 v35, v3, 3, v4
	s_delay_alu instid0(VALU_DEP_4) | instskip(NEXT) | instid1(VALU_DEP_4)
	v_add3_u32 v36, v5, v6, v0
	v_add3_u32 v37, v7, v8, v1
	s_delay_alu instid0(VALU_DEP_4)
	v_add3_u32 v8, v38, v39, v2
	s_cbranch_scc0 .LBB380_3
; %bb.19:                               ;   in Loop: Header=BB380_2 Depth=1
                                        ; implicit-def: $sgpr24
                                        ; implicit-def: $vgpr0_vgpr1
                                        ; implicit-def: $vgpr4_vgpr5
                                        ; implicit-def: $sgpr22
                                        ; implicit-def: $sgpr17
	s_branch .LBB380_1
.LBB380_20:
	v_lshlrev_b32_e32 v0, 3, v9
	s_add_u32 s0, s18, s20
	s_addc_u32 s1, s19, s21
	s_delay_alu instid0(VALU_DEP_1) | instskip(NEXT) | instid1(VALU_DEP_1)
	v_add_co_u32 v11, s2, s0, v0
	v_add_co_ci_u32_e64 v12, null, s1, 0, s2
	s_delay_alu instid0(VALU_DEP_2) | instskip(NEXT) | instid1(VALU_DEP_2)
	v_add_co_u32 v9, vcc_lo, v11, 0x2000
	v_add_co_ci_u32_e32 v10, vcc_lo, 0, v12, vcc_lo
	v_add_co_u32 v11, vcc_lo, 0x3000, v11
	v_add_co_ci_u32_e32 v12, vcc_lo, 0, v12, vcc_lo
	s_clause 0x3
	global_store_b64 v0, v[5:6], s[0:1]
	global_store_b64 v[9:10], v[1:2], off
	global_store_b64 v[9:10], v[7:8], off offset:-4096
	global_store_b64 v[11:12], v[3:4], off
	s_nop 0
	s_sendmsg sendmsg(MSG_DEALLOC_VGPRS)
	s_endpgm
	.section	.rodata,"a",@progbits
	.p2align	6, 0x0
	.amdhsa_kernel _Z16sort_keys_kernelI22helper_blocked_stripedN15benchmark_utils11custom_typeIiiEELj512ELj4ELj10EEvPKT0_PS4_
		.amdhsa_group_segment_fixed_size 16448
		.amdhsa_private_segment_fixed_size 0
		.amdhsa_kernarg_size 272
		.amdhsa_user_sgpr_count 15
		.amdhsa_user_sgpr_dispatch_ptr 0
		.amdhsa_user_sgpr_queue_ptr 0
		.amdhsa_user_sgpr_kernarg_segment_ptr 1
		.amdhsa_user_sgpr_dispatch_id 0
		.amdhsa_user_sgpr_private_segment_size 0
		.amdhsa_wavefront_size32 1
		.amdhsa_uses_dynamic_stack 0
		.amdhsa_enable_private_segment 0
		.amdhsa_system_sgpr_workgroup_id_x 1
		.amdhsa_system_sgpr_workgroup_id_y 0
		.amdhsa_system_sgpr_workgroup_id_z 0
		.amdhsa_system_sgpr_workgroup_info 0
		.amdhsa_system_vgpr_workitem_id 2
		.amdhsa_next_free_vgpr 47
		.amdhsa_next_free_sgpr 29
		.amdhsa_reserve_vcc 1
		.amdhsa_float_round_mode_32 0
		.amdhsa_float_round_mode_16_64 0
		.amdhsa_float_denorm_mode_32 3
		.amdhsa_float_denorm_mode_16_64 3
		.amdhsa_dx10_clamp 1
		.amdhsa_ieee_mode 1
		.amdhsa_fp16_overflow 0
		.amdhsa_workgroup_processor_mode 1
		.amdhsa_memory_ordered 1
		.amdhsa_forward_progress 0
		.amdhsa_shared_vgpr_count 0
		.amdhsa_exception_fp_ieee_invalid_op 0
		.amdhsa_exception_fp_denorm_src 0
		.amdhsa_exception_fp_ieee_div_zero 0
		.amdhsa_exception_fp_ieee_overflow 0
		.amdhsa_exception_fp_ieee_underflow 0
		.amdhsa_exception_fp_ieee_inexact 0
		.amdhsa_exception_int_div_zero 0
	.end_amdhsa_kernel
	.section	.text._Z16sort_keys_kernelI22helper_blocked_stripedN15benchmark_utils11custom_typeIiiEELj512ELj4ELj10EEvPKT0_PS4_,"axG",@progbits,_Z16sort_keys_kernelI22helper_blocked_stripedN15benchmark_utils11custom_typeIiiEELj512ELj4ELj10EEvPKT0_PS4_,comdat
.Lfunc_end380:
	.size	_Z16sort_keys_kernelI22helper_blocked_stripedN15benchmark_utils11custom_typeIiiEELj512ELj4ELj10EEvPKT0_PS4_, .Lfunc_end380-_Z16sort_keys_kernelI22helper_blocked_stripedN15benchmark_utils11custom_typeIiiEELj512ELj4ELj10EEvPKT0_PS4_
                                        ; -- End function
	.section	.AMDGPU.csdata,"",@progbits
; Kernel info:
; codeLenInByte = 3780
; NumSgprs: 31
; NumVgprs: 47
; ScratchSize: 0
; MemoryBound: 0
; FloatMode: 240
; IeeeMode: 1
; LDSByteSize: 16448 bytes/workgroup (compile time only)
; SGPRBlocks: 3
; VGPRBlocks: 5
; NumSGPRsForWavesPerEU: 31
; NumVGPRsForWavesPerEU: 47
; Occupancy: 16
; WaveLimiterHint : 1
; COMPUTE_PGM_RSRC2:SCRATCH_EN: 0
; COMPUTE_PGM_RSRC2:USER_SGPR: 15
; COMPUTE_PGM_RSRC2:TRAP_HANDLER: 0
; COMPUTE_PGM_RSRC2:TGID_X_EN: 1
; COMPUTE_PGM_RSRC2:TGID_Y_EN: 0
; COMPUTE_PGM_RSRC2:TGID_Z_EN: 0
; COMPUTE_PGM_RSRC2:TIDIG_COMP_CNT: 2
	.section	.text._Z17sort_pairs_kernelI22helper_blocked_stripedN15benchmark_utils11custom_typeIiiEELj512ELj4ELj10EEvPKT0_PS4_,"axG",@progbits,_Z17sort_pairs_kernelI22helper_blocked_stripedN15benchmark_utils11custom_typeIiiEELj512ELj4ELj10EEvPKT0_PS4_,comdat
	.protected	_Z17sort_pairs_kernelI22helper_blocked_stripedN15benchmark_utils11custom_typeIiiEELj512ELj4ELj10EEvPKT0_PS4_ ; -- Begin function _Z17sort_pairs_kernelI22helper_blocked_stripedN15benchmark_utils11custom_typeIiiEELj512ELj4ELj10EEvPKT0_PS4_
	.globl	_Z17sort_pairs_kernelI22helper_blocked_stripedN15benchmark_utils11custom_typeIiiEELj512ELj4ELj10EEvPKT0_PS4_
	.p2align	8
	.type	_Z17sort_pairs_kernelI22helper_blocked_stripedN15benchmark_utils11custom_typeIiiEELj512ELj4ELj10EEvPKT0_PS4_,@function
_Z17sort_pairs_kernelI22helper_blocked_stripedN15benchmark_utils11custom_typeIiiEELj512ELj4ELj10EEvPKT0_PS4_: ; @_Z17sort_pairs_kernelI22helper_blocked_stripedN15benchmark_utils11custom_typeIiiEELj512ELj4ELj10EEvPKT0_PS4_
; %bb.0:
	s_clause 0x1
	s_load_b128 s[16:19], s[0:1], 0x0
	s_load_b32 s13, s[0:1], 0x1c
	v_mbcnt_lo_u32_b32 v7, -1, 0
	s_mov_b32 s23, 0
	s_lshl_b32 s22, s15, 11
	v_bfe_u32 v6, v0, 10, 10
	s_lshl_b64 s[20:21], s[22:23], 3
	v_add_nc_u32_e32 v10, -1, v7
	v_and_b32_e32 v9, 16, v7
	v_and_b32_e32 v5, 3, v7
	;; [unrolled: 1-line block ×4, first 2 shown]
	v_cmp_gt_i32_e32 vcc_lo, 0, v10
	v_and_b32_e32 v22, 0x3ff, v0
	v_cmp_eq_u32_e64 s9, 0, v9
	v_bfe_u32 v0, v0, 20, 10
	v_cmp_eq_u32_e64 s2, 1, v5
	v_cndmask_b32_e32 v9, v10, v7, vcc_lo
	v_lshlrev_b32_e32 v33, 5, v22
	v_lshlrev_b32_e32 v35, 2, v22
	s_waitcnt lgkmcnt(0)
	s_add_u32 s0, s16, s20
	s_addc_u32 s1, s17, s21
	s_lshr_b32 s14, s13, 16
	s_clause 0x1
	global_load_b128 v[18:21], v33, s[0:1]
	global_load_b128 v[1:4], v33, s[0:1] offset:16
	v_mad_u32_u24 v0, v0, s14, v6
	v_lshrrev_b32_e32 v10, 3, v22
	s_and_b32 s13, s13, 0xffff
	v_cmp_eq_u32_e64 s1, 0, v5
	v_cmp_eq_u32_e64 s3, 2, v5
	;; [unrolled: 1-line block ×3, first 2 shown]
	v_mad_u64_u32 v[5:6], null, v0, s13, v[22:23]
	v_cmp_eq_u32_e64 s5, 0, v8
	v_cmp_lt_u32_e64 s6, 1, v8
	v_cmp_lt_u32_e64 s7, 3, v8
	;; [unrolled: 1-line block ×3, first 2 shown]
	v_or_b32_e32 v8, 31, v22
	v_and_b32_e32 v40, 60, v10
	v_and_or_b32 v0, 0x780, v35, v7
	v_cmp_eq_u32_e64 s0, 0, v7
	v_or_b32_e32 v36, 32, v34
	v_or_b32_e32 v37, 64, v34
	;; [unrolled: 1-line block ×3, first 2 shown]
	v_cmp_gt_u32_e64 s10, 16, v22
	v_cmp_lt_u32_e64 s11, 31, v22
	v_cmp_eq_u32_e64 s12, 0, v22
	v_add_nc_u32_e32 v39, 64, v33
	v_cmp_eq_u32_e64 s13, v8, v22
	v_lshlrev_b32_e32 v41, 2, v9
	v_mad_i32_i24 v42, 0xffffffe4, v22, v33
	v_add_nc_u32_e32 v43, -4, v40
	v_lshlrev_b32_e32 v44, 3, v0
	v_lshrrev_b32_e32 v45, 5, v5
	s_mov_b32 s22, s23
	s_mov_b32 s24, s23
	;; [unrolled: 1-line block ×4, first 2 shown]
	s_waitcnt vmcnt(1)
	v_add_nc_u32_e32 v15, 1, v19
	v_add_nc_u32_e32 v14, 1, v18
	;; [unrolled: 1-line block ×4, first 2 shown]
	s_waitcnt vmcnt(0)
	v_add_nc_u32_e32 v9, 1, v2
	v_add_nc_u32_e32 v8, 1, v1
	;; [unrolled: 1-line block ×4, first 2 shown]
	s_branch .LBB381_2
.LBB381_1:                              ;   in Loop: Header=BB381_2 Depth=1
	v_add_nc_u32_e32 v8, v42, v35
	s_barrier
	buffer_gl0_inv
	ds_store_b64 v46, v[16:17]
	ds_store_b64 v47, v[29:30]
	;; [unrolled: 1-line block ×4, first 2 shown]
	s_waitcnt lgkmcnt(0)
	s_barrier
	buffer_gl0_inv
	ds_load_2addr_stride64_b64 v[0:3], v8 offset1:8
	ds_load_2addr_stride64_b64 v[4:7], v8 offset0:16 offset1:24
	s_waitcnt lgkmcnt(0)
	s_barrier
	buffer_gl0_inv
	ds_store_b64 v46, v[20:21]
	ds_store_b64 v47, v[18:19]
	;; [unrolled: 1-line block ×4, first 2 shown]
	s_waitcnt lgkmcnt(0)
	s_barrier
	buffer_gl0_inv
	ds_load_2addr_stride64_b64 v[14:17], v8 offset1:8
	ds_load_2addr_stride64_b64 v[8:11], v8 offset0:16 offset1:24
	s_add_i32 s17, s17, 1
	s_delay_alu instid0(SALU_CYCLE_1)
	s_cmp_lg_u32 s17, 10
	v_xor_b32_e32 v18, 0x80000000, v0
	v_xor_b32_e32 v19, 0x80000000, v1
	;; [unrolled: 1-line block ×8, first 2 shown]
	s_cbranch_scc0 .LBB381_20
.LBB381_2:                              ; =>This Loop Header: Depth=1
                                        ;     Child Loop BB381_4 Depth 2
	v_xor_b32_e32 v0, 0x80000000, v19
	v_xor_b32_e32 v5, 0x80000000, v18
	;; [unrolled: 1-line block ×5, first 2 shown]
	ds_bpermute_b32 v1, v34, v0
	v_xor_b32_e32 v13, 0x80000000, v2
	ds_bpermute_b32 v2, v34, v5
	v_xor_b32_e32 v18, 0x80000000, v3
	ds_bpermute_b32 v3, v34, v7
	ds_bpermute_b32 v19, v34, v6
	;; [unrolled: 1-line block ×6, first 2 shown]
	v_xor_b32_e32 v4, 0x80000000, v4
	ds_bpermute_b32 v20, v34, v12
	ds_bpermute_b32 v23, v34, v13
	ds_bpermute_b32 v29, v36, v12
	ds_bpermute_b32 v24, v34, v18
	ds_bpermute_b32 v26, v34, v4
	ds_bpermute_b32 v30, v36, v13
	ds_bpermute_b32 v46, v36, v18
	ds_bpermute_b32 v31, v37, v0
	ds_bpermute_b32 v32, v37, v5
	s_waitcnt lgkmcnt(16)
	v_cndmask_b32_e64 v1, 0, v1, s1
	ds_bpermute_b32 v47, v36, v4
	s_waitcnt lgkmcnt(16)
	v_cndmask_b32_e64 v2, 0, v2, s1
	ds_bpermute_b32 v48, v37, v7
	ds_bpermute_b32 v49, v37, v6
	s_waitcnt lgkmcnt(17)
	v_cndmask_b32_e64 v1, v1, v3, s2
	s_waitcnt lgkmcnt(15)
	v_cndmask_b32_e64 v3, 0, v21, s1
	v_cndmask_b32_e64 v2, v2, v19, s2
	s_waitcnt lgkmcnt(14)
	v_cndmask_b32_e64 v19, 0, v25, s1
	ds_bpermute_b32 v21, v38, v0
	ds_bpermute_b32 v50, v37, v12
	s_waitcnt lgkmcnt(15)
	v_cndmask_b32_e64 v0, v3, v27, s2
	ds_bpermute_b32 v51, v37, v13
	s_waitcnt lgkmcnt(15)
	v_cndmask_b32_e64 v3, v19, v28, s2
	s_waitcnt lgkmcnt(13)
	v_cndmask_b32_e64 v1, v1, v23, s3
	v_cndmask_b32_e64 v2, v2, v20, s3
	ds_bpermute_b32 v5, v38, v5
	s_waitcnt lgkmcnt(10)
	v_cndmask_b32_e64 v23, v0, v30, s3
	v_cndmask_b32_e64 v25, v3, v29, s3
	;; [unrolled: 1-line block ×4, first 2 shown]
	ds_bpermute_b32 v7, v38, v7
	ds_bpermute_b32 v26, v34, v14
	s_waitcnt lgkmcnt(11)
	v_cndmask_b32_e64 v2, v25, v46, s4
	ds_bpermute_b32 v25, v34, v15
	s_waitcnt lgkmcnt(11)
	v_cndmask_b32_e64 v19, 0, v31, s1
	s_waitcnt lgkmcnt(10)
	v_cndmask_b32_e64 v20, 0, v32, s1
	ds_bpermute_b32 v24, v37, v4
	ds_bpermute_b32 v6, v38, v6
	;; [unrolled: 1-line block ×4, first 2 shown]
	s_waitcnt lgkmcnt(12)
	v_cndmask_b32_e64 v19, v19, v48, s2
	s_waitcnt lgkmcnt(11)
	v_cndmask_b32_e64 v20, v20, v49, s2
	v_cndmask_b32_e64 v3, v23, v47, s4
	ds_bpermute_b32 v23, v37, v18
	ds_bpermute_b32 v13, v38, v13
	;; [unrolled: 1-line block ×7, first 2 shown]
	s_waitcnt lgkmcnt(15)
	v_cndmask_b32_e64 v19, v19, v51, s3
	v_cndmask_b32_e64 v20, v20, v50, s3
	v_cndmask_b32_e64 v21, 0, v21, s1
	ds_bpermute_b32 v30, v38, v4
	ds_bpermute_b32 v18, v38, v18
	;; [unrolled: 1-line block ×6, first 2 shown]
	s_waitcnt lgkmcnt(20)
	v_cndmask_b32_e64 v29, 0, v5, s1
	s_waitcnt lgkmcnt(19)
	v_cndmask_b32_e64 v4, v21, v7, s2
	;; [unrolled: 2-line block ×3, first 2 shown]
	v_cndmask_b32_e64 v21, 0, v26, s1
	s_waitcnt lgkmcnt(16)
	v_cndmask_b32_e64 v5, v19, v24, s4
	s_waitcnt lgkmcnt(15)
	;; [unrolled: 2-line block ×3, first 2 shown]
	v_cndmask_b32_e64 v13, v4, v13, s3
	v_cndmask_b32_e64 v19, v7, v27, s2
	;; [unrolled: 1-line block ×4, first 2 shown]
	s_waitcnt lgkmcnt(10)
	v_cndmask_b32_e64 v6, v6, v12, s3
	s_waitcnt lgkmcnt(7)
	v_cndmask_b32_e64 v20, 0, v46, s1
	v_cndmask_b32_e64 v12, v19, v31, s3
	;; [unrolled: 1-line block ×3, first 2 shown]
	s_waitcnt lgkmcnt(6)
	v_cndmask_b32_e64 v21, 0, v47, s1
	s_waitcnt lgkmcnt(5)
	v_cndmask_b32_e64 v7, v13, v30, s4
	;; [unrolled: 2-line block ×7, first 2 shown]
	ds_bpermute_b32 v20, v36, v9
	ds_bpermute_b32 v21, v37, v15
	;; [unrolled: 1-line block ×20, first 2 shown]
	s_waitcnt lgkmcnt(19)
	v_cndmask_b32_e64 v18, v18, v20, s3
	s_waitcnt lgkmcnt(18)
	v_cndmask_b32_e64 v20, 0, v21, s1
	;; [unrolled: 2-line block ×5, first 2 shown]
	s_mov_b32 s26, 8
	s_waitcnt lgkmcnt(14)
	v_cndmask_b32_e64 v20, v20, v25, s2
	s_waitcnt lgkmcnt(13)
	v_cndmask_b32_e64 v21, v21, v26, s2
	;; [unrolled: 2-line block ×15, first 2 shown]
	s_mov_b32 s27, 32
	s_mov_b32 s28, 0
	s_barrier
	s_branch .LBB381_4
.LBB381_3:                              ;   in Loop: Header=BB381_4 Depth=2
	s_barrier
	buffer_gl0_inv
	ds_store_b64 v46, v[16:17]
	ds_store_b64 v47, v[29:30]
	;; [unrolled: 1-line block ×4, first 2 shown]
	s_waitcnt lgkmcnt(0)
	s_barrier
	buffer_gl0_inv
	ds_load_2addr_b64 v[0:3], v44 offset1:32
	ds_load_2addr_b64 v[4:7], v44 offset0:64 offset1:96
	s_waitcnt lgkmcnt(0)
	s_barrier
	buffer_gl0_inv
	ds_store_b64 v46, v[20:21]
	ds_store_b64 v47, v[18:19]
	;; [unrolled: 1-line block ×4, first 2 shown]
	s_waitcnt lgkmcnt(0)
	s_barrier
	buffer_gl0_inv
	ds_load_2addr_b64 v[12:15], v44 offset1:32
	ds_load_2addr_b64 v[8:11], v44 offset0:64 offset1:96
	s_add_i32 s27, s27, -8
	s_add_i32 s26, s26, 8
	s_add_i32 s28, s28, 8
	s_waitcnt lgkmcnt(0)
	s_barrier
	s_cbranch_execz .LBB381_1
.LBB381_4:                              ;   Parent Loop BB381_2 Depth=1
                                        ; =>  This Inner Loop Header: Depth=2
	s_min_i32 s15, s26, 32
	s_cmp_lt_u32 s28, 32
	v_dual_mov_b32 v17, v1 :: v_dual_mov_b32 v16, v0
	s_cselect_b32 vcc_lo, -1, 0
	s_cmp_gt_u32 s28, 24
	v_mov_b32_e32 v28, v7
	s_cselect_b32 s14, -1, 0
	s_sub_i32 s15, s15, 32
	v_lshrrev_b32_e32 v1, s28, v17
	s_add_i32 s16, s15, s27
	v_mov_b32_e32 v32, v5
	s_lshl_b32 s16, -1, s16
	buffer_gl0_inv
	s_not_b32 s16, s16
	s_cmp_lg_u32 s15, s28
	v_mov_b32_e32 v30, v3
	s_cselect_b32 s29, s16, -1
	s_max_i32 s30, s27, 0
	s_max_i32 s15, s28, 32
	v_and_b32_e32 v1, s29, v1
	s_sub_i32 s16, s15, s30
	s_sub_i32 s31, s15, 32
	;; [unrolled: 1-line block ×3, first 2 shown]
	v_lshrrev_b32_e32 v0, s31, v16
	s_min_i32 s15, s16, 32
	v_cndmask_b32_e32 v1, 0, v1, vcc_lo
	s_sub_i32 s15, s15, s31
	v_mov_b32_e32 v29, v2
	s_lshl_b32 s16, -1, s15
	v_mov_b32_e32 v27, v6
	s_not_b32 s16, s16
	s_cmp_lg_u32 s15, 32
	v_mov_b32_e32 v31, v4
	s_cselect_b32 s33, s16, -1
	s_delay_alu instid0(SALU_CYCLE_1) | instskip(NEXT) | instid1(VALU_DEP_1)
	v_and_b32_e32 v0, s33, v0
	v_lshlrev_b32_e32 v0, s30, v0
	s_delay_alu instid0(VALU_DEP_1) | instskip(NEXT) | instid1(VALU_DEP_1)
	v_cndmask_b32_e64 v0, 0, v0, s14
	v_or_b32_e32 v46, v1, v0
	s_delay_alu instid0(VALU_DEP_1)
	v_and_b32_e32 v0, 1, v46
	v_lshlrev_b32_e32 v1, 30, v46
	v_lshlrev_b32_e32 v18, 29, v46
	;; [unrolled: 1-line block ×4, first 2 shown]
	v_add_co_u32 v0, s15, v0, -1
	s_delay_alu instid0(VALU_DEP_1)
	v_cndmask_b32_e64 v20, 0, 1, s15
	v_not_b32_e32 v25, v1
	v_cmp_gt_i32_e64 s16, 0, v1
	v_lshlrev_b32_e32 v23, 26, v46
	v_lshlrev_b32_e32 v24, 25, v46
	v_cmp_ne_u32_e64 s15, 0, v20
	v_ashrrev_i32_e32 v25, 31, v25
	v_lshlrev_b32_e32 v20, 24, v46
	s_delay_alu instid0(VALU_DEP_3) | instskip(NEXT) | instid1(VALU_DEP_3)
	v_xor_b32_e32 v0, s15, v0
	v_xor_b32_e32 v25, s16, v25
	s_delay_alu instid0(VALU_DEP_2) | instskip(NEXT) | instid1(VALU_DEP_1)
	v_and_b32_e32 v0, exec_lo, v0
	v_and_b32_e32 v0, v0, v25
	v_dual_mov_b32 v26, v9 :: v_dual_mov_b32 v25, v8
	v_not_b32_e32 v1, v18
	v_cmp_gt_i32_e64 s15, 0, v18
	v_not_b32_e32 v18, v19
	v_cmp_gt_i32_e64 s16, 0, v19
	v_not_b32_e32 v19, v21
	v_ashrrev_i32_e32 v1, 31, v1
	s_delay_alu instid0(VALU_DEP_4) | instskip(NEXT) | instid1(VALU_DEP_3)
	v_ashrrev_i32_e32 v18, 31, v18
	v_ashrrev_i32_e32 v19, 31, v19
	s_delay_alu instid0(VALU_DEP_3)
	v_xor_b32_e32 v1, s15, v1
	v_cmp_gt_i32_e64 s15, 0, v21
	v_not_b32_e32 v21, v23
	v_xor_b32_e32 v18, s16, v18
	v_cmp_gt_i32_e64 s16, 0, v23
	v_and_b32_e32 v0, v0, v1
	v_not_b32_e32 v1, v24
	v_ashrrev_i32_e32 v21, 31, v21
	v_xor_b32_e32 v19, s15, v19
	v_cmp_gt_i32_e64 s15, 0, v24
	v_and_b32_e32 v0, v0, v18
	v_not_b32_e32 v18, v20
	v_ashrrev_i32_e32 v1, 31, v1
	v_xor_b32_e32 v21, s16, v21
	v_cmp_gt_i32_e64 s16, 0, v20
	v_and_b32_e32 v0, v0, v19
	v_ashrrev_i32_e32 v23, 31, v18
	v_xor_b32_e32 v1, s15, v1
	v_dual_mov_b32 v19, v15 :: v_dual_mov_b32 v18, v14
	s_delay_alu instid0(VALU_DEP_4) | instskip(SKIP_3) | instid1(VALU_DEP_4)
	v_dual_mov_b32 v21, v13 :: v_dual_and_b32 v0, v0, v21
	v_mov_b32_e32 v20, v12
	v_xor_b32_e32 v12, s16, v23
	v_mov_b32_e32 v24, v11
	v_dual_mov_b32 v23, v10 :: v_dual_and_b32 v0, v0, v1
	v_mov_b32_e32 v1, s22
	v_dual_mov_b32 v9, s24 :: v_dual_mov_b32 v2, s23
	s_delay_alu instid0(VALU_DEP_3)
	v_and_b32_e32 v0, v0, v12
	v_mov_b32_e32 v10, s25
	ds_store_2addr_b64 v33, v[1:2], v[9:10] offset0:8 offset1:9
	ds_store_2addr_b64 v39, v[1:2], v[9:10] offset0:2 offset1:3
	v_mbcnt_lo_u32_b32 v8, v0, 0
	v_lshl_add_u32 v1, v46, 4, v45
	v_cmp_ne_u32_e64 s16, 0, v0
	s_waitcnt lgkmcnt(0)
	s_barrier
	v_cmp_eq_u32_e64 s15, 0, v8
	v_lshl_add_u32 v9, v1, 2, 64
	buffer_gl0_inv
	; wave barrier
	s_and_b32 s16, s15, s16
	s_delay_alu instid0(SALU_CYCLE_1)
	s_and_saveexec_b32 s15, s16
	s_cbranch_execz .LBB381_6
; %bb.5:                                ;   in Loop: Header=BB381_4 Depth=2
	v_bcnt_u32_b32 v0, v0, 0
	ds_store_b32 v9, v0
.LBB381_6:                              ;   in Loop: Header=BB381_4 Depth=2
	s_or_b32 exec_lo, exec_lo, s15
	v_lshrrev_b32_e32 v0, s31, v29
	v_lshrrev_b32_e32 v1, s28, v30
	; wave barrier
	s_delay_alu instid0(VALU_DEP_1) | instskip(NEXT) | instid1(VALU_DEP_1)
	v_and_b32_e32 v1, s29, v1
	v_dual_cndmask_b32 v1, 0, v1 :: v_dual_and_b32 v0, s33, v0
	s_delay_alu instid0(VALU_DEP_1) | instskip(NEXT) | instid1(VALU_DEP_1)
	v_lshlrev_b32_e32 v0, s30, v0
	v_cndmask_b32_e64 v0, 0, v0, s14
	s_delay_alu instid0(VALU_DEP_1) | instskip(NEXT) | instid1(VALU_DEP_1)
	v_or_b32_e32 v0, v1, v0
	v_and_b32_e32 v1, 1, v0
	v_lshlrev_b32_e32 v2, 30, v0
	v_lshlrev_b32_e32 v3, 29, v0
	;; [unrolled: 1-line block ×4, first 2 shown]
	v_add_co_u32 v1, s15, v1, -1
	s_delay_alu instid0(VALU_DEP_1)
	v_cndmask_b32_e64 v5, 0, 1, s15
	v_not_b32_e32 v11, v2
	v_cmp_gt_i32_e64 s16, 0, v2
	v_not_b32_e32 v2, v3
	v_lshlrev_b32_e32 v7, 26, v0
	v_cmp_ne_u32_e64 s15, 0, v5
	v_ashrrev_i32_e32 v11, 31, v11
	v_lshlrev_b32_e32 v10, 25, v0
	v_ashrrev_i32_e32 v2, 31, v2
	v_lshlrev_b32_e32 v5, 24, v0
	v_xor_b32_e32 v1, s15, v1
	v_cmp_gt_i32_e64 s15, 0, v3
	v_not_b32_e32 v3, v4
	v_xor_b32_e32 v11, s16, v11
	v_cmp_gt_i32_e64 s16, 0, v4
	v_and_b32_e32 v1, exec_lo, v1
	v_not_b32_e32 v4, v6
	v_ashrrev_i32_e32 v3, 31, v3
	v_xor_b32_e32 v2, s15, v2
	v_cmp_gt_i32_e64 s15, 0, v6
	v_and_b32_e32 v1, v1, v11
	v_not_b32_e32 v6, v7
	v_ashrrev_i32_e32 v4, 31, v4
	v_xor_b32_e32 v3, s16, v3
	v_cmp_gt_i32_e64 s16, 0, v7
	v_and_b32_e32 v1, v1, v2
	;; [unrolled: 5-line block ×3, first 2 shown]
	v_not_b32_e32 v3, v5
	v_ashrrev_i32_e32 v2, 31, v2
	v_xor_b32_e32 v6, s16, v6
	v_lshlrev_b32_e32 v0, 4, v0
	v_and_b32_e32 v1, v1, v4
	v_cmp_gt_i32_e64 s16, 0, v5
	v_ashrrev_i32_e32 v3, 31, v3
	v_xor_b32_e32 v2, s15, v2
	v_add_lshl_u32 v4, v0, v45, 2
	v_and_b32_e32 v1, v1, v6
	s_delay_alu instid0(VALU_DEP_4) | instskip(SKIP_3) | instid1(VALU_DEP_2)
	v_xor_b32_e32 v0, s16, v3
	ds_load_b32 v10, v4 offset:64
	v_and_b32_e32 v1, v1, v2
	v_add_nc_u32_e32 v12, 64, v4
	; wave barrier
	v_and_b32_e32 v0, v1, v0
	s_delay_alu instid0(VALU_DEP_1) | instskip(SKIP_1) | instid1(VALU_DEP_2)
	v_mbcnt_lo_u32_b32 v11, v0, 0
	v_cmp_ne_u32_e64 s16, 0, v0
	v_cmp_eq_u32_e64 s15, 0, v11
	s_delay_alu instid0(VALU_DEP_1) | instskip(NEXT) | instid1(SALU_CYCLE_1)
	s_and_b32 s16, s15, s16
	s_and_saveexec_b32 s15, s16
	s_cbranch_execz .LBB381_8
; %bb.7:                                ;   in Loop: Header=BB381_4 Depth=2
	s_waitcnt lgkmcnt(0)
	v_bcnt_u32_b32 v0, v0, v10
	ds_store_b32 v12, v0
.LBB381_8:                              ;   in Loop: Header=BB381_4 Depth=2
	s_or_b32 exec_lo, exec_lo, s15
	v_lshrrev_b32_e32 v0, s31, v31
	v_lshrrev_b32_e32 v1, s28, v32
	; wave barrier
	s_delay_alu instid0(VALU_DEP_1) | instskip(NEXT) | instid1(VALU_DEP_1)
	v_and_b32_e32 v1, s29, v1
	v_dual_cndmask_b32 v1, 0, v1 :: v_dual_and_b32 v0, s33, v0
	s_delay_alu instid0(VALU_DEP_1) | instskip(NEXT) | instid1(VALU_DEP_1)
	v_lshlrev_b32_e32 v0, s30, v0
	v_cndmask_b32_e64 v0, 0, v0, s14
	s_delay_alu instid0(VALU_DEP_1) | instskip(NEXT) | instid1(VALU_DEP_1)
	v_or_b32_e32 v0, v1, v0
	v_and_b32_e32 v1, 1, v0
	v_lshlrev_b32_e32 v2, 30, v0
	v_lshlrev_b32_e32 v3, 29, v0
	;; [unrolled: 1-line block ×4, first 2 shown]
	v_add_co_u32 v1, s15, v1, -1
	s_delay_alu instid0(VALU_DEP_1)
	v_cndmask_b32_e64 v5, 0, 1, s15
	v_not_b32_e32 v14, v2
	v_cmp_gt_i32_e64 s16, 0, v2
	v_not_b32_e32 v2, v3
	v_lshlrev_b32_e32 v7, 26, v0
	v_cmp_ne_u32_e64 s15, 0, v5
	v_ashrrev_i32_e32 v14, 31, v14
	v_lshlrev_b32_e32 v13, 25, v0
	v_ashrrev_i32_e32 v2, 31, v2
	v_lshlrev_b32_e32 v5, 24, v0
	v_xor_b32_e32 v1, s15, v1
	v_cmp_gt_i32_e64 s15, 0, v3
	v_not_b32_e32 v3, v4
	v_xor_b32_e32 v14, s16, v14
	v_cmp_gt_i32_e64 s16, 0, v4
	v_and_b32_e32 v1, exec_lo, v1
	v_not_b32_e32 v4, v6
	v_ashrrev_i32_e32 v3, 31, v3
	v_xor_b32_e32 v2, s15, v2
	v_cmp_gt_i32_e64 s15, 0, v6
	v_and_b32_e32 v1, v1, v14
	v_not_b32_e32 v6, v7
	v_ashrrev_i32_e32 v4, 31, v4
	v_xor_b32_e32 v3, s16, v3
	v_cmp_gt_i32_e64 s16, 0, v7
	v_and_b32_e32 v1, v1, v2
	;; [unrolled: 5-line block ×3, first 2 shown]
	v_not_b32_e32 v3, v5
	v_ashrrev_i32_e32 v2, 31, v2
	v_xor_b32_e32 v6, s16, v6
	v_lshlrev_b32_e32 v0, 4, v0
	v_and_b32_e32 v1, v1, v4
	v_cmp_gt_i32_e64 s16, 0, v5
	v_ashrrev_i32_e32 v3, 31, v3
	v_xor_b32_e32 v2, s15, v2
	v_add_lshl_u32 v4, v0, v45, 2
	v_and_b32_e32 v1, v1, v6
	s_delay_alu instid0(VALU_DEP_4) | instskip(SKIP_3) | instid1(VALU_DEP_2)
	v_xor_b32_e32 v0, s16, v3
	ds_load_b32 v13, v4 offset:64
	v_and_b32_e32 v1, v1, v2
	v_add_nc_u32_e32 v15, 64, v4
	; wave barrier
	v_and_b32_e32 v0, v1, v0
	s_delay_alu instid0(VALU_DEP_1) | instskip(SKIP_1) | instid1(VALU_DEP_2)
	v_mbcnt_lo_u32_b32 v14, v0, 0
	v_cmp_ne_u32_e64 s16, 0, v0
	v_cmp_eq_u32_e64 s15, 0, v14
	s_delay_alu instid0(VALU_DEP_1) | instskip(NEXT) | instid1(SALU_CYCLE_1)
	s_and_b32 s16, s15, s16
	s_and_saveexec_b32 s15, s16
	s_cbranch_execz .LBB381_10
; %bb.9:                                ;   in Loop: Header=BB381_4 Depth=2
	s_waitcnt lgkmcnt(0)
	v_bcnt_u32_b32 v0, v0, v13
	ds_store_b32 v15, v0
.LBB381_10:                             ;   in Loop: Header=BB381_4 Depth=2
	s_or_b32 exec_lo, exec_lo, s15
	v_lshrrev_b32_e32 v0, s31, v27
	v_lshrrev_b32_e32 v1, s28, v28
	; wave barrier
	s_delay_alu instid0(VALU_DEP_1) | instskip(NEXT) | instid1(VALU_DEP_1)
	v_and_b32_e32 v1, s29, v1
	v_dual_cndmask_b32 v1, 0, v1 :: v_dual_and_b32 v0, s33, v0
	s_delay_alu instid0(VALU_DEP_1) | instskip(NEXT) | instid1(VALU_DEP_1)
	v_lshlrev_b32_e32 v0, s30, v0
	v_cndmask_b32_e64 v0, 0, v0, s14
	s_delay_alu instid0(VALU_DEP_1) | instskip(NEXT) | instid1(VALU_DEP_1)
	v_or_b32_e32 v0, v1, v0
	v_and_b32_e32 v1, 1, v0
	v_lshlrev_b32_e32 v2, 30, v0
	v_lshlrev_b32_e32 v3, 29, v0
	;; [unrolled: 1-line block ×4, first 2 shown]
	v_add_co_u32 v1, s14, v1, -1
	s_delay_alu instid0(VALU_DEP_1)
	v_cndmask_b32_e64 v5, 0, 1, s14
	v_not_b32_e32 v47, v2
	v_cmp_gt_i32_e64 s14, 0, v2
	v_not_b32_e32 v2, v3
	v_lshlrev_b32_e32 v7, 26, v0
	v_cmp_ne_u32_e32 vcc_lo, 0, v5
	v_ashrrev_i32_e32 v47, 31, v47
	v_lshlrev_b32_e32 v46, 25, v0
	v_ashrrev_i32_e32 v2, 31, v2
	v_lshlrev_b32_e32 v5, 24, v0
	v_xor_b32_e32 v1, vcc_lo, v1
	v_cmp_gt_i32_e32 vcc_lo, 0, v3
	v_not_b32_e32 v3, v4
	v_xor_b32_e32 v47, s14, v47
	v_cmp_gt_i32_e64 s14, 0, v4
	v_and_b32_e32 v1, exec_lo, v1
	v_not_b32_e32 v4, v6
	v_ashrrev_i32_e32 v3, 31, v3
	v_xor_b32_e32 v2, vcc_lo, v2
	v_cmp_gt_i32_e32 vcc_lo, 0, v6
	v_and_b32_e32 v1, v1, v47
	v_not_b32_e32 v6, v7
	v_ashrrev_i32_e32 v4, 31, v4
	v_xor_b32_e32 v3, s14, v3
	v_cmp_gt_i32_e64 s14, 0, v7
	v_and_b32_e32 v1, v1, v2
	v_not_b32_e32 v2, v46
	v_ashrrev_i32_e32 v6, 31, v6
	v_xor_b32_e32 v4, vcc_lo, v4
	v_cmp_gt_i32_e32 vcc_lo, 0, v46
	v_and_b32_e32 v1, v1, v3
	v_not_b32_e32 v3, v5
	v_ashrrev_i32_e32 v2, 31, v2
	v_xor_b32_e32 v6, s14, v6
	v_lshlrev_b32_e32 v0, 4, v0
	v_and_b32_e32 v1, v1, v4
	v_cmp_gt_i32_e64 s14, 0, v5
	v_ashrrev_i32_e32 v3, 31, v3
	v_xor_b32_e32 v2, vcc_lo, v2
	v_add_lshl_u32 v4, v0, v45, 2
	v_and_b32_e32 v1, v1, v6
	s_delay_alu instid0(VALU_DEP_4) | instskip(SKIP_3) | instid1(VALU_DEP_2)
	v_xor_b32_e32 v0, s14, v3
	ds_load_b32 v46, v4 offset:64
	v_and_b32_e32 v1, v1, v2
	v_add_nc_u32_e32 v48, 64, v4
	; wave barrier
	v_and_b32_e32 v0, v1, v0
	s_delay_alu instid0(VALU_DEP_1) | instskip(SKIP_1) | instid1(VALU_DEP_2)
	v_mbcnt_lo_u32_b32 v47, v0, 0
	v_cmp_ne_u32_e64 s14, 0, v0
	v_cmp_eq_u32_e32 vcc_lo, 0, v47
	s_delay_alu instid0(VALU_DEP_2) | instskip(NEXT) | instid1(SALU_CYCLE_1)
	s_and_b32 s15, vcc_lo, s14
	s_and_saveexec_b32 s14, s15
	s_cbranch_execz .LBB381_12
; %bb.11:                               ;   in Loop: Header=BB381_4 Depth=2
	s_waitcnt lgkmcnt(0)
	v_bcnt_u32_b32 v0, v0, v46
	ds_store_b32 v48, v0
.LBB381_12:                             ;   in Loop: Header=BB381_4 Depth=2
	s_or_b32 exec_lo, exec_lo, s14
	; wave barrier
	s_waitcnt lgkmcnt(0)
	s_barrier
	buffer_gl0_inv
	ds_load_2addr_b64 v[4:7], v33 offset0:8 offset1:9
	ds_load_2addr_b64 v[0:3], v39 offset0:2 offset1:3
	s_waitcnt lgkmcnt(1)
	v_add_nc_u32_e32 v49, v5, v4
	s_delay_alu instid0(VALU_DEP_1) | instskip(SKIP_1) | instid1(VALU_DEP_1)
	v_add3_u32 v49, v49, v6, v7
	s_waitcnt lgkmcnt(0)
	v_add3_u32 v49, v49, v0, v1
	s_delay_alu instid0(VALU_DEP_1) | instskip(NEXT) | instid1(VALU_DEP_1)
	v_add3_u32 v3, v49, v2, v3
	v_mov_b32_dpp v49, v3 row_shr:1 row_mask:0xf bank_mask:0xf
	s_delay_alu instid0(VALU_DEP_1) | instskip(NEXT) | instid1(VALU_DEP_1)
	v_cndmask_b32_e64 v49, v49, 0, s5
	v_add_nc_u32_e32 v3, v49, v3
	s_delay_alu instid0(VALU_DEP_1) | instskip(NEXT) | instid1(VALU_DEP_1)
	v_mov_b32_dpp v49, v3 row_shr:2 row_mask:0xf bank_mask:0xf
	v_cndmask_b32_e64 v49, 0, v49, s6
	s_delay_alu instid0(VALU_DEP_1) | instskip(NEXT) | instid1(VALU_DEP_1)
	v_add_nc_u32_e32 v3, v3, v49
	v_mov_b32_dpp v49, v3 row_shr:4 row_mask:0xf bank_mask:0xf
	s_delay_alu instid0(VALU_DEP_1) | instskip(NEXT) | instid1(VALU_DEP_1)
	v_cndmask_b32_e64 v49, 0, v49, s7
	v_add_nc_u32_e32 v3, v3, v49
	s_delay_alu instid0(VALU_DEP_1) | instskip(NEXT) | instid1(VALU_DEP_1)
	v_mov_b32_dpp v49, v3 row_shr:8 row_mask:0xf bank_mask:0xf
	v_cndmask_b32_e64 v49, 0, v49, s8
	s_delay_alu instid0(VALU_DEP_1) | instskip(SKIP_3) | instid1(VALU_DEP_1)
	v_add_nc_u32_e32 v3, v3, v49
	ds_swizzle_b32 v49, v3 offset:swizzle(BROADCAST,32,15)
	s_waitcnt lgkmcnt(0)
	v_cndmask_b32_e64 v49, v49, 0, s9
	v_add_nc_u32_e32 v3, v3, v49
	s_and_saveexec_b32 s14, s13
	s_cbranch_execz .LBB381_14
; %bb.13:                               ;   in Loop: Header=BB381_4 Depth=2
	ds_store_b32 v40, v3
.LBB381_14:                             ;   in Loop: Header=BB381_4 Depth=2
	s_or_b32 exec_lo, exec_lo, s14
	s_waitcnt lgkmcnt(0)
	s_barrier
	buffer_gl0_inv
	s_and_saveexec_b32 s14, s10
	s_cbranch_execz .LBB381_16
; %bb.15:                               ;   in Loop: Header=BB381_4 Depth=2
	ds_load_b32 v49, v42
	s_waitcnt lgkmcnt(0)
	v_mov_b32_dpp v50, v49 row_shr:1 row_mask:0xf bank_mask:0xf
	s_delay_alu instid0(VALU_DEP_1) | instskip(NEXT) | instid1(VALU_DEP_1)
	v_cndmask_b32_e64 v50, v50, 0, s5
	v_add_nc_u32_e32 v49, v50, v49
	s_delay_alu instid0(VALU_DEP_1) | instskip(NEXT) | instid1(VALU_DEP_1)
	v_mov_b32_dpp v50, v49 row_shr:2 row_mask:0xf bank_mask:0xf
	v_cndmask_b32_e64 v50, 0, v50, s6
	s_delay_alu instid0(VALU_DEP_1) | instskip(NEXT) | instid1(VALU_DEP_1)
	v_add_nc_u32_e32 v49, v49, v50
	v_mov_b32_dpp v50, v49 row_shr:4 row_mask:0xf bank_mask:0xf
	s_delay_alu instid0(VALU_DEP_1) | instskip(NEXT) | instid1(VALU_DEP_1)
	v_cndmask_b32_e64 v50, 0, v50, s7
	v_add_nc_u32_e32 v49, v49, v50
	s_delay_alu instid0(VALU_DEP_1) | instskip(NEXT) | instid1(VALU_DEP_1)
	v_mov_b32_dpp v50, v49 row_shr:8 row_mask:0xf bank_mask:0xf
	v_cndmask_b32_e64 v50, 0, v50, s8
	s_delay_alu instid0(VALU_DEP_1)
	v_add_nc_u32_e32 v49, v49, v50
	ds_store_b32 v42, v49
.LBB381_16:                             ;   in Loop: Header=BB381_4 Depth=2
	s_or_b32 exec_lo, exec_lo, s14
	v_mov_b32_e32 v49, 0
	s_waitcnt lgkmcnt(0)
	s_barrier
	buffer_gl0_inv
	s_and_saveexec_b32 s14, s11
	s_cbranch_execz .LBB381_18
; %bb.17:                               ;   in Loop: Header=BB381_4 Depth=2
	ds_load_b32 v49, v43
.LBB381_18:                             ;   in Loop: Header=BB381_4 Depth=2
	s_or_b32 exec_lo, exec_lo, s14
	s_waitcnt lgkmcnt(0)
	v_add_nc_u32_e32 v3, v49, v3
	s_cmp_gt_u32 s28, 55
	ds_bpermute_b32 v3, v41, v3
	s_waitcnt lgkmcnt(0)
	v_cndmask_b32_e64 v3, v3, v49, s0
	s_delay_alu instid0(VALU_DEP_1) | instskip(NEXT) | instid1(VALU_DEP_1)
	v_cndmask_b32_e64 v3, v3, 0, s12
	v_add_nc_u32_e32 v4, v3, v4
	s_delay_alu instid0(VALU_DEP_1) | instskip(NEXT) | instid1(VALU_DEP_1)
	v_add_nc_u32_e32 v5, v4, v5
	v_add_nc_u32_e32 v6, v5, v6
	s_delay_alu instid0(VALU_DEP_1) | instskip(SKIP_1) | instid1(VALU_DEP_2)
	v_add_nc_u32_e32 v49, v6, v7
	v_lshlrev_b32_e32 v7, 3, v14
	v_add_nc_u32_e32 v50, v49, v0
	s_delay_alu instid0(VALU_DEP_1) | instskip(NEXT) | instid1(VALU_DEP_1)
	v_add_nc_u32_e32 v0, v50, v1
	v_add_nc_u32_e32 v1, v0, v2
	ds_store_2addr_b64 v33, v[3:4], v[5:6] offset0:8 offset1:9
	ds_store_2addr_b64 v39, v[49:50], v[0:1] offset0:2 offset1:3
	s_waitcnt lgkmcnt(0)
	s_barrier
	buffer_gl0_inv
	ds_load_b32 v0, v12
	ds_load_b32 v1, v15
	ds_load_b32 v2, v48
	ds_load_b32 v3, v9
	v_lshlrev_b32_e32 v4, 3, v8
	v_lshlrev_b32_e32 v5, 3, v11
	;; [unrolled: 1-line block ×6, first 2 shown]
	s_waitcnt lgkmcnt(0)
	v_lshlrev_b32_e32 v0, 3, v0
	v_lshlrev_b32_e32 v1, 3, v1
	v_lshlrev_b32_e32 v2, 3, v2
	v_lshl_add_u32 v46, v3, 3, v4
	s_delay_alu instid0(VALU_DEP_4) | instskip(NEXT) | instid1(VALU_DEP_4)
	v_add3_u32 v47, v5, v6, v0
	v_add3_u32 v48, v7, v8, v1
	s_delay_alu instid0(VALU_DEP_4)
	v_add3_u32 v49, v9, v10, v2
	s_cbranch_scc0 .LBB381_3
; %bb.19:                               ;   in Loop: Header=BB381_2 Depth=1
                                        ; implicit-def: $sgpr28
                                        ; implicit-def: $vgpr12_vgpr13
                                        ; implicit-def: $vgpr8_vgpr9
                                        ; implicit-def: $vgpr0_vgpr1
                                        ; implicit-def: $vgpr4_vgpr5
                                        ; implicit-def: $sgpr27
                                        ; implicit-def: $sgpr26
	s_branch .LBB381_1
.LBB381_20:
	s_waitcnt lgkmcnt(1)
	v_add_nc_u32_e32 v5, v18, v14
	v_lshlrev_b32_e32 v14, 3, v22
	s_add_u32 s0, s18, s20
	s_waitcnt lgkmcnt(0)
	v_add_nc_u32_e32 v0, v1, v8
	v_add_nc_u32_e32 v1, v2, v9
	s_addc_u32 s1, s19, s21
	v_add_co_u32 v9, s2, s0, v14
	v_add_nc_u32_e32 v2, v3, v10
	v_add_co_ci_u32_e64 v10, null, s1, 0, s2
	s_delay_alu instid0(VALU_DEP_3) | instskip(SKIP_1) | instid1(VALU_DEP_3)
	v_add_co_u32 v7, vcc_lo, v9, 0x2000
	v_add_nc_u32_e32 v6, v19, v15
	v_add_co_ci_u32_e32 v8, vcc_lo, 0, v10, vcc_lo
	v_add_co_u32 v9, vcc_lo, 0x3000, v9
	v_add_nc_u32_e32 v12, v20, v16
	v_add_nc_u32_e32 v13, v21, v17
	v_add_nc_u32_e32 v3, v4, v11
	v_add_co_ci_u32_e32 v10, vcc_lo, 0, v10, vcc_lo
	s_clause 0x3
	global_store_b64 v14, v[5:6], s[0:1]
	global_store_b64 v[7:8], v[0:1], off
	global_store_b64 v[7:8], v[12:13], off offset:-4096
	global_store_b64 v[9:10], v[2:3], off
	s_nop 0
	s_sendmsg sendmsg(MSG_DEALLOC_VGPRS)
	s_endpgm
	.section	.rodata,"a",@progbits
	.p2align	6, 0x0
	.amdhsa_kernel _Z17sort_pairs_kernelI22helper_blocked_stripedN15benchmark_utils11custom_typeIiiEELj512ELj4ELj10EEvPKT0_PS4_
		.amdhsa_group_segment_fixed_size 16448
		.amdhsa_private_segment_fixed_size 0
		.amdhsa_kernarg_size 272
		.amdhsa_user_sgpr_count 15
		.amdhsa_user_sgpr_dispatch_ptr 0
		.amdhsa_user_sgpr_queue_ptr 0
		.amdhsa_user_sgpr_kernarg_segment_ptr 1
		.amdhsa_user_sgpr_dispatch_id 0
		.amdhsa_user_sgpr_private_segment_size 0
		.amdhsa_wavefront_size32 1
		.amdhsa_uses_dynamic_stack 0
		.amdhsa_enable_private_segment 0
		.amdhsa_system_sgpr_workgroup_id_x 1
		.amdhsa_system_sgpr_workgroup_id_y 0
		.amdhsa_system_sgpr_workgroup_id_z 0
		.amdhsa_system_sgpr_workgroup_info 0
		.amdhsa_system_vgpr_workitem_id 2
		.amdhsa_next_free_vgpr 52
		.amdhsa_next_free_sgpr 34
		.amdhsa_reserve_vcc 1
		.amdhsa_float_round_mode_32 0
		.amdhsa_float_round_mode_16_64 0
		.amdhsa_float_denorm_mode_32 3
		.amdhsa_float_denorm_mode_16_64 3
		.amdhsa_dx10_clamp 1
		.amdhsa_ieee_mode 1
		.amdhsa_fp16_overflow 0
		.amdhsa_workgroup_processor_mode 1
		.amdhsa_memory_ordered 1
		.amdhsa_forward_progress 0
		.amdhsa_shared_vgpr_count 0
		.amdhsa_exception_fp_ieee_invalid_op 0
		.amdhsa_exception_fp_denorm_src 0
		.amdhsa_exception_fp_ieee_div_zero 0
		.amdhsa_exception_fp_ieee_overflow 0
		.amdhsa_exception_fp_ieee_underflow 0
		.amdhsa_exception_fp_ieee_inexact 0
		.amdhsa_exception_int_div_zero 0
	.end_amdhsa_kernel
	.section	.text._Z17sort_pairs_kernelI22helper_blocked_stripedN15benchmark_utils11custom_typeIiiEELj512ELj4ELj10EEvPKT0_PS4_,"axG",@progbits,_Z17sort_pairs_kernelI22helper_blocked_stripedN15benchmark_utils11custom_typeIiiEELj512ELj4ELj10EEvPKT0_PS4_,comdat
.Lfunc_end381:
	.size	_Z17sort_pairs_kernelI22helper_blocked_stripedN15benchmark_utils11custom_typeIiiEELj512ELj4ELj10EEvPKT0_PS4_, .Lfunc_end381-_Z17sort_pairs_kernelI22helper_blocked_stripedN15benchmark_utils11custom_typeIiiEELj512ELj4ELj10EEvPKT0_PS4_
                                        ; -- End function
	.section	.AMDGPU.csdata,"",@progbits
; Kernel info:
; codeLenInByte = 4652
; NumSgprs: 36
; NumVgprs: 52
; ScratchSize: 0
; MemoryBound: 0
; FloatMode: 240
; IeeeMode: 1
; LDSByteSize: 16448 bytes/workgroup (compile time only)
; SGPRBlocks: 4
; VGPRBlocks: 6
; NumSGPRsForWavesPerEU: 36
; NumVGPRsForWavesPerEU: 52
; Occupancy: 16
; WaveLimiterHint : 1
; COMPUTE_PGM_RSRC2:SCRATCH_EN: 0
; COMPUTE_PGM_RSRC2:USER_SGPR: 15
; COMPUTE_PGM_RSRC2:TRAP_HANDLER: 0
; COMPUTE_PGM_RSRC2:TGID_X_EN: 1
; COMPUTE_PGM_RSRC2:TGID_Y_EN: 0
; COMPUTE_PGM_RSRC2:TGID_Z_EN: 0
; COMPUTE_PGM_RSRC2:TIDIG_COMP_CNT: 2
	.section	.text._Z16sort_keys_kernelI22helper_blocked_stripedN15benchmark_utils11custom_typeIiiEELj512ELj8ELj10EEvPKT0_PS4_,"axG",@progbits,_Z16sort_keys_kernelI22helper_blocked_stripedN15benchmark_utils11custom_typeIiiEELj512ELj8ELj10EEvPKT0_PS4_,comdat
	.protected	_Z16sort_keys_kernelI22helper_blocked_stripedN15benchmark_utils11custom_typeIiiEELj512ELj8ELj10EEvPKT0_PS4_ ; -- Begin function _Z16sort_keys_kernelI22helper_blocked_stripedN15benchmark_utils11custom_typeIiiEELj512ELj8ELj10EEvPKT0_PS4_
	.globl	_Z16sort_keys_kernelI22helper_blocked_stripedN15benchmark_utils11custom_typeIiiEELj512ELj8ELj10EEvPKT0_PS4_
	.p2align	8
	.type	_Z16sort_keys_kernelI22helper_blocked_stripedN15benchmark_utils11custom_typeIiiEELj512ELj8ELj10EEvPKT0_PS4_,@function
_Z16sort_keys_kernelI22helper_blocked_stripedN15benchmark_utils11custom_typeIiiEELj512ELj8ELj10EEvPKT0_PS4_: ; @_Z16sort_keys_kernelI22helper_blocked_stripedN15benchmark_utils11custom_typeIiiEELj512ELj8ELj10EEvPKT0_PS4_
; %bb.0:
	s_clause 0x1
	s_load_b128 s[16:19], s[0:1], 0x0
	s_load_b32 s2, s[0:1], 0x1c
	v_and_b32_e32 v17, 0x3ff, v0
	s_mov_b32 s21, 0
	s_lshl_b32 s20, s15, 12
	v_mbcnt_lo_u32_b32 v20, -1, 0
	s_lshl_b64 s[14:15], s[20:21], 3
	v_lshlrev_b32_e32 v18, 6, v17
	v_lshlrev_b32_e32 v32, 3, v17
	;; [unrolled: 1-line block ×3, first 2 shown]
	v_cmp_gt_u32_e64 s6, 16, v17
	v_cmp_lt_u32_e64 s7, 31, v17
	v_cmp_eq_u32_e64 s8, 0, v20
	v_cmp_eq_u32_e64 s9, 0, v17
	v_mad_i32_i24 v40, 0xffffffe4, v17, v33
	v_add_nc_u32_e32 v36, 64, v33
	s_mov_b32 s20, s21
	s_mov_b32 s13, s21
	s_waitcnt lgkmcnt(0)
	s_add_u32 s0, s16, s14
	s_addc_u32 s1, s17, s15
	s_mov_b32 s16, s21
	s_clause 0x4
	global_load_b128 v[1:4], v18, s[0:1] offset:48
	global_load_b128 v[5:8], v18, s[0:1] offset:32
	;; [unrolled: 1-line block ×3, first 2 shown]
	global_load_b128 v[13:16], v18, s[0:1]
	global_load_b64 v[13:14], v18, s[0:1]
	v_bfe_u32 v18, v0, 10, 10
	v_bfe_u32 v0, v0, 20, 10
	s_lshr_b32 s0, s2, 16
	s_mov_b32 s17, s21
	s_delay_alu instid0(VALU_DEP_1)
	v_mad_u32_u24 v0, v0, s0, v18
	s_and_b32 s0, s2, 0xffff
	s_delay_alu instid0(VALU_DEP_1) | instid1(SALU_CYCLE_1)
	v_mad_u64_u32 v[18:19], null, v0, s0, v[17:18]
	v_and_or_b32 v0, 0xf00, v32, v20
	v_and_b32_e32 v19, 15, v20
	s_delay_alu instid0(VALU_DEP_2) | instskip(NEXT) | instid1(VALU_DEP_4)
	v_lshlrev_b32_e32 v35, 3, v0
	v_lshrrev_b32_e32 v37, 5, v18
	v_add_nc_u32_e32 v18, -1, v20
	v_and_b32_e32 v0, 16, v20
	v_cmp_eq_u32_e64 s0, 0, v19
	v_cmp_lt_u32_e64 s1, 1, v19
	v_cmp_lt_u32_e64 s2, 3, v19
	v_cmp_gt_i32_e32 vcc_lo, 0, v18
	v_and_b32_e32 v21, 0x1e0, v17
	v_cmp_eq_u32_e64 s4, 0, v0
	v_cmp_lt_u32_e64 s3, 7, v19
	v_cndmask_b32_e32 v0, v18, v20, vcc_lo
	v_lshrrev_b32_e32 v18, 3, v17
	v_or_b32_e32 v22, v20, v21
	v_or_b32_e32 v19, 31, v21
	s_delay_alu instid0(VALU_DEP_4) | instskip(NEXT) | instid1(VALU_DEP_4)
	v_lshlrev_b32_e32 v38, 2, v0
	v_and_b32_e32 v39, 60, v18
	v_lshlrev_b32_e32 v0, 2, v17
	v_lshlrev_b32_e32 v34, 6, v22
	v_cmp_eq_u32_e64 s5, v19, v17
	s_delay_alu instid0(VALU_DEP_4) | instskip(NEXT) | instid1(VALU_DEP_4)
	v_add_nc_u32_e32 v41, -4, v39
	v_add_nc_u32_e32 v42, v40, v0
	s_branch .LBB382_2
.LBB382_1:                              ;   in Loop: Header=BB382_2 Depth=1
	s_barrier
	buffer_gl0_inv
	ds_store_b64 v43, v[16:17]
	ds_store_b64 v44, v[20:21]
	;; [unrolled: 1-line block ×8, first 2 shown]
	s_waitcnt lgkmcnt(0)
	s_barrier
	buffer_gl0_inv
	ds_load_2addr_stride64_b64 v[0:3], v42 offset1:8
	ds_load_2addr_stride64_b64 v[4:7], v42 offset0:16 offset1:24
	ds_load_2addr_stride64_b64 v[17:20], v42 offset0:32 offset1:40
	ds_load_2addr_stride64_b64 v[21:24], v42 offset0:48 offset1:56
	s_add_i32 s13, s13, 1
	s_delay_alu instid0(SALU_CYCLE_1)
	s_cmp_eq_u32 s13, 10
	s_waitcnt lgkmcnt(3)
	v_xor_b32_e32 v13, 0x80000000, v0
	v_xor_b32_e32 v14, 0x80000000, v1
	v_xor_b32_e32 v15, 0x80000000, v2
	v_xor_b32_e32 v16, 0x80000000, v3
	s_waitcnt lgkmcnt(2)
	v_xor_b32_e32 v9, 0x80000000, v4
	v_xor_b32_e32 v10, 0x80000000, v5
	v_xor_b32_e32 v11, 0x80000000, v6
	v_xor_b32_e32 v12, 0x80000000, v7
	;; [unrolled: 5-line block ×4, first 2 shown]
	s_cbranch_scc1 .LBB382_28
.LBB382_2:                              ; =>This Loop Header: Depth=1
                                        ;     Child Loop BB382_4 Depth 2
	s_waitcnt vmcnt(0)
	v_xor_b32_e32 v14, 0x80000000, v14
	v_xor_b32_e32 v13, 0x80000000, v13
	;; [unrolled: 1-line block ×16, first 2 shown]
	ds_store_2addr_b64 v34, v[13:14], v[15:16] offset1:1
	ds_store_2addr_b64 v34, v[9:10], v[11:12] offset0:2 offset1:3
	ds_store_2addr_b64 v34, v[5:6], v[7:8] offset0:4 offset1:5
	;; [unrolled: 1-line block ×3, first 2 shown]
	; wave barrier
	ds_load_2addr_b64 v[0:3], v35 offset1:32
	ds_load_2addr_b64 v[4:7], v35 offset0:64 offset1:96
	ds_load_2addr_b64 v[8:11], v35 offset0:128 offset1:160
	;; [unrolled: 1-line block ×3, first 2 shown]
	s_mov_b32 s22, 8
	s_mov_b32 s23, 32
	;; [unrolled: 1-line block ×3, first 2 shown]
	s_waitcnt lgkmcnt(0)
	s_barrier
	buffer_gl0_inv
	; wave barrier
	s_barrier
	s_branch .LBB382_4
.LBB382_3:                              ;   in Loop: Header=BB382_4 Depth=2
	s_barrier
	buffer_gl0_inv
	ds_store_b64 v43, v[16:17]
	ds_store_b64 v44, v[20:21]
	;; [unrolled: 1-line block ×8, first 2 shown]
	s_waitcnt lgkmcnt(0)
	s_barrier
	buffer_gl0_inv
	ds_load_2addr_b64 v[0:3], v35 offset1:32
	ds_load_2addr_b64 v[4:7], v35 offset0:64 offset1:96
	ds_load_2addr_b64 v[8:11], v35 offset0:128 offset1:160
	ds_load_2addr_b64 v[12:15], v35 offset0:192 offset1:224
	s_add_i32 s23, s23, -8
	s_add_i32 s22, s22, 8
	s_add_i32 s24, s24, 8
	s_waitcnt lgkmcnt(0)
	s_barrier
	s_cbranch_execz .LBB382_1
.LBB382_4:                              ;   Parent Loop BB382_2 Depth=1
                                        ; =>  This Inner Loop Header: Depth=2
	s_min_i32 s11, s22, 32
	s_cmp_lt_u32 s24, 32
	v_dual_mov_b32 v17, v1 :: v_dual_mov_b32 v16, v0
	s_cselect_b32 vcc_lo, -1, 0
	s_cmp_gt_u32 s24, 24
	buffer_gl0_inv
	s_cselect_b32 s10, -1, 0
	s_sub_i32 s11, s11, 32
	v_lshrrev_b32_e32 v1, s24, v17
	s_add_i32 s12, s11, s23
	v_mov_b32_e32 v27, v7
	s_lshl_b32 s12, -1, s12
	v_mov_b32_e32 v26, v6
	s_not_b32 s12, s12
	s_cmp_lg_u32 s11, s24
	v_mov_b32_e32 v31, v13
	s_cselect_b32 s25, s12, -1
	s_max_i32 s26, s23, 0
	s_max_i32 s11, s24, 32
	v_and_b32_e32 v1, s25, v1
	s_sub_i32 s12, s11, s26
	s_sub_i32 s27, s11, 32
	;; [unrolled: 1-line block ×3, first 2 shown]
	v_lshrrev_b32_e32 v0, s27, v16
	s_min_i32 s11, s12, 32
	v_cndmask_b32_e32 v1, 0, v1, vcc_lo
	s_sub_i32 s11, s11, s27
	v_mov_b32_e32 v30, v12
	s_lshl_b32 s12, -1, s11
	v_mov_b32_e32 v29, v15
	s_not_b32 s12, s12
	s_cmp_lg_u32 s11, 32
	v_mov_b32_e32 v28, v14
	s_cselect_b32 s28, s12, -1
	s_delay_alu instid0(SALU_CYCLE_1) | instskip(NEXT) | instid1(VALU_DEP_1)
	v_and_b32_e32 v0, s28, v0
	v_lshlrev_b32_e32 v0, s26, v0
	s_delay_alu instid0(VALU_DEP_1) | instskip(NEXT) | instid1(VALU_DEP_1)
	v_cndmask_b32_e64 v0, 0, v0, s10
	v_or_b32_e32 v43, v1, v0
	s_delay_alu instid0(VALU_DEP_1)
	v_and_b32_e32 v0, 1, v43
	v_lshlrev_b32_e32 v1, 30, v43
	v_lshlrev_b32_e32 v18, 29, v43
	;; [unrolled: 1-line block ×4, first 2 shown]
	v_add_co_u32 v0, s11, v0, -1
	s_delay_alu instid0(VALU_DEP_1)
	v_cndmask_b32_e64 v20, 0, 1, s11
	v_not_b32_e32 v24, v1
	v_cmp_gt_i32_e64 s12, 0, v1
	v_not_b32_e32 v1, v18
	v_lshlrev_b32_e32 v22, 26, v43
	v_cmp_ne_u32_e64 s11, 0, v20
	v_ashrrev_i32_e32 v24, 31, v24
	v_lshlrev_b32_e32 v23, 25, v43
	v_ashrrev_i32_e32 v1, 31, v1
	v_lshlrev_b32_e32 v20, 24, v43
	v_xor_b32_e32 v0, s11, v0
	v_xor_b32_e32 v24, s12, v24
	v_cmp_gt_i32_e64 s11, 0, v18
	v_not_b32_e32 v18, v19
	v_cmp_gt_i32_e64 s12, 0, v19
	v_and_b32_e32 v0, exec_lo, v0
	s_delay_alu instid0(VALU_DEP_4) | instskip(NEXT) | instid1(VALU_DEP_4)
	v_xor_b32_e32 v1, s11, v1
	v_ashrrev_i32_e32 v18, 31, v18
	s_delay_alu instid0(VALU_DEP_3)
	v_dual_mov_b32 v25, v9 :: v_dual_and_b32 v0, v0, v24
	v_mov_b32_e32 v24, v8
	v_not_b32_e32 v19, v21
	v_cmp_gt_i32_e64 s11, 0, v21
	v_not_b32_e32 v21, v22
	v_xor_b32_e32 v18, s12, v18
	v_and_b32_e32 v0, v0, v1
	v_ashrrev_i32_e32 v19, 31, v19
	v_cmp_gt_i32_e64 s12, 0, v22
	v_not_b32_e32 v1, v23
	v_ashrrev_i32_e32 v21, 31, v21
	v_and_b32_e32 v0, v0, v18
	v_xor_b32_e32 v19, s11, v19
	v_cmp_gt_i32_e64 s11, 0, v23
	v_not_b32_e32 v18, v20
	v_ashrrev_i32_e32 v1, 31, v1
	v_xor_b32_e32 v21, s12, v21
	v_and_b32_e32 v0, v0, v19
	v_cmp_gt_i32_e64 s12, 0, v20
	v_ashrrev_i32_e32 v22, 31, v18
	v_xor_b32_e32 v1, s11, v1
	s_delay_alu instid0(VALU_DEP_4) | instskip(SKIP_1) | instid1(VALU_DEP_4)
	v_dual_mov_b32 v19, v5 :: v_dual_and_b32 v0, v0, v21
	v_dual_mov_b32 v21, v3 :: v_dual_mov_b32 v20, v2
	v_xor_b32_e32 v3, s12, v22
	v_mov_b32_e32 v18, v4
	s_delay_alu instid0(VALU_DEP_4) | instskip(SKIP_2) | instid1(VALU_DEP_3)
	v_dual_mov_b32 v1, s20 :: v_dual_and_b32 v0, v0, v1
	v_dual_mov_b32 v2, s21 :: v_dual_mov_b32 v23, v11
	v_mov_b32_e32 v22, v10
	v_dual_mov_b32 v3, s16 :: v_dual_and_b32 v0, v0, v3
	v_mov_b32_e32 v4, s17
	ds_store_2addr_b64 v33, v[1:2], v[3:4] offset0:8 offset1:9
	ds_store_2addr_b64 v36, v[1:2], v[3:4] offset0:2 offset1:3
	v_mbcnt_lo_u32_b32 v9, v0, 0
	v_lshl_add_u32 v1, v43, 4, v37
	v_cmp_ne_u32_e64 s12, 0, v0
	s_waitcnt lgkmcnt(0)
	s_barrier
	v_cmp_eq_u32_e64 s11, 0, v9
	v_lshl_add_u32 v8, v1, 2, 64
	buffer_gl0_inv
	; wave barrier
	s_and_b32 s12, s11, s12
	s_delay_alu instid0(SALU_CYCLE_1)
	s_and_saveexec_b32 s11, s12
	s_cbranch_execz .LBB382_6
; %bb.5:                                ;   in Loop: Header=BB382_4 Depth=2
	v_bcnt_u32_b32 v0, v0, 0
	ds_store_b32 v8, v0
.LBB382_6:                              ;   in Loop: Header=BB382_4 Depth=2
	s_or_b32 exec_lo, exec_lo, s11
	v_lshrrev_b32_e32 v0, s27, v20
	v_lshrrev_b32_e32 v1, s24, v21
	; wave barrier
	s_delay_alu instid0(VALU_DEP_1) | instskip(NEXT) | instid1(VALU_DEP_1)
	v_and_b32_e32 v1, s25, v1
	v_dual_cndmask_b32 v1, 0, v1 :: v_dual_and_b32 v0, s28, v0
	s_delay_alu instid0(VALU_DEP_1) | instskip(NEXT) | instid1(VALU_DEP_1)
	v_lshlrev_b32_e32 v0, s26, v0
	v_cndmask_b32_e64 v0, 0, v0, s10
	s_delay_alu instid0(VALU_DEP_1) | instskip(NEXT) | instid1(VALU_DEP_1)
	v_or_b32_e32 v0, v1, v0
	v_and_b32_e32 v1, 1, v0
	v_lshlrev_b32_e32 v2, 30, v0
	v_lshlrev_b32_e32 v3, 29, v0
	;; [unrolled: 1-line block ×4, first 2 shown]
	v_add_co_u32 v1, s11, v1, -1
	s_delay_alu instid0(VALU_DEP_1)
	v_cndmask_b32_e64 v5, 0, 1, s11
	v_not_b32_e32 v11, v2
	v_cmp_gt_i32_e64 s12, 0, v2
	v_not_b32_e32 v2, v3
	v_lshlrev_b32_e32 v7, 26, v0
	v_cmp_ne_u32_e64 s11, 0, v5
	v_ashrrev_i32_e32 v11, 31, v11
	v_lshlrev_b32_e32 v10, 25, v0
	v_ashrrev_i32_e32 v2, 31, v2
	v_lshlrev_b32_e32 v5, 24, v0
	v_xor_b32_e32 v1, s11, v1
	v_cmp_gt_i32_e64 s11, 0, v3
	v_not_b32_e32 v3, v4
	v_xor_b32_e32 v11, s12, v11
	v_cmp_gt_i32_e64 s12, 0, v4
	v_and_b32_e32 v1, exec_lo, v1
	v_not_b32_e32 v4, v6
	v_ashrrev_i32_e32 v3, 31, v3
	v_xor_b32_e32 v2, s11, v2
	v_cmp_gt_i32_e64 s11, 0, v6
	v_and_b32_e32 v1, v1, v11
	v_not_b32_e32 v6, v7
	v_ashrrev_i32_e32 v4, 31, v4
	v_xor_b32_e32 v3, s12, v3
	v_cmp_gt_i32_e64 s12, 0, v7
	v_and_b32_e32 v1, v1, v2
	;; [unrolled: 5-line block ×3, first 2 shown]
	v_not_b32_e32 v3, v5
	v_ashrrev_i32_e32 v2, 31, v2
	v_xor_b32_e32 v6, s12, v6
	v_lshlrev_b32_e32 v0, 4, v0
	v_and_b32_e32 v1, v1, v4
	v_cmp_gt_i32_e64 s12, 0, v5
	v_ashrrev_i32_e32 v3, 31, v3
	v_xor_b32_e32 v2, s11, v2
	v_add_lshl_u32 v4, v0, v37, 2
	v_and_b32_e32 v1, v1, v6
	s_delay_alu instid0(VALU_DEP_4) | instskip(SKIP_3) | instid1(VALU_DEP_2)
	v_xor_b32_e32 v0, s12, v3
	ds_load_b32 v10, v4 offset:64
	v_and_b32_e32 v1, v1, v2
	v_add_nc_u32_e32 v11, 64, v4
	; wave barrier
	v_and_b32_e32 v0, v1, v0
	s_delay_alu instid0(VALU_DEP_1) | instskip(SKIP_1) | instid1(VALU_DEP_2)
	v_mbcnt_lo_u32_b32 v12, v0, 0
	v_cmp_ne_u32_e64 s12, 0, v0
	v_cmp_eq_u32_e64 s11, 0, v12
	s_delay_alu instid0(VALU_DEP_1) | instskip(NEXT) | instid1(SALU_CYCLE_1)
	s_and_b32 s12, s11, s12
	s_and_saveexec_b32 s11, s12
	s_cbranch_execz .LBB382_8
; %bb.7:                                ;   in Loop: Header=BB382_4 Depth=2
	s_waitcnt lgkmcnt(0)
	v_bcnt_u32_b32 v0, v0, v10
	ds_store_b32 v11, v0
.LBB382_8:                              ;   in Loop: Header=BB382_4 Depth=2
	s_or_b32 exec_lo, exec_lo, s11
	v_lshrrev_b32_e32 v0, s27, v18
	v_lshrrev_b32_e32 v1, s24, v19
	; wave barrier
	s_delay_alu instid0(VALU_DEP_1) | instskip(NEXT) | instid1(VALU_DEP_1)
	v_and_b32_e32 v1, s25, v1
	v_dual_cndmask_b32 v1, 0, v1 :: v_dual_and_b32 v0, s28, v0
	s_delay_alu instid0(VALU_DEP_1) | instskip(NEXT) | instid1(VALU_DEP_1)
	v_lshlrev_b32_e32 v0, s26, v0
	v_cndmask_b32_e64 v0, 0, v0, s10
	s_delay_alu instid0(VALU_DEP_1) | instskip(NEXT) | instid1(VALU_DEP_1)
	v_or_b32_e32 v0, v1, v0
	v_and_b32_e32 v1, 1, v0
	v_lshlrev_b32_e32 v2, 30, v0
	v_lshlrev_b32_e32 v3, 29, v0
	;; [unrolled: 1-line block ×4, first 2 shown]
	v_add_co_u32 v1, s11, v1, -1
	s_delay_alu instid0(VALU_DEP_1)
	v_cndmask_b32_e64 v5, 0, 1, s11
	v_not_b32_e32 v14, v2
	v_cmp_gt_i32_e64 s12, 0, v2
	v_not_b32_e32 v2, v3
	v_lshlrev_b32_e32 v7, 26, v0
	v_cmp_ne_u32_e64 s11, 0, v5
	v_ashrrev_i32_e32 v14, 31, v14
	v_lshlrev_b32_e32 v13, 25, v0
	v_ashrrev_i32_e32 v2, 31, v2
	v_lshlrev_b32_e32 v5, 24, v0
	v_xor_b32_e32 v1, s11, v1
	v_cmp_gt_i32_e64 s11, 0, v3
	v_not_b32_e32 v3, v4
	v_xor_b32_e32 v14, s12, v14
	v_cmp_gt_i32_e64 s12, 0, v4
	v_and_b32_e32 v1, exec_lo, v1
	v_not_b32_e32 v4, v6
	v_ashrrev_i32_e32 v3, 31, v3
	v_xor_b32_e32 v2, s11, v2
	v_cmp_gt_i32_e64 s11, 0, v6
	v_and_b32_e32 v1, v1, v14
	v_not_b32_e32 v6, v7
	v_ashrrev_i32_e32 v4, 31, v4
	v_xor_b32_e32 v3, s12, v3
	v_cmp_gt_i32_e64 s12, 0, v7
	v_and_b32_e32 v1, v1, v2
	;; [unrolled: 5-line block ×3, first 2 shown]
	v_not_b32_e32 v3, v5
	v_ashrrev_i32_e32 v2, 31, v2
	v_xor_b32_e32 v6, s12, v6
	v_lshlrev_b32_e32 v0, 4, v0
	v_and_b32_e32 v1, v1, v4
	v_cmp_gt_i32_e64 s12, 0, v5
	v_ashrrev_i32_e32 v3, 31, v3
	v_xor_b32_e32 v2, s11, v2
	v_add_lshl_u32 v4, v0, v37, 2
	v_and_b32_e32 v1, v1, v6
	s_delay_alu instid0(VALU_DEP_4) | instskip(SKIP_3) | instid1(VALU_DEP_2)
	v_xor_b32_e32 v0, s12, v3
	ds_load_b32 v13, v4 offset:64
	v_and_b32_e32 v1, v1, v2
	v_add_nc_u32_e32 v15, 64, v4
	; wave barrier
	v_and_b32_e32 v0, v1, v0
	s_delay_alu instid0(VALU_DEP_1) | instskip(SKIP_1) | instid1(VALU_DEP_2)
	v_mbcnt_lo_u32_b32 v14, v0, 0
	v_cmp_ne_u32_e64 s12, 0, v0
	v_cmp_eq_u32_e64 s11, 0, v14
	s_delay_alu instid0(VALU_DEP_1) | instskip(NEXT) | instid1(SALU_CYCLE_1)
	s_and_b32 s12, s11, s12
	s_and_saveexec_b32 s11, s12
	s_cbranch_execz .LBB382_10
; %bb.9:                                ;   in Loop: Header=BB382_4 Depth=2
	s_waitcnt lgkmcnt(0)
	v_bcnt_u32_b32 v0, v0, v13
	ds_store_b32 v15, v0
.LBB382_10:                             ;   in Loop: Header=BB382_4 Depth=2
	s_or_b32 exec_lo, exec_lo, s11
	v_lshrrev_b32_e32 v0, s27, v26
	v_lshrrev_b32_e32 v1, s24, v27
	; wave barrier
	s_delay_alu instid0(VALU_DEP_1) | instskip(NEXT) | instid1(VALU_DEP_1)
	v_and_b32_e32 v1, s25, v1
	v_dual_cndmask_b32 v1, 0, v1 :: v_dual_and_b32 v0, s28, v0
	s_delay_alu instid0(VALU_DEP_1) | instskip(NEXT) | instid1(VALU_DEP_1)
	v_lshlrev_b32_e32 v0, s26, v0
	v_cndmask_b32_e64 v0, 0, v0, s10
	s_delay_alu instid0(VALU_DEP_1) | instskip(NEXT) | instid1(VALU_DEP_1)
	v_or_b32_e32 v0, v1, v0
	v_and_b32_e32 v1, 1, v0
	v_lshlrev_b32_e32 v2, 30, v0
	v_lshlrev_b32_e32 v3, 29, v0
	;; [unrolled: 1-line block ×4, first 2 shown]
	v_add_co_u32 v1, s11, v1, -1
	s_delay_alu instid0(VALU_DEP_1)
	v_cndmask_b32_e64 v5, 0, 1, s11
	v_not_b32_e32 v44, v2
	v_cmp_gt_i32_e64 s12, 0, v2
	v_not_b32_e32 v2, v3
	v_lshlrev_b32_e32 v7, 26, v0
	v_cmp_ne_u32_e64 s11, 0, v5
	v_ashrrev_i32_e32 v44, 31, v44
	v_lshlrev_b32_e32 v43, 25, v0
	v_ashrrev_i32_e32 v2, 31, v2
	v_lshlrev_b32_e32 v5, 24, v0
	v_xor_b32_e32 v1, s11, v1
	v_cmp_gt_i32_e64 s11, 0, v3
	v_not_b32_e32 v3, v4
	v_xor_b32_e32 v44, s12, v44
	v_cmp_gt_i32_e64 s12, 0, v4
	v_and_b32_e32 v1, exec_lo, v1
	v_not_b32_e32 v4, v6
	v_ashrrev_i32_e32 v3, 31, v3
	v_xor_b32_e32 v2, s11, v2
	v_cmp_gt_i32_e64 s11, 0, v6
	v_and_b32_e32 v1, v1, v44
	v_not_b32_e32 v6, v7
	v_ashrrev_i32_e32 v4, 31, v4
	v_xor_b32_e32 v3, s12, v3
	v_cmp_gt_i32_e64 s12, 0, v7
	v_and_b32_e32 v1, v1, v2
	;; [unrolled: 5-line block ×3, first 2 shown]
	v_not_b32_e32 v3, v5
	v_ashrrev_i32_e32 v2, 31, v2
	v_xor_b32_e32 v6, s12, v6
	v_lshlrev_b32_e32 v0, 4, v0
	v_and_b32_e32 v1, v1, v4
	v_cmp_gt_i32_e64 s12, 0, v5
	v_ashrrev_i32_e32 v3, 31, v3
	v_xor_b32_e32 v2, s11, v2
	v_add_lshl_u32 v4, v0, v37, 2
	v_and_b32_e32 v1, v1, v6
	s_delay_alu instid0(VALU_DEP_4) | instskip(SKIP_3) | instid1(VALU_DEP_2)
	v_xor_b32_e32 v0, s12, v3
	ds_load_b32 v43, v4 offset:64
	v_and_b32_e32 v1, v1, v2
	v_add_nc_u32_e32 v45, 64, v4
	; wave barrier
	v_and_b32_e32 v0, v1, v0
	s_delay_alu instid0(VALU_DEP_1) | instskip(SKIP_1) | instid1(VALU_DEP_2)
	v_mbcnt_lo_u32_b32 v44, v0, 0
	v_cmp_ne_u32_e64 s12, 0, v0
	v_cmp_eq_u32_e64 s11, 0, v44
	s_delay_alu instid0(VALU_DEP_1) | instskip(NEXT) | instid1(SALU_CYCLE_1)
	s_and_b32 s12, s11, s12
	s_and_saveexec_b32 s11, s12
	s_cbranch_execz .LBB382_12
; %bb.11:                               ;   in Loop: Header=BB382_4 Depth=2
	s_waitcnt lgkmcnt(0)
	v_bcnt_u32_b32 v0, v0, v43
	ds_store_b32 v45, v0
.LBB382_12:                             ;   in Loop: Header=BB382_4 Depth=2
	s_or_b32 exec_lo, exec_lo, s11
	v_lshrrev_b32_e32 v0, s27, v24
	v_lshrrev_b32_e32 v1, s24, v25
	; wave barrier
	s_delay_alu instid0(VALU_DEP_1) | instskip(NEXT) | instid1(VALU_DEP_1)
	v_and_b32_e32 v1, s25, v1
	v_dual_cndmask_b32 v1, 0, v1 :: v_dual_and_b32 v0, s28, v0
	s_delay_alu instid0(VALU_DEP_1) | instskip(NEXT) | instid1(VALU_DEP_1)
	v_lshlrev_b32_e32 v0, s26, v0
	v_cndmask_b32_e64 v0, 0, v0, s10
	s_delay_alu instid0(VALU_DEP_1) | instskip(NEXT) | instid1(VALU_DEP_1)
	v_or_b32_e32 v0, v1, v0
	v_and_b32_e32 v1, 1, v0
	v_lshlrev_b32_e32 v2, 30, v0
	v_lshlrev_b32_e32 v3, 29, v0
	;; [unrolled: 1-line block ×4, first 2 shown]
	v_add_co_u32 v1, s11, v1, -1
	s_delay_alu instid0(VALU_DEP_1)
	v_cndmask_b32_e64 v5, 0, 1, s11
	v_not_b32_e32 v47, v2
	v_cmp_gt_i32_e64 s12, 0, v2
	v_not_b32_e32 v2, v3
	v_lshlrev_b32_e32 v7, 26, v0
	v_cmp_ne_u32_e64 s11, 0, v5
	v_ashrrev_i32_e32 v47, 31, v47
	v_lshlrev_b32_e32 v46, 25, v0
	v_ashrrev_i32_e32 v2, 31, v2
	v_lshlrev_b32_e32 v5, 24, v0
	v_xor_b32_e32 v1, s11, v1
	v_cmp_gt_i32_e64 s11, 0, v3
	v_not_b32_e32 v3, v4
	v_xor_b32_e32 v47, s12, v47
	v_cmp_gt_i32_e64 s12, 0, v4
	v_and_b32_e32 v1, exec_lo, v1
	v_not_b32_e32 v4, v6
	v_ashrrev_i32_e32 v3, 31, v3
	v_xor_b32_e32 v2, s11, v2
	v_cmp_gt_i32_e64 s11, 0, v6
	v_and_b32_e32 v1, v1, v47
	v_not_b32_e32 v6, v7
	v_ashrrev_i32_e32 v4, 31, v4
	v_xor_b32_e32 v3, s12, v3
	v_cmp_gt_i32_e64 s12, 0, v7
	v_and_b32_e32 v1, v1, v2
	v_not_b32_e32 v2, v46
	v_ashrrev_i32_e32 v6, 31, v6
	v_xor_b32_e32 v4, s11, v4
	v_cmp_gt_i32_e64 s11, 0, v46
	v_and_b32_e32 v1, v1, v3
	v_not_b32_e32 v3, v5
	v_ashrrev_i32_e32 v2, 31, v2
	v_xor_b32_e32 v6, s12, v6
	v_lshlrev_b32_e32 v0, 4, v0
	v_and_b32_e32 v1, v1, v4
	v_cmp_gt_i32_e64 s12, 0, v5
	v_ashrrev_i32_e32 v3, 31, v3
	v_xor_b32_e32 v2, s11, v2
	v_add_lshl_u32 v4, v0, v37, 2
	v_and_b32_e32 v1, v1, v6
	s_delay_alu instid0(VALU_DEP_4) | instskip(SKIP_3) | instid1(VALU_DEP_2)
	v_xor_b32_e32 v0, s12, v3
	ds_load_b32 v46, v4 offset:64
	v_and_b32_e32 v1, v1, v2
	v_add_nc_u32_e32 v48, 64, v4
	; wave barrier
	v_and_b32_e32 v0, v1, v0
	s_delay_alu instid0(VALU_DEP_1) | instskip(SKIP_1) | instid1(VALU_DEP_2)
	v_mbcnt_lo_u32_b32 v47, v0, 0
	v_cmp_ne_u32_e64 s12, 0, v0
	v_cmp_eq_u32_e64 s11, 0, v47
	s_delay_alu instid0(VALU_DEP_1) | instskip(NEXT) | instid1(SALU_CYCLE_1)
	s_and_b32 s12, s11, s12
	s_and_saveexec_b32 s11, s12
	s_cbranch_execz .LBB382_14
; %bb.13:                               ;   in Loop: Header=BB382_4 Depth=2
	s_waitcnt lgkmcnt(0)
	v_bcnt_u32_b32 v0, v0, v46
	ds_store_b32 v48, v0
.LBB382_14:                             ;   in Loop: Header=BB382_4 Depth=2
	s_or_b32 exec_lo, exec_lo, s11
	v_lshrrev_b32_e32 v0, s27, v22
	v_lshrrev_b32_e32 v1, s24, v23
	; wave barrier
	s_delay_alu instid0(VALU_DEP_1) | instskip(NEXT) | instid1(VALU_DEP_1)
	v_and_b32_e32 v1, s25, v1
	v_dual_cndmask_b32 v1, 0, v1 :: v_dual_and_b32 v0, s28, v0
	s_delay_alu instid0(VALU_DEP_1) | instskip(NEXT) | instid1(VALU_DEP_1)
	v_lshlrev_b32_e32 v0, s26, v0
	v_cndmask_b32_e64 v0, 0, v0, s10
	s_delay_alu instid0(VALU_DEP_1) | instskip(NEXT) | instid1(VALU_DEP_1)
	v_or_b32_e32 v0, v1, v0
	v_and_b32_e32 v1, 1, v0
	v_lshlrev_b32_e32 v2, 30, v0
	v_lshlrev_b32_e32 v3, 29, v0
	;; [unrolled: 1-line block ×4, first 2 shown]
	v_add_co_u32 v1, s11, v1, -1
	s_delay_alu instid0(VALU_DEP_1)
	v_cndmask_b32_e64 v5, 0, 1, s11
	v_not_b32_e32 v50, v2
	v_cmp_gt_i32_e64 s12, 0, v2
	v_not_b32_e32 v2, v3
	v_lshlrev_b32_e32 v7, 26, v0
	v_cmp_ne_u32_e64 s11, 0, v5
	v_ashrrev_i32_e32 v50, 31, v50
	v_lshlrev_b32_e32 v49, 25, v0
	v_ashrrev_i32_e32 v2, 31, v2
	v_lshlrev_b32_e32 v5, 24, v0
	v_xor_b32_e32 v1, s11, v1
	v_cmp_gt_i32_e64 s11, 0, v3
	v_not_b32_e32 v3, v4
	v_xor_b32_e32 v50, s12, v50
	v_cmp_gt_i32_e64 s12, 0, v4
	v_and_b32_e32 v1, exec_lo, v1
	v_not_b32_e32 v4, v6
	v_ashrrev_i32_e32 v3, 31, v3
	v_xor_b32_e32 v2, s11, v2
	v_cmp_gt_i32_e64 s11, 0, v6
	v_and_b32_e32 v1, v1, v50
	v_not_b32_e32 v6, v7
	v_ashrrev_i32_e32 v4, 31, v4
	v_xor_b32_e32 v3, s12, v3
	v_cmp_gt_i32_e64 s12, 0, v7
	v_and_b32_e32 v1, v1, v2
	;; [unrolled: 5-line block ×3, first 2 shown]
	v_not_b32_e32 v3, v5
	v_ashrrev_i32_e32 v2, 31, v2
	v_xor_b32_e32 v6, s12, v6
	v_lshlrev_b32_e32 v0, 4, v0
	v_and_b32_e32 v1, v1, v4
	v_cmp_gt_i32_e64 s12, 0, v5
	v_ashrrev_i32_e32 v3, 31, v3
	v_xor_b32_e32 v2, s11, v2
	v_add_lshl_u32 v4, v0, v37, 2
	v_and_b32_e32 v1, v1, v6
	s_delay_alu instid0(VALU_DEP_4) | instskip(SKIP_3) | instid1(VALU_DEP_2)
	v_xor_b32_e32 v0, s12, v3
	ds_load_b32 v49, v4 offset:64
	v_and_b32_e32 v1, v1, v2
	v_add_nc_u32_e32 v51, 64, v4
	; wave barrier
	v_and_b32_e32 v0, v1, v0
	s_delay_alu instid0(VALU_DEP_1) | instskip(SKIP_1) | instid1(VALU_DEP_2)
	v_mbcnt_lo_u32_b32 v50, v0, 0
	v_cmp_ne_u32_e64 s12, 0, v0
	v_cmp_eq_u32_e64 s11, 0, v50
	s_delay_alu instid0(VALU_DEP_1) | instskip(NEXT) | instid1(SALU_CYCLE_1)
	s_and_b32 s12, s11, s12
	s_and_saveexec_b32 s11, s12
	s_cbranch_execz .LBB382_16
; %bb.15:                               ;   in Loop: Header=BB382_4 Depth=2
	s_waitcnt lgkmcnt(0)
	v_bcnt_u32_b32 v0, v0, v49
	ds_store_b32 v51, v0
.LBB382_16:                             ;   in Loop: Header=BB382_4 Depth=2
	s_or_b32 exec_lo, exec_lo, s11
	v_lshrrev_b32_e32 v0, s27, v30
	v_lshrrev_b32_e32 v1, s24, v31
	; wave barrier
	s_delay_alu instid0(VALU_DEP_1) | instskip(NEXT) | instid1(VALU_DEP_1)
	v_and_b32_e32 v1, s25, v1
	v_dual_cndmask_b32 v1, 0, v1 :: v_dual_and_b32 v0, s28, v0
	s_delay_alu instid0(VALU_DEP_1) | instskip(NEXT) | instid1(VALU_DEP_1)
	v_lshlrev_b32_e32 v0, s26, v0
	v_cndmask_b32_e64 v0, 0, v0, s10
	s_delay_alu instid0(VALU_DEP_1) | instskip(NEXT) | instid1(VALU_DEP_1)
	v_or_b32_e32 v0, v1, v0
	v_and_b32_e32 v1, 1, v0
	v_lshlrev_b32_e32 v2, 30, v0
	v_lshlrev_b32_e32 v3, 29, v0
	v_lshlrev_b32_e32 v4, 28, v0
	v_lshlrev_b32_e32 v6, 27, v0
	v_add_co_u32 v1, s11, v1, -1
	s_delay_alu instid0(VALU_DEP_1)
	v_cndmask_b32_e64 v5, 0, 1, s11
	v_not_b32_e32 v53, v2
	v_cmp_gt_i32_e64 s12, 0, v2
	v_not_b32_e32 v2, v3
	v_lshlrev_b32_e32 v7, 26, v0
	v_cmp_ne_u32_e64 s11, 0, v5
	v_ashrrev_i32_e32 v53, 31, v53
	v_lshlrev_b32_e32 v52, 25, v0
	v_ashrrev_i32_e32 v2, 31, v2
	v_lshlrev_b32_e32 v5, 24, v0
	v_xor_b32_e32 v1, s11, v1
	v_cmp_gt_i32_e64 s11, 0, v3
	v_not_b32_e32 v3, v4
	v_xor_b32_e32 v53, s12, v53
	v_cmp_gt_i32_e64 s12, 0, v4
	v_and_b32_e32 v1, exec_lo, v1
	v_not_b32_e32 v4, v6
	v_ashrrev_i32_e32 v3, 31, v3
	v_xor_b32_e32 v2, s11, v2
	v_cmp_gt_i32_e64 s11, 0, v6
	v_and_b32_e32 v1, v1, v53
	v_not_b32_e32 v6, v7
	v_ashrrev_i32_e32 v4, 31, v4
	v_xor_b32_e32 v3, s12, v3
	v_cmp_gt_i32_e64 s12, 0, v7
	v_and_b32_e32 v1, v1, v2
	;; [unrolled: 5-line block ×3, first 2 shown]
	v_not_b32_e32 v3, v5
	v_ashrrev_i32_e32 v2, 31, v2
	v_xor_b32_e32 v6, s12, v6
	v_lshlrev_b32_e32 v0, 4, v0
	v_and_b32_e32 v1, v1, v4
	v_cmp_gt_i32_e64 s12, 0, v5
	v_ashrrev_i32_e32 v3, 31, v3
	v_xor_b32_e32 v2, s11, v2
	v_add_lshl_u32 v4, v0, v37, 2
	v_and_b32_e32 v1, v1, v6
	s_delay_alu instid0(VALU_DEP_4) | instskip(SKIP_3) | instid1(VALU_DEP_2)
	v_xor_b32_e32 v0, s12, v3
	ds_load_b32 v52, v4 offset:64
	v_and_b32_e32 v1, v1, v2
	v_add_nc_u32_e32 v54, 64, v4
	; wave barrier
	v_and_b32_e32 v0, v1, v0
	s_delay_alu instid0(VALU_DEP_1) | instskip(SKIP_1) | instid1(VALU_DEP_2)
	v_mbcnt_lo_u32_b32 v53, v0, 0
	v_cmp_ne_u32_e64 s12, 0, v0
	v_cmp_eq_u32_e64 s11, 0, v53
	s_delay_alu instid0(VALU_DEP_1) | instskip(NEXT) | instid1(SALU_CYCLE_1)
	s_and_b32 s12, s11, s12
	s_and_saveexec_b32 s11, s12
	s_cbranch_execz .LBB382_18
; %bb.17:                               ;   in Loop: Header=BB382_4 Depth=2
	s_waitcnt lgkmcnt(0)
	v_bcnt_u32_b32 v0, v0, v52
	ds_store_b32 v54, v0
.LBB382_18:                             ;   in Loop: Header=BB382_4 Depth=2
	s_or_b32 exec_lo, exec_lo, s11
	v_lshrrev_b32_e32 v0, s27, v28
	v_lshrrev_b32_e32 v1, s24, v29
	; wave barrier
	s_delay_alu instid0(VALU_DEP_1) | instskip(NEXT) | instid1(VALU_DEP_1)
	v_and_b32_e32 v1, s25, v1
	v_dual_cndmask_b32 v1, 0, v1 :: v_dual_and_b32 v0, s28, v0
	s_delay_alu instid0(VALU_DEP_1) | instskip(NEXT) | instid1(VALU_DEP_1)
	v_lshlrev_b32_e32 v0, s26, v0
	v_cndmask_b32_e64 v0, 0, v0, s10
	s_delay_alu instid0(VALU_DEP_1) | instskip(NEXT) | instid1(VALU_DEP_1)
	v_or_b32_e32 v0, v1, v0
	v_and_b32_e32 v1, 1, v0
	v_lshlrev_b32_e32 v2, 30, v0
	v_lshlrev_b32_e32 v3, 29, v0
	;; [unrolled: 1-line block ×4, first 2 shown]
	v_add_co_u32 v1, s10, v1, -1
	s_delay_alu instid0(VALU_DEP_1)
	v_cndmask_b32_e64 v5, 0, 1, s10
	v_not_b32_e32 v56, v2
	v_cmp_gt_i32_e64 s10, 0, v2
	v_not_b32_e32 v2, v3
	v_lshlrev_b32_e32 v7, 26, v0
	v_cmp_ne_u32_e32 vcc_lo, 0, v5
	v_ashrrev_i32_e32 v56, 31, v56
	v_lshlrev_b32_e32 v55, 25, v0
	v_ashrrev_i32_e32 v2, 31, v2
	v_lshlrev_b32_e32 v5, 24, v0
	v_xor_b32_e32 v1, vcc_lo, v1
	v_cmp_gt_i32_e32 vcc_lo, 0, v3
	v_not_b32_e32 v3, v4
	v_xor_b32_e32 v56, s10, v56
	v_cmp_gt_i32_e64 s10, 0, v4
	v_and_b32_e32 v1, exec_lo, v1
	v_not_b32_e32 v4, v6
	v_ashrrev_i32_e32 v3, 31, v3
	v_xor_b32_e32 v2, vcc_lo, v2
	v_cmp_gt_i32_e32 vcc_lo, 0, v6
	v_and_b32_e32 v1, v1, v56
	v_not_b32_e32 v6, v7
	v_ashrrev_i32_e32 v4, 31, v4
	v_xor_b32_e32 v3, s10, v3
	v_cmp_gt_i32_e64 s10, 0, v7
	v_and_b32_e32 v1, v1, v2
	v_not_b32_e32 v2, v55
	v_ashrrev_i32_e32 v6, 31, v6
	v_xor_b32_e32 v4, vcc_lo, v4
	v_cmp_gt_i32_e32 vcc_lo, 0, v55
	v_and_b32_e32 v1, v1, v3
	v_not_b32_e32 v3, v5
	v_ashrrev_i32_e32 v2, 31, v2
	v_xor_b32_e32 v6, s10, v6
	v_lshlrev_b32_e32 v0, 4, v0
	v_and_b32_e32 v1, v1, v4
	v_cmp_gt_i32_e64 s10, 0, v5
	v_ashrrev_i32_e32 v3, 31, v3
	v_xor_b32_e32 v2, vcc_lo, v2
	v_add_lshl_u32 v4, v0, v37, 2
	v_and_b32_e32 v1, v1, v6
	s_delay_alu instid0(VALU_DEP_4) | instskip(SKIP_3) | instid1(VALU_DEP_2)
	v_xor_b32_e32 v0, s10, v3
	ds_load_b32 v55, v4 offset:64
	v_and_b32_e32 v1, v1, v2
	v_add_nc_u32_e32 v57, 64, v4
	; wave barrier
	v_and_b32_e32 v0, v1, v0
	s_delay_alu instid0(VALU_DEP_1) | instskip(SKIP_1) | instid1(VALU_DEP_2)
	v_mbcnt_lo_u32_b32 v56, v0, 0
	v_cmp_ne_u32_e64 s10, 0, v0
	v_cmp_eq_u32_e32 vcc_lo, 0, v56
	s_delay_alu instid0(VALU_DEP_2) | instskip(NEXT) | instid1(SALU_CYCLE_1)
	s_and_b32 s11, vcc_lo, s10
	s_and_saveexec_b32 s10, s11
	s_cbranch_execz .LBB382_20
; %bb.19:                               ;   in Loop: Header=BB382_4 Depth=2
	s_waitcnt lgkmcnt(0)
	v_bcnt_u32_b32 v0, v0, v55
	ds_store_b32 v57, v0
.LBB382_20:                             ;   in Loop: Header=BB382_4 Depth=2
	s_or_b32 exec_lo, exec_lo, s10
	; wave barrier
	s_waitcnt lgkmcnt(0)
	s_barrier
	buffer_gl0_inv
	ds_load_2addr_b64 v[4:7], v33 offset0:8 offset1:9
	ds_load_2addr_b64 v[0:3], v36 offset0:2 offset1:3
	s_waitcnt lgkmcnt(1)
	v_add_nc_u32_e32 v58, v5, v4
	s_delay_alu instid0(VALU_DEP_1) | instskip(SKIP_1) | instid1(VALU_DEP_1)
	v_add3_u32 v58, v58, v6, v7
	s_waitcnt lgkmcnt(0)
	v_add3_u32 v58, v58, v0, v1
	s_delay_alu instid0(VALU_DEP_1) | instskip(NEXT) | instid1(VALU_DEP_1)
	v_add3_u32 v3, v58, v2, v3
	v_mov_b32_dpp v58, v3 row_shr:1 row_mask:0xf bank_mask:0xf
	s_delay_alu instid0(VALU_DEP_1) | instskip(NEXT) | instid1(VALU_DEP_1)
	v_cndmask_b32_e64 v58, v58, 0, s0
	v_add_nc_u32_e32 v3, v58, v3
	s_delay_alu instid0(VALU_DEP_1) | instskip(NEXT) | instid1(VALU_DEP_1)
	v_mov_b32_dpp v58, v3 row_shr:2 row_mask:0xf bank_mask:0xf
	v_cndmask_b32_e64 v58, 0, v58, s1
	s_delay_alu instid0(VALU_DEP_1) | instskip(NEXT) | instid1(VALU_DEP_1)
	v_add_nc_u32_e32 v3, v3, v58
	v_mov_b32_dpp v58, v3 row_shr:4 row_mask:0xf bank_mask:0xf
	s_delay_alu instid0(VALU_DEP_1) | instskip(NEXT) | instid1(VALU_DEP_1)
	v_cndmask_b32_e64 v58, 0, v58, s2
	v_add_nc_u32_e32 v3, v3, v58
	s_delay_alu instid0(VALU_DEP_1) | instskip(NEXT) | instid1(VALU_DEP_1)
	v_mov_b32_dpp v58, v3 row_shr:8 row_mask:0xf bank_mask:0xf
	v_cndmask_b32_e64 v58, 0, v58, s3
	s_delay_alu instid0(VALU_DEP_1) | instskip(SKIP_3) | instid1(VALU_DEP_1)
	v_add_nc_u32_e32 v3, v3, v58
	ds_swizzle_b32 v58, v3 offset:swizzle(BROADCAST,32,15)
	s_waitcnt lgkmcnt(0)
	v_cndmask_b32_e64 v58, v58, 0, s4
	v_add_nc_u32_e32 v3, v3, v58
	s_and_saveexec_b32 s10, s5
	s_cbranch_execz .LBB382_22
; %bb.21:                               ;   in Loop: Header=BB382_4 Depth=2
	ds_store_b32 v39, v3
.LBB382_22:                             ;   in Loop: Header=BB382_4 Depth=2
	s_or_b32 exec_lo, exec_lo, s10
	s_waitcnt lgkmcnt(0)
	s_barrier
	buffer_gl0_inv
	s_and_saveexec_b32 s10, s6
	s_cbranch_execz .LBB382_24
; %bb.23:                               ;   in Loop: Header=BB382_4 Depth=2
	ds_load_b32 v58, v40
	s_waitcnt lgkmcnt(0)
	v_mov_b32_dpp v59, v58 row_shr:1 row_mask:0xf bank_mask:0xf
	s_delay_alu instid0(VALU_DEP_1) | instskip(NEXT) | instid1(VALU_DEP_1)
	v_cndmask_b32_e64 v59, v59, 0, s0
	v_add_nc_u32_e32 v58, v59, v58
	s_delay_alu instid0(VALU_DEP_1) | instskip(NEXT) | instid1(VALU_DEP_1)
	v_mov_b32_dpp v59, v58 row_shr:2 row_mask:0xf bank_mask:0xf
	v_cndmask_b32_e64 v59, 0, v59, s1
	s_delay_alu instid0(VALU_DEP_1) | instskip(NEXT) | instid1(VALU_DEP_1)
	v_add_nc_u32_e32 v58, v58, v59
	v_mov_b32_dpp v59, v58 row_shr:4 row_mask:0xf bank_mask:0xf
	s_delay_alu instid0(VALU_DEP_1) | instskip(NEXT) | instid1(VALU_DEP_1)
	v_cndmask_b32_e64 v59, 0, v59, s2
	v_add_nc_u32_e32 v58, v58, v59
	s_delay_alu instid0(VALU_DEP_1) | instskip(NEXT) | instid1(VALU_DEP_1)
	v_mov_b32_dpp v59, v58 row_shr:8 row_mask:0xf bank_mask:0xf
	v_cndmask_b32_e64 v59, 0, v59, s3
	s_delay_alu instid0(VALU_DEP_1)
	v_add_nc_u32_e32 v58, v58, v59
	ds_store_b32 v40, v58
.LBB382_24:                             ;   in Loop: Header=BB382_4 Depth=2
	s_or_b32 exec_lo, exec_lo, s10
	v_mov_b32_e32 v58, 0
	s_waitcnt lgkmcnt(0)
	s_barrier
	buffer_gl0_inv
	s_and_saveexec_b32 s10, s7
	s_cbranch_execz .LBB382_26
; %bb.25:                               ;   in Loop: Header=BB382_4 Depth=2
	ds_load_b32 v58, v41
.LBB382_26:                             ;   in Loop: Header=BB382_4 Depth=2
	s_or_b32 exec_lo, exec_lo, s10
	s_waitcnt lgkmcnt(0)
	v_add_nc_u32_e32 v3, v58, v3
	v_lshlrev_b32_e32 v49, 3, v49
	s_cmp_gt_u32 s24, 55
	ds_bpermute_b32 v3, v38, v3
	s_waitcnt lgkmcnt(0)
	v_cndmask_b32_e64 v3, v3, v58, s8
	s_delay_alu instid0(VALU_DEP_1) | instskip(NEXT) | instid1(VALU_DEP_1)
	v_cndmask_b32_e64 v3, v3, 0, s9
	v_add_nc_u32_e32 v4, v3, v4
	s_delay_alu instid0(VALU_DEP_1) | instskip(NEXT) | instid1(VALU_DEP_1)
	v_add_nc_u32_e32 v5, v4, v5
	v_add_nc_u32_e32 v6, v5, v6
	s_delay_alu instid0(VALU_DEP_1) | instskip(SKIP_3) | instid1(VALU_DEP_4)
	v_add_nc_u32_e32 v58, v6, v7
	v_lshlrev_b32_e32 v7, 3, v12
	v_lshlrev_b32_e32 v12, 3, v13
	;; [unrolled: 1-line block ×3, first 2 shown]
	v_add_nc_u32_e32 v59, v58, v0
	s_delay_alu instid0(VALU_DEP_1) | instskip(NEXT) | instid1(VALU_DEP_1)
	v_add_nc_u32_e32 v0, v59, v1
	v_add_nc_u32_e32 v1, v0, v2
	v_lshlrev_b32_e32 v2, 3, v9
	v_lshlrev_b32_e32 v9, 3, v10
	ds_store_2addr_b64 v33, v[3:4], v[5:6] offset0:8 offset1:9
	ds_store_2addr_b64 v36, v[58:59], v[0:1] offset0:2 offset1:3
	s_waitcnt lgkmcnt(0)
	s_barrier
	buffer_gl0_inv
	ds_load_b32 v0, v8
	ds_load_b32 v1, v11
	;; [unrolled: 1-line block ×8, first 2 shown]
	v_lshlrev_b32_e32 v11, 3, v14
	v_lshlrev_b32_e32 v14, 3, v43
	;; [unrolled: 1-line block ×9, first 2 shown]
	s_waitcnt lgkmcnt(0)
	v_lshl_add_u32 v43, v0, 3, v2
	v_lshlrev_b32_e32 v0, 3, v1
	v_lshlrev_b32_e32 v1, 3, v3
	;; [unrolled: 1-line block ×7, first 2 shown]
	v_add3_u32 v44, v7, v9, v0
	v_add3_u32 v45, v11, v12, v1
	;; [unrolled: 1-line block ×7, first 2 shown]
	s_cbranch_scc0 .LBB382_3
; %bb.27:                               ;   in Loop: Header=BB382_2 Depth=1
                                        ; implicit-def: $sgpr24
                                        ; implicit-def: $vgpr0_vgpr1
                                        ; implicit-def: $vgpr4_vgpr5
                                        ; implicit-def: $vgpr8_vgpr9
                                        ; implicit-def: $vgpr12_vgpr13
                                        ; implicit-def: $sgpr23
                                        ; implicit-def: $sgpr22
	s_branch .LBB382_1
.LBB382_28:
	s_add_u32 s0, s18, s14
	s_addc_u32 s1, s19, s15
	v_add_co_u32 v0, s2, s0, v32
	s_delay_alu instid0(VALU_DEP_1) | instskip(NEXT) | instid1(VALU_DEP_2)
	v_add_co_ci_u32_e64 v24, null, s1, 0, s2
	v_add_co_u32 v17, vcc_lo, v0, 0x2000
	s_delay_alu instid0(VALU_DEP_2)
	v_add_co_ci_u32_e32 v18, vcc_lo, 0, v24, vcc_lo
	v_add_co_u32 v19, vcc_lo, v0, 0x4000
	v_add_co_ci_u32_e32 v20, vcc_lo, 0, v24, vcc_lo
	v_add_co_u32 v21, vcc_lo, v0, 0x6000
	;; [unrolled: 2-line block ×3, first 2 shown]
	v_add_co_ci_u32_e32 v24, vcc_lo, 0, v24, vcc_lo
	s_clause 0x7
	global_store_b64 v32, v[13:14], s[0:1]
	global_store_b64 v[17:18], v[9:10], off
	global_store_b64 v[19:20], v[11:12], off offset:-4096
	global_store_b64 v[19:20], v[5:6], off
	global_store_b64 v[21:22], v[7:8], off offset:-4096
	;; [unrolled: 2-line block ×3, first 2 shown]
	global_store_b64 v[23:24], v[3:4], off
	s_nop 0
	s_sendmsg sendmsg(MSG_DEALLOC_VGPRS)
	s_endpgm
	.section	.rodata,"a",@progbits
	.p2align	6, 0x0
	.amdhsa_kernel _Z16sort_keys_kernelI22helper_blocked_stripedN15benchmark_utils11custom_typeIiiEELj512ELj8ELj10EEvPKT0_PS4_
		.amdhsa_group_segment_fixed_size 32768
		.amdhsa_private_segment_fixed_size 0
		.amdhsa_kernarg_size 272
		.amdhsa_user_sgpr_count 15
		.amdhsa_user_sgpr_dispatch_ptr 0
		.amdhsa_user_sgpr_queue_ptr 0
		.amdhsa_user_sgpr_kernarg_segment_ptr 1
		.amdhsa_user_sgpr_dispatch_id 0
		.amdhsa_user_sgpr_private_segment_size 0
		.amdhsa_wavefront_size32 1
		.amdhsa_uses_dynamic_stack 0
		.amdhsa_enable_private_segment 0
		.amdhsa_system_sgpr_workgroup_id_x 1
		.amdhsa_system_sgpr_workgroup_id_y 0
		.amdhsa_system_sgpr_workgroup_id_z 0
		.amdhsa_system_sgpr_workgroup_info 0
		.amdhsa_system_vgpr_workitem_id 2
		.amdhsa_next_free_vgpr 60
		.amdhsa_next_free_sgpr 29
		.amdhsa_reserve_vcc 1
		.amdhsa_float_round_mode_32 0
		.amdhsa_float_round_mode_16_64 0
		.amdhsa_float_denorm_mode_32 3
		.amdhsa_float_denorm_mode_16_64 3
		.amdhsa_dx10_clamp 1
		.amdhsa_ieee_mode 1
		.amdhsa_fp16_overflow 0
		.amdhsa_workgroup_processor_mode 1
		.amdhsa_memory_ordered 1
		.amdhsa_forward_progress 0
		.amdhsa_shared_vgpr_count 0
		.amdhsa_exception_fp_ieee_invalid_op 0
		.amdhsa_exception_fp_denorm_src 0
		.amdhsa_exception_fp_ieee_div_zero 0
		.amdhsa_exception_fp_ieee_overflow 0
		.amdhsa_exception_fp_ieee_underflow 0
		.amdhsa_exception_fp_ieee_inexact 0
		.amdhsa_exception_int_div_zero 0
	.end_amdhsa_kernel
	.section	.text._Z16sort_keys_kernelI22helper_blocked_stripedN15benchmark_utils11custom_typeIiiEELj512ELj8ELj10EEvPKT0_PS4_,"axG",@progbits,_Z16sort_keys_kernelI22helper_blocked_stripedN15benchmark_utils11custom_typeIiiEELj512ELj8ELj10EEvPKT0_PS4_,comdat
.Lfunc_end382:
	.size	_Z16sort_keys_kernelI22helper_blocked_stripedN15benchmark_utils11custom_typeIiiEELj512ELj8ELj10EEvPKT0_PS4_, .Lfunc_end382-_Z16sort_keys_kernelI22helper_blocked_stripedN15benchmark_utils11custom_typeIiiEELj512ELj8ELj10EEvPKT0_PS4_
                                        ; -- End function
	.section	.AMDGPU.csdata,"",@progbits
; Kernel info:
; codeLenInByte = 5204
; NumSgprs: 31
; NumVgprs: 60
; ScratchSize: 0
; MemoryBound: 0
; FloatMode: 240
; IeeeMode: 1
; LDSByteSize: 32768 bytes/workgroup (compile time only)
; SGPRBlocks: 3
; VGPRBlocks: 7
; NumSGPRsForWavesPerEU: 31
; NumVGPRsForWavesPerEU: 60
; Occupancy: 16
; WaveLimiterHint : 1
; COMPUTE_PGM_RSRC2:SCRATCH_EN: 0
; COMPUTE_PGM_RSRC2:USER_SGPR: 15
; COMPUTE_PGM_RSRC2:TRAP_HANDLER: 0
; COMPUTE_PGM_RSRC2:TGID_X_EN: 1
; COMPUTE_PGM_RSRC2:TGID_Y_EN: 0
; COMPUTE_PGM_RSRC2:TGID_Z_EN: 0
; COMPUTE_PGM_RSRC2:TIDIG_COMP_CNT: 2
	.section	.text._Z17sort_pairs_kernelI22helper_blocked_stripedN15benchmark_utils11custom_typeIiiEELj512ELj8ELj10EEvPKT0_PS4_,"axG",@progbits,_Z17sort_pairs_kernelI22helper_blocked_stripedN15benchmark_utils11custom_typeIiiEELj512ELj8ELj10EEvPKT0_PS4_,comdat
	.protected	_Z17sort_pairs_kernelI22helper_blocked_stripedN15benchmark_utils11custom_typeIiiEELj512ELj8ELj10EEvPKT0_PS4_ ; -- Begin function _Z17sort_pairs_kernelI22helper_blocked_stripedN15benchmark_utils11custom_typeIiiEELj512ELj8ELj10EEvPKT0_PS4_
	.globl	_Z17sort_pairs_kernelI22helper_blocked_stripedN15benchmark_utils11custom_typeIiiEELj512ELj8ELj10EEvPKT0_PS4_
	.p2align	8
	.type	_Z17sort_pairs_kernelI22helper_blocked_stripedN15benchmark_utils11custom_typeIiiEELj512ELj8ELj10EEvPKT0_PS4_,@function
_Z17sort_pairs_kernelI22helper_blocked_stripedN15benchmark_utils11custom_typeIiiEELj512ELj8ELj10EEvPKT0_PS4_: ; @_Z17sort_pairs_kernelI22helper_blocked_stripedN15benchmark_utils11custom_typeIiiEELj512ELj8ELj10EEvPKT0_PS4_
; %bb.0:
	s_clause 0x1
	s_load_b128 s[16:19], s[0:1], 0x0
	s_load_b32 s9, s[0:1], 0x1c
	v_mbcnt_lo_u32_b32 v18, -1, 0
	s_mov_b32 s21, 0
	s_lshl_b32 s20, s15, 12
	v_bfe_u32 v19, v0, 10, 10
	s_lshl_b64 s[14:15], s[20:21], 3
	v_add_nc_u32_e32 v22, -1, v18
	v_and_b32_e32 v20, 15, v18
	v_and_b32_e32 v21, 16, v18
	s_mov_b32 s20, s21
	s_mov_b32 s13, s21
	v_cmp_gt_i32_e32 vcc_lo, 0, v22
	v_and_b32_e32 v17, 0x3ff, v0
	v_bfe_u32 v0, v0, 20, 10
	v_cmp_lt_u32_e64 s2, 1, v20
	v_cmp_lt_u32_e64 s3, 3, v20
	;; [unrolled: 1-line block ×3, first 2 shown]
	v_lshlrev_b32_e32 v1, 6, v17
	v_cmp_eq_u32_e64 s5, 0, v21
	s_waitcnt lgkmcnt(0)
	s_add_u32 s0, s16, s14
	s_addc_u32 s1, s17, s15
	s_lshr_b32 s10, s9, 16
	s_clause 0x3
	global_load_b128 v[5:8], v1, s[0:1]
	global_load_b128 v[9:12], v1, s[0:1] offset:16
	global_load_b128 v[13:16], v1, s[0:1] offset:32
	;; [unrolled: 1-line block ×3, first 2 shown]
	v_cmp_eq_u32_e64 s1, 0, v20
	v_cndmask_b32_e32 v20, v22, v18, vcc_lo
	v_lshlrev_b32_e32 v64, 3, v17
	v_and_b32_e32 v23, 0x1e0, v17
	v_mad_u32_u24 v0, v0, s10, v19
	v_lshlrev_b32_e32 v65, 5, v17
	v_lshrrev_b32_e32 v21, 3, v17
	s_and_b32 s9, s9, 0xffff
	v_cmp_eq_u32_e64 s0, 0, v18
	v_or_b32_e32 v22, v18, v23
	v_and_or_b32 v24, 0xf00, v64, v18
	v_mad_u64_u32 v[18:19], null, v0, s9, v[17:18]
	v_lshlrev_b32_e32 v33, 2, v17
	v_or_b32_e32 v23, 31, v23
	v_and_b32_e32 v68, 60, v21
	v_mad_i32_i24 v69, 0xffffffe4, v17, v65
	v_cmp_gt_u32_e64 s6, 16, v17
	v_cmp_lt_u32_e64 s7, 31, v17
	v_cmp_eq_u32_e64 s8, 0, v17
	v_add_nc_u32_e32 v66, 64, v65
	v_lshlrev_b32_e32 v67, 2, v20
	v_lshlrev_b32_e32 v70, 6, v22
	;; [unrolled: 1-line block ×3, first 2 shown]
	v_cmp_eq_u32_e64 s9, v23, v17
	v_add_nc_u32_e32 v72, -4, v68
	v_lshrrev_b32_e32 v73, 5, v18
	v_add_nc_u32_e32 v74, v69, v33
	s_mov_b32 s16, s21
	s_mov_b32 s17, s21
	s_waitcnt vmcnt(3)
	v_add_nc_u32_e32 v30, 1, v6
	v_add_nc_u32_e32 v29, 1, v5
	v_add_nc_u32_e32 v32, 1, v8
	v_add_nc_u32_e32 v31, 1, v7
	s_waitcnt vmcnt(2)
	v_add_nc_u32_e32 v26, 1, v10
	v_add_nc_u32_e32 v25, 1, v9
	v_add_nc_u32_e32 v28, 1, v12
	v_add_nc_u32_e32 v27, 1, v11
	;; [unrolled: 5-line block ×4, first 2 shown]
	s_branch .LBB383_2
.LBB383_1:                              ;   in Loop: Header=BB383_2 Depth=1
	s_barrier
	buffer_gl0_inv
	ds_store_b64 v75, v[44:45]
	ds_store_b64 v76, v[52:53]
	;; [unrolled: 1-line block ×8, first 2 shown]
	s_waitcnt lgkmcnt(0)
	s_barrier
	buffer_gl0_inv
	ds_load_2addr_stride64_b64 v[0:3], v74 offset1:8
	ds_load_2addr_stride64_b64 v[9:12], v74 offset0:16 offset1:24
	ds_load_2addr_stride64_b64 v[13:16], v74 offset0:32 offset1:40
	;; [unrolled: 1-line block ×3, first 2 shown]
	s_waitcnt lgkmcnt(0)
	s_barrier
	buffer_gl0_inv
	ds_store_b64 v75, v[34:35]
	ds_store_b64 v76, v[32:33]
	;; [unrolled: 1-line block ×8, first 2 shown]
	s_waitcnt lgkmcnt(0)
	s_barrier
	buffer_gl0_inv
	ds_load_2addr_stride64_b64 v[29:32], v74 offset1:8
	ds_load_2addr_stride64_b64 v[25:28], v74 offset0:16 offset1:24
	ds_load_2addr_stride64_b64 v[21:24], v74 offset0:32 offset1:40
	;; [unrolled: 1-line block ×3, first 2 shown]
	s_add_i32 s13, s13, 1
	s_delay_alu instid0(SALU_CYCLE_1)
	s_cmp_lg_u32 s13, 10
	v_xor_b32_e32 v5, 0x80000000, v0
	v_xor_b32_e32 v6, 0x80000000, v1
	v_xor_b32_e32 v7, 0x80000000, v2
	v_xor_b32_e32 v8, 0x80000000, v3
	v_xor_b32_e32 v9, 0x80000000, v9
	v_xor_b32_e32 v10, 0x80000000, v10
	v_xor_b32_e32 v11, 0x80000000, v11
	v_xor_b32_e32 v12, 0x80000000, v12
	v_xor_b32_e32 v13, 0x80000000, v13
	v_xor_b32_e32 v14, 0x80000000, v14
	v_xor_b32_e32 v15, 0x80000000, v15
	v_xor_b32_e32 v16, 0x80000000, v16
	v_xor_b32_e32 v1, 0x80000000, v50
	v_xor_b32_e32 v2, 0x80000000, v51
	v_xor_b32_e32 v3, 0x80000000, v52
	v_xor_b32_e32 v4, 0x80000000, v53
	s_cbranch_scc0 .LBB383_28
.LBB383_2:                              ; =>This Loop Header: Depth=1
                                        ;     Child Loop BB383_4 Depth 2
	v_xor_b32_e32 v6, 0x80000000, v6
	v_xor_b32_e32 v5, 0x80000000, v5
	v_xor_b32_e32 v8, 0x80000000, v8
	v_xor_b32_e32 v7, 0x80000000, v7
	v_xor_b32_e32 v10, 0x80000000, v10
	v_xor_b32_e32 v9, 0x80000000, v9
	v_xor_b32_e32 v12, 0x80000000, v12
	v_xor_b32_e32 v11, 0x80000000, v11
	v_xor_b32_e32 v14, 0x80000000, v14
	v_xor_b32_e32 v13, 0x80000000, v13
	v_xor_b32_e32 v16, 0x80000000, v16
	v_xor_b32_e32 v15, 0x80000000, v15
	v_xor_b32_e32 v2, 0x80000000, v2
	v_xor_b32_e32 v1, 0x80000000, v1
	v_xor_b32_e32 v4, 0x80000000, v4
	v_xor_b32_e32 v3, 0x80000000, v3
	ds_store_2addr_b64 v70, v[5:6], v[7:8] offset1:1
	ds_store_2addr_b64 v70, v[9:10], v[11:12] offset0:2 offset1:3
	ds_store_2addr_b64 v70, v[13:14], v[15:16] offset0:4 offset1:5
	;; [unrolled: 1-line block ×3, first 2 shown]
	; wave barrier
	ds_load_2addr_b64 v[0:3], v71 offset1:32
	ds_load_2addr_b64 v[4:7], v71 offset0:64 offset1:96
	ds_load_2addr_b64 v[8:11], v71 offset0:128 offset1:160
	;; [unrolled: 1-line block ×3, first 2 shown]
	; wave barrier
	s_waitcnt lgkmcnt(11)
	ds_store_2addr_b64 v70, v[29:30], v[31:32] offset1:1
	s_waitcnt lgkmcnt(11)
	ds_store_2addr_b64 v70, v[25:26], v[27:28] offset0:2 offset1:3
	s_waitcnt lgkmcnt(11)
	ds_store_2addr_b64 v70, v[21:22], v[23:24] offset0:4 offset1:5
	;; [unrolled: 2-line block ×3, first 2 shown]
	; wave barrier
	ds_load_2addr_b64 v[20:23], v71 offset1:32
	ds_load_2addr_b64 v[24:27], v71 offset0:64 offset1:96
	ds_load_2addr_b64 v[28:31], v71 offset0:128 offset1:160
	;; [unrolled: 1-line block ×3, first 2 shown]
	s_mov_b32 s22, 8
	s_mov_b32 s23, 32
	;; [unrolled: 1-line block ×3, first 2 shown]
	s_waitcnt lgkmcnt(0)
	s_barrier
	s_branch .LBB383_4
.LBB383_3:                              ;   in Loop: Header=BB383_4 Depth=2
	s_barrier
	buffer_gl0_inv
	ds_store_b64 v75, v[44:45]
	ds_store_b64 v76, v[52:53]
	;; [unrolled: 1-line block ×8, first 2 shown]
	s_waitcnt lgkmcnt(0)
	s_barrier
	buffer_gl0_inv
	ds_load_2addr_b64 v[0:3], v71 offset1:32
	ds_load_2addr_b64 v[4:7], v71 offset0:64 offset1:96
	ds_load_2addr_b64 v[8:11], v71 offset0:128 offset1:160
	;; [unrolled: 1-line block ×3, first 2 shown]
	s_waitcnt lgkmcnt(0)
	s_barrier
	buffer_gl0_inv
	ds_store_b64 v75, v[34:35]
	ds_store_b64 v76, v[32:33]
	;; [unrolled: 1-line block ×8, first 2 shown]
	s_waitcnt lgkmcnt(0)
	s_barrier
	buffer_gl0_inv
	ds_load_2addr_b64 v[20:23], v71 offset1:32
	ds_load_2addr_b64 v[24:27], v71 offset0:64 offset1:96
	ds_load_2addr_b64 v[28:31], v71 offset0:128 offset1:160
	;; [unrolled: 1-line block ×3, first 2 shown]
	s_add_i32 s23, s23, -8
	s_add_i32 s22, s22, 8
	s_add_i32 s24, s24, 8
	s_waitcnt lgkmcnt(0)
	s_barrier
	s_cbranch_execz .LBB383_1
.LBB383_4:                              ;   Parent Loop BB383_2 Depth=1
                                        ; =>  This Inner Loop Header: Depth=2
	s_min_i32 s11, s22, 32
	s_cmp_lt_u32 s24, 32
	v_dual_mov_b32 v45, v1 :: v_dual_mov_b32 v44, v0
	s_cselect_b32 vcc_lo, -1, 0
	s_cmp_gt_u32 s24, 24
	v_mov_b32_e32 v35, v21
	s_cselect_b32 s10, -1, 0
	s_sub_i32 s11, s11, 32
	v_lshrrev_b32_e32 v1, s24, v45
	s_add_i32 s12, s11, s23
	v_dual_mov_b32 v41, v27 :: v_dual_mov_b32 v40, v26
	s_lshl_b32 s12, -1, s12
	v_dual_mov_b32 v43, v25 :: v_dual_mov_b32 v42, v24
	s_not_b32 s12, s12
	s_cmp_lg_u32 s11, s24
	v_mov_b32_e32 v34, v20
	s_cselect_b32 s25, s12, -1
	s_max_i32 s26, s23, 0
	s_max_i32 s11, s24, 32
	v_and_b32_e32 v1, s25, v1
	s_sub_i32 s12, s11, s26
	s_sub_i32 s27, s11, 32
	;; [unrolled: 1-line block ×3, first 2 shown]
	v_lshrrev_b32_e32 v0, s27, v44
	s_min_i32 s11, s12, 32
	buffer_gl0_inv
	s_sub_i32 s11, s11, s27
	v_dual_mov_b32 v39, v29 :: v_dual_mov_b32 v38, v28
	s_lshl_b32 s12, -1, s11
	v_cndmask_b32_e32 v1, 0, v1, vcc_lo
	s_not_b32 s12, s12
	s_cmp_lg_u32 s11, 32
	v_mov_b32_e32 v33, v23
	s_cselect_b32 s28, s12, -1
	v_mov_b32_e32 v32, v22
	v_dual_mov_b32 v37, v31 :: v_dual_and_b32 v0, s28, v0
	v_dual_mov_b32 v36, v30 :: v_dual_mov_b32 v47, v17
	s_delay_alu instid0(VALU_DEP_2) | instskip(SKIP_3) | instid1(VALU_DEP_4)
	v_dual_mov_b32 v49, v19 :: v_dual_lshlrev_b32 v0, s26, v0
	v_mov_b32_e32 v53, v3
	v_dual_mov_b32 v51, v5 :: v_dual_mov_b32 v46, v16
	v_mov_b32_e32 v48, v18
	v_cndmask_b32_e64 v0, 0, v0, s10
	v_mov_b32_e32 v52, v2
	v_dual_mov_b32 v50, v4 :: v_dual_mov_b32 v59, v7
	v_mov_b32_e32 v58, v6
	s_delay_alu instid0(VALU_DEP_4) | instskip(SKIP_2) | instid1(VALU_DEP_3)
	v_or_b32_e32 v20, v1, v0
	v_dual_mov_b32 v57, v9 :: v_dual_mov_b32 v56, v8
	v_dual_mov_b32 v55, v11 :: v_dual_mov_b32 v54, v10
	v_and_b32_e32 v0, 1, v20
	v_lshlrev_b32_e32 v1, 30, v20
	v_lshlrev_b32_e32 v21, 29, v20
	;; [unrolled: 1-line block ×4, first 2 shown]
	v_add_co_u32 v0, s11, v0, -1
	s_delay_alu instid0(VALU_DEP_1)
	v_cndmask_b32_e64 v23, 0, 1, s11
	v_not_b32_e32 v27, v1
	v_cmp_gt_i32_e64 s12, 0, v1
	v_not_b32_e32 v1, v21
	v_lshlrev_b32_e32 v25, 26, v20
	v_cmp_ne_u32_e64 s11, 0, v23
	v_ashrrev_i32_e32 v27, 31, v27
	v_lshlrev_b32_e32 v26, 25, v20
	v_ashrrev_i32_e32 v1, 31, v1
	v_lshlrev_b32_e32 v23, 24, v20
	v_xor_b32_e32 v0, s11, v0
	v_cmp_gt_i32_e64 s11, 0, v21
	v_not_b32_e32 v21, v22
	v_xor_b32_e32 v27, s12, v27
	v_cmp_gt_i32_e64 s12, 0, v22
	v_and_b32_e32 v0, exec_lo, v0
	v_not_b32_e32 v22, v24
	v_ashrrev_i32_e32 v21, 31, v21
	v_xor_b32_e32 v1, s11, v1
	v_cmp_gt_i32_e64 s11, 0, v24
	v_and_b32_e32 v0, v0, v27
	v_not_b32_e32 v24, v25
	v_ashrrev_i32_e32 v22, 31, v22
	v_xor_b32_e32 v21, s12, v21
	v_cmp_gt_i32_e64 s12, 0, v25
	v_and_b32_e32 v0, v0, v1
	;; [unrolled: 5-line block ×4, first 2 shown]
	v_ashrrev_i32_e32 v16, 31, v21
	v_xor_b32_e32 v1, s11, v1
	v_mov_b32_e32 v63, v13
	s_delay_alu instid0(VALU_DEP_4) | instskip(NEXT) | instid1(VALU_DEP_4)
	v_dual_mov_b32 v61, v15 :: v_dual_and_b32 v0, v0, v24
	v_xor_b32_e32 v3, s12, v16
	v_mov_b32_e32 v62, v12
	v_mov_b32_e32 v60, v14
	s_delay_alu instid0(VALU_DEP_4) | instskip(SKIP_1) | instid1(VALU_DEP_2)
	v_dual_mov_b32 v1, s20 :: v_dual_and_b32 v0, v0, v1
	v_mov_b32_e32 v2, s21
	v_dual_mov_b32 v3, s16 :: v_dual_and_b32 v0, v0, v3
	v_mov_b32_e32 v4, s17
	ds_store_2addr_b64 v65, v[1:2], v[3:4] offset0:8 offset1:9
	ds_store_2addr_b64 v66, v[1:2], v[3:4] offset0:2 offset1:3
	v_mbcnt_lo_u32_b32 v9, v0, 0
	v_lshl_add_u32 v1, v20, 4, v73
	v_cmp_ne_u32_e64 s12, 0, v0
	s_waitcnt lgkmcnt(0)
	s_barrier
	v_cmp_eq_u32_e64 s11, 0, v9
	v_lshl_add_u32 v8, v1, 2, 64
	buffer_gl0_inv
	; wave barrier
	s_and_b32 s12, s11, s12
	s_delay_alu instid0(SALU_CYCLE_1)
	s_and_saveexec_b32 s11, s12
	s_cbranch_execz .LBB383_6
; %bb.5:                                ;   in Loop: Header=BB383_4 Depth=2
	v_bcnt_u32_b32 v0, v0, 0
	ds_store_b32 v8, v0
.LBB383_6:                              ;   in Loop: Header=BB383_4 Depth=2
	s_or_b32 exec_lo, exec_lo, s11
	v_lshrrev_b32_e32 v0, s27, v52
	v_lshrrev_b32_e32 v1, s24, v53
	; wave barrier
	s_delay_alu instid0(VALU_DEP_1) | instskip(NEXT) | instid1(VALU_DEP_1)
	v_and_b32_e32 v1, s25, v1
	v_dual_cndmask_b32 v1, 0, v1 :: v_dual_and_b32 v0, s28, v0
	s_delay_alu instid0(VALU_DEP_1) | instskip(NEXT) | instid1(VALU_DEP_1)
	v_lshlrev_b32_e32 v0, s26, v0
	v_cndmask_b32_e64 v0, 0, v0, s10
	s_delay_alu instid0(VALU_DEP_1) | instskip(NEXT) | instid1(VALU_DEP_1)
	v_or_b32_e32 v0, v1, v0
	v_and_b32_e32 v1, 1, v0
	v_lshlrev_b32_e32 v2, 30, v0
	v_lshlrev_b32_e32 v3, 29, v0
	;; [unrolled: 1-line block ×4, first 2 shown]
	v_add_co_u32 v1, s11, v1, -1
	s_delay_alu instid0(VALU_DEP_1)
	v_cndmask_b32_e64 v5, 0, 1, s11
	v_not_b32_e32 v11, v2
	v_cmp_gt_i32_e64 s12, 0, v2
	v_not_b32_e32 v2, v3
	v_lshlrev_b32_e32 v7, 26, v0
	v_cmp_ne_u32_e64 s11, 0, v5
	v_ashrrev_i32_e32 v11, 31, v11
	v_lshlrev_b32_e32 v10, 25, v0
	v_ashrrev_i32_e32 v2, 31, v2
	v_lshlrev_b32_e32 v5, 24, v0
	v_xor_b32_e32 v1, s11, v1
	v_cmp_gt_i32_e64 s11, 0, v3
	v_not_b32_e32 v3, v4
	v_xor_b32_e32 v11, s12, v11
	v_cmp_gt_i32_e64 s12, 0, v4
	v_and_b32_e32 v1, exec_lo, v1
	v_not_b32_e32 v4, v6
	v_ashrrev_i32_e32 v3, 31, v3
	v_xor_b32_e32 v2, s11, v2
	v_cmp_gt_i32_e64 s11, 0, v6
	v_and_b32_e32 v1, v1, v11
	v_not_b32_e32 v6, v7
	v_ashrrev_i32_e32 v4, 31, v4
	v_xor_b32_e32 v3, s12, v3
	v_cmp_gt_i32_e64 s12, 0, v7
	v_and_b32_e32 v1, v1, v2
	;; [unrolled: 5-line block ×3, first 2 shown]
	v_not_b32_e32 v3, v5
	v_ashrrev_i32_e32 v2, 31, v2
	v_xor_b32_e32 v6, s12, v6
	v_lshlrev_b32_e32 v0, 4, v0
	v_and_b32_e32 v1, v1, v4
	v_cmp_gt_i32_e64 s12, 0, v5
	v_ashrrev_i32_e32 v3, 31, v3
	v_xor_b32_e32 v2, s11, v2
	v_add_lshl_u32 v4, v0, v73, 2
	v_and_b32_e32 v1, v1, v6
	s_delay_alu instid0(VALU_DEP_4) | instskip(SKIP_3) | instid1(VALU_DEP_2)
	v_xor_b32_e32 v0, s12, v3
	ds_load_b32 v10, v4 offset:64
	v_and_b32_e32 v1, v1, v2
	v_add_nc_u32_e32 v11, 64, v4
	; wave barrier
	v_and_b32_e32 v0, v1, v0
	s_delay_alu instid0(VALU_DEP_1) | instskip(SKIP_1) | instid1(VALU_DEP_2)
	v_mbcnt_lo_u32_b32 v12, v0, 0
	v_cmp_ne_u32_e64 s12, 0, v0
	v_cmp_eq_u32_e64 s11, 0, v12
	s_delay_alu instid0(VALU_DEP_1) | instskip(NEXT) | instid1(SALU_CYCLE_1)
	s_and_b32 s12, s11, s12
	s_and_saveexec_b32 s11, s12
	s_cbranch_execz .LBB383_8
; %bb.7:                                ;   in Loop: Header=BB383_4 Depth=2
	s_waitcnt lgkmcnt(0)
	v_bcnt_u32_b32 v0, v0, v10
	ds_store_b32 v11, v0
.LBB383_8:                              ;   in Loop: Header=BB383_4 Depth=2
	s_or_b32 exec_lo, exec_lo, s11
	v_lshrrev_b32_e32 v0, s27, v50
	v_lshrrev_b32_e32 v1, s24, v51
	; wave barrier
	s_delay_alu instid0(VALU_DEP_1) | instskip(NEXT) | instid1(VALU_DEP_1)
	v_and_b32_e32 v1, s25, v1
	v_dual_cndmask_b32 v1, 0, v1 :: v_dual_and_b32 v0, s28, v0
	s_delay_alu instid0(VALU_DEP_1) | instskip(NEXT) | instid1(VALU_DEP_1)
	v_lshlrev_b32_e32 v0, s26, v0
	v_cndmask_b32_e64 v0, 0, v0, s10
	s_delay_alu instid0(VALU_DEP_1) | instskip(NEXT) | instid1(VALU_DEP_1)
	v_or_b32_e32 v0, v1, v0
	v_and_b32_e32 v1, 1, v0
	v_lshlrev_b32_e32 v2, 30, v0
	v_lshlrev_b32_e32 v3, 29, v0
	;; [unrolled: 1-line block ×4, first 2 shown]
	v_add_co_u32 v1, s11, v1, -1
	s_delay_alu instid0(VALU_DEP_1)
	v_cndmask_b32_e64 v5, 0, 1, s11
	v_not_b32_e32 v14, v2
	v_cmp_gt_i32_e64 s12, 0, v2
	v_not_b32_e32 v2, v3
	v_lshlrev_b32_e32 v7, 26, v0
	v_cmp_ne_u32_e64 s11, 0, v5
	v_ashrrev_i32_e32 v14, 31, v14
	v_lshlrev_b32_e32 v13, 25, v0
	v_ashrrev_i32_e32 v2, 31, v2
	v_lshlrev_b32_e32 v5, 24, v0
	v_xor_b32_e32 v1, s11, v1
	v_cmp_gt_i32_e64 s11, 0, v3
	v_not_b32_e32 v3, v4
	v_xor_b32_e32 v14, s12, v14
	v_cmp_gt_i32_e64 s12, 0, v4
	v_and_b32_e32 v1, exec_lo, v1
	v_not_b32_e32 v4, v6
	v_ashrrev_i32_e32 v3, 31, v3
	v_xor_b32_e32 v2, s11, v2
	v_cmp_gt_i32_e64 s11, 0, v6
	v_and_b32_e32 v1, v1, v14
	v_not_b32_e32 v6, v7
	v_ashrrev_i32_e32 v4, 31, v4
	v_xor_b32_e32 v3, s12, v3
	v_cmp_gt_i32_e64 s12, 0, v7
	v_and_b32_e32 v1, v1, v2
	;; [unrolled: 5-line block ×3, first 2 shown]
	v_not_b32_e32 v3, v5
	v_ashrrev_i32_e32 v2, 31, v2
	v_xor_b32_e32 v6, s12, v6
	v_lshlrev_b32_e32 v0, 4, v0
	v_and_b32_e32 v1, v1, v4
	v_cmp_gt_i32_e64 s12, 0, v5
	v_ashrrev_i32_e32 v3, 31, v3
	v_xor_b32_e32 v2, s11, v2
	v_add_lshl_u32 v4, v0, v73, 2
	v_and_b32_e32 v1, v1, v6
	s_delay_alu instid0(VALU_DEP_4) | instskip(SKIP_3) | instid1(VALU_DEP_2)
	v_xor_b32_e32 v0, s12, v3
	ds_load_b32 v13, v4 offset:64
	v_and_b32_e32 v1, v1, v2
	v_add_nc_u32_e32 v15, 64, v4
	; wave barrier
	v_and_b32_e32 v0, v1, v0
	s_delay_alu instid0(VALU_DEP_1) | instskip(SKIP_1) | instid1(VALU_DEP_2)
	v_mbcnt_lo_u32_b32 v14, v0, 0
	v_cmp_ne_u32_e64 s12, 0, v0
	v_cmp_eq_u32_e64 s11, 0, v14
	s_delay_alu instid0(VALU_DEP_1) | instskip(NEXT) | instid1(SALU_CYCLE_1)
	s_and_b32 s12, s11, s12
	s_and_saveexec_b32 s11, s12
	s_cbranch_execz .LBB383_10
; %bb.9:                                ;   in Loop: Header=BB383_4 Depth=2
	s_waitcnt lgkmcnt(0)
	v_bcnt_u32_b32 v0, v0, v13
	ds_store_b32 v15, v0
.LBB383_10:                             ;   in Loop: Header=BB383_4 Depth=2
	s_or_b32 exec_lo, exec_lo, s11
	v_lshrrev_b32_e32 v0, s27, v58
	v_lshrrev_b32_e32 v1, s24, v59
	; wave barrier
	s_delay_alu instid0(VALU_DEP_1) | instskip(NEXT) | instid1(VALU_DEP_1)
	v_and_b32_e32 v1, s25, v1
	v_dual_cndmask_b32 v1, 0, v1 :: v_dual_and_b32 v0, s28, v0
	s_delay_alu instid0(VALU_DEP_1) | instskip(NEXT) | instid1(VALU_DEP_1)
	v_lshlrev_b32_e32 v0, s26, v0
	v_cndmask_b32_e64 v0, 0, v0, s10
	s_delay_alu instid0(VALU_DEP_1) | instskip(NEXT) | instid1(VALU_DEP_1)
	v_or_b32_e32 v0, v1, v0
	v_and_b32_e32 v1, 1, v0
	v_lshlrev_b32_e32 v2, 30, v0
	v_lshlrev_b32_e32 v3, 29, v0
	;; [unrolled: 1-line block ×4, first 2 shown]
	v_add_co_u32 v1, s11, v1, -1
	s_delay_alu instid0(VALU_DEP_1)
	v_cndmask_b32_e64 v5, 0, 1, s11
	v_not_b32_e32 v17, v2
	v_cmp_gt_i32_e64 s12, 0, v2
	v_not_b32_e32 v2, v3
	v_lshlrev_b32_e32 v7, 26, v0
	v_cmp_ne_u32_e64 s11, 0, v5
	v_ashrrev_i32_e32 v17, 31, v17
	v_lshlrev_b32_e32 v16, 25, v0
	v_ashrrev_i32_e32 v2, 31, v2
	v_lshlrev_b32_e32 v5, 24, v0
	v_xor_b32_e32 v1, s11, v1
	v_cmp_gt_i32_e64 s11, 0, v3
	v_not_b32_e32 v3, v4
	v_xor_b32_e32 v17, s12, v17
	v_cmp_gt_i32_e64 s12, 0, v4
	v_and_b32_e32 v1, exec_lo, v1
	v_not_b32_e32 v4, v6
	v_ashrrev_i32_e32 v3, 31, v3
	v_xor_b32_e32 v2, s11, v2
	v_cmp_gt_i32_e64 s11, 0, v6
	v_and_b32_e32 v1, v1, v17
	v_not_b32_e32 v6, v7
	v_ashrrev_i32_e32 v4, 31, v4
	v_xor_b32_e32 v3, s12, v3
	v_cmp_gt_i32_e64 s12, 0, v7
	v_and_b32_e32 v1, v1, v2
	;; [unrolled: 5-line block ×3, first 2 shown]
	v_not_b32_e32 v3, v5
	v_ashrrev_i32_e32 v2, 31, v2
	v_xor_b32_e32 v6, s12, v6
	v_lshlrev_b32_e32 v0, 4, v0
	v_and_b32_e32 v1, v1, v4
	v_cmp_gt_i32_e64 s12, 0, v5
	v_ashrrev_i32_e32 v3, 31, v3
	v_xor_b32_e32 v2, s11, v2
	v_add_lshl_u32 v4, v0, v73, 2
	v_and_b32_e32 v1, v1, v6
	s_delay_alu instid0(VALU_DEP_4) | instskip(SKIP_3) | instid1(VALU_DEP_2)
	v_xor_b32_e32 v0, s12, v3
	ds_load_b32 v16, v4 offset:64
	v_and_b32_e32 v1, v1, v2
	v_add_nc_u32_e32 v18, 64, v4
	; wave barrier
	v_and_b32_e32 v0, v1, v0
	s_delay_alu instid0(VALU_DEP_1) | instskip(SKIP_1) | instid1(VALU_DEP_2)
	v_mbcnt_lo_u32_b32 v17, v0, 0
	v_cmp_ne_u32_e64 s12, 0, v0
	v_cmp_eq_u32_e64 s11, 0, v17
	s_delay_alu instid0(VALU_DEP_1) | instskip(NEXT) | instid1(SALU_CYCLE_1)
	s_and_b32 s12, s11, s12
	s_and_saveexec_b32 s11, s12
	s_cbranch_execz .LBB383_12
; %bb.11:                               ;   in Loop: Header=BB383_4 Depth=2
	s_waitcnt lgkmcnt(0)
	v_bcnt_u32_b32 v0, v0, v16
	ds_store_b32 v18, v0
.LBB383_12:                             ;   in Loop: Header=BB383_4 Depth=2
	s_or_b32 exec_lo, exec_lo, s11
	v_lshrrev_b32_e32 v0, s27, v56
	v_lshrrev_b32_e32 v1, s24, v57
	; wave barrier
	s_delay_alu instid0(VALU_DEP_1) | instskip(NEXT) | instid1(VALU_DEP_1)
	v_and_b32_e32 v1, s25, v1
	v_dual_cndmask_b32 v1, 0, v1 :: v_dual_and_b32 v0, s28, v0
	s_delay_alu instid0(VALU_DEP_1) | instskip(NEXT) | instid1(VALU_DEP_1)
	v_lshlrev_b32_e32 v0, s26, v0
	v_cndmask_b32_e64 v0, 0, v0, s10
	s_delay_alu instid0(VALU_DEP_1) | instskip(NEXT) | instid1(VALU_DEP_1)
	v_or_b32_e32 v0, v1, v0
	v_and_b32_e32 v1, 1, v0
	v_lshlrev_b32_e32 v2, 30, v0
	v_lshlrev_b32_e32 v3, 29, v0
	;; [unrolled: 1-line block ×4, first 2 shown]
	v_add_co_u32 v1, s11, v1, -1
	s_delay_alu instid0(VALU_DEP_1)
	v_cndmask_b32_e64 v5, 0, 1, s11
	v_not_b32_e32 v20, v2
	v_cmp_gt_i32_e64 s12, 0, v2
	v_not_b32_e32 v2, v3
	v_lshlrev_b32_e32 v7, 26, v0
	v_cmp_ne_u32_e64 s11, 0, v5
	v_ashrrev_i32_e32 v20, 31, v20
	v_lshlrev_b32_e32 v19, 25, v0
	v_ashrrev_i32_e32 v2, 31, v2
	v_lshlrev_b32_e32 v5, 24, v0
	v_xor_b32_e32 v1, s11, v1
	v_cmp_gt_i32_e64 s11, 0, v3
	v_not_b32_e32 v3, v4
	v_xor_b32_e32 v20, s12, v20
	v_cmp_gt_i32_e64 s12, 0, v4
	v_and_b32_e32 v1, exec_lo, v1
	v_not_b32_e32 v4, v6
	v_ashrrev_i32_e32 v3, 31, v3
	v_xor_b32_e32 v2, s11, v2
	v_cmp_gt_i32_e64 s11, 0, v6
	v_and_b32_e32 v1, v1, v20
	v_not_b32_e32 v6, v7
	v_ashrrev_i32_e32 v4, 31, v4
	v_xor_b32_e32 v3, s12, v3
	v_cmp_gt_i32_e64 s12, 0, v7
	v_and_b32_e32 v1, v1, v2
	;; [unrolled: 5-line block ×3, first 2 shown]
	v_not_b32_e32 v3, v5
	v_ashrrev_i32_e32 v2, 31, v2
	v_xor_b32_e32 v6, s12, v6
	v_lshlrev_b32_e32 v0, 4, v0
	v_and_b32_e32 v1, v1, v4
	v_cmp_gt_i32_e64 s12, 0, v5
	v_ashrrev_i32_e32 v3, 31, v3
	v_xor_b32_e32 v2, s11, v2
	v_add_lshl_u32 v4, v0, v73, 2
	v_and_b32_e32 v1, v1, v6
	s_delay_alu instid0(VALU_DEP_4) | instskip(SKIP_3) | instid1(VALU_DEP_2)
	v_xor_b32_e32 v0, s12, v3
	ds_load_b32 v19, v4 offset:64
	v_and_b32_e32 v1, v1, v2
	v_add_nc_u32_e32 v21, 64, v4
	; wave barrier
	v_and_b32_e32 v0, v1, v0
	s_delay_alu instid0(VALU_DEP_1) | instskip(SKIP_1) | instid1(VALU_DEP_2)
	v_mbcnt_lo_u32_b32 v20, v0, 0
	v_cmp_ne_u32_e64 s12, 0, v0
	v_cmp_eq_u32_e64 s11, 0, v20
	s_delay_alu instid0(VALU_DEP_1) | instskip(NEXT) | instid1(SALU_CYCLE_1)
	s_and_b32 s12, s11, s12
	s_and_saveexec_b32 s11, s12
	s_cbranch_execz .LBB383_14
; %bb.13:                               ;   in Loop: Header=BB383_4 Depth=2
	s_waitcnt lgkmcnt(0)
	v_bcnt_u32_b32 v0, v0, v19
	ds_store_b32 v21, v0
.LBB383_14:                             ;   in Loop: Header=BB383_4 Depth=2
	s_or_b32 exec_lo, exec_lo, s11
	v_lshrrev_b32_e32 v0, s27, v54
	v_lshrrev_b32_e32 v1, s24, v55
	; wave barrier
	s_delay_alu instid0(VALU_DEP_1) | instskip(NEXT) | instid1(VALU_DEP_1)
	v_and_b32_e32 v1, s25, v1
	v_dual_cndmask_b32 v1, 0, v1 :: v_dual_and_b32 v0, s28, v0
	s_delay_alu instid0(VALU_DEP_1) | instskip(NEXT) | instid1(VALU_DEP_1)
	v_lshlrev_b32_e32 v0, s26, v0
	v_cndmask_b32_e64 v0, 0, v0, s10
	s_delay_alu instid0(VALU_DEP_1) | instskip(NEXT) | instid1(VALU_DEP_1)
	v_or_b32_e32 v0, v1, v0
	v_and_b32_e32 v1, 1, v0
	v_lshlrev_b32_e32 v2, 30, v0
	v_lshlrev_b32_e32 v3, 29, v0
	;; [unrolled: 1-line block ×4, first 2 shown]
	v_add_co_u32 v1, s11, v1, -1
	s_delay_alu instid0(VALU_DEP_1)
	v_cndmask_b32_e64 v5, 0, 1, s11
	v_not_b32_e32 v23, v2
	v_cmp_gt_i32_e64 s12, 0, v2
	v_not_b32_e32 v2, v3
	v_lshlrev_b32_e32 v7, 26, v0
	v_cmp_ne_u32_e64 s11, 0, v5
	v_ashrrev_i32_e32 v23, 31, v23
	v_lshlrev_b32_e32 v22, 25, v0
	v_ashrrev_i32_e32 v2, 31, v2
	v_lshlrev_b32_e32 v5, 24, v0
	v_xor_b32_e32 v1, s11, v1
	v_cmp_gt_i32_e64 s11, 0, v3
	v_not_b32_e32 v3, v4
	v_xor_b32_e32 v23, s12, v23
	v_cmp_gt_i32_e64 s12, 0, v4
	v_and_b32_e32 v1, exec_lo, v1
	v_not_b32_e32 v4, v6
	v_ashrrev_i32_e32 v3, 31, v3
	v_xor_b32_e32 v2, s11, v2
	v_cmp_gt_i32_e64 s11, 0, v6
	v_and_b32_e32 v1, v1, v23
	v_not_b32_e32 v6, v7
	v_ashrrev_i32_e32 v4, 31, v4
	v_xor_b32_e32 v3, s12, v3
	v_cmp_gt_i32_e64 s12, 0, v7
	v_and_b32_e32 v1, v1, v2
	;; [unrolled: 5-line block ×3, first 2 shown]
	v_not_b32_e32 v3, v5
	v_ashrrev_i32_e32 v2, 31, v2
	v_xor_b32_e32 v6, s12, v6
	v_lshlrev_b32_e32 v0, 4, v0
	v_and_b32_e32 v1, v1, v4
	v_cmp_gt_i32_e64 s12, 0, v5
	v_ashrrev_i32_e32 v3, 31, v3
	v_xor_b32_e32 v2, s11, v2
	v_add_lshl_u32 v4, v0, v73, 2
	v_and_b32_e32 v1, v1, v6
	s_delay_alu instid0(VALU_DEP_4) | instskip(SKIP_3) | instid1(VALU_DEP_2)
	v_xor_b32_e32 v0, s12, v3
	ds_load_b32 v22, v4 offset:64
	v_and_b32_e32 v1, v1, v2
	v_add_nc_u32_e32 v24, 64, v4
	; wave barrier
	v_and_b32_e32 v0, v1, v0
	s_delay_alu instid0(VALU_DEP_1) | instskip(SKIP_1) | instid1(VALU_DEP_2)
	v_mbcnt_lo_u32_b32 v23, v0, 0
	v_cmp_ne_u32_e64 s12, 0, v0
	v_cmp_eq_u32_e64 s11, 0, v23
	s_delay_alu instid0(VALU_DEP_1) | instskip(NEXT) | instid1(SALU_CYCLE_1)
	s_and_b32 s12, s11, s12
	s_and_saveexec_b32 s11, s12
	s_cbranch_execz .LBB383_16
; %bb.15:                               ;   in Loop: Header=BB383_4 Depth=2
	s_waitcnt lgkmcnt(0)
	v_bcnt_u32_b32 v0, v0, v22
	ds_store_b32 v24, v0
.LBB383_16:                             ;   in Loop: Header=BB383_4 Depth=2
	s_or_b32 exec_lo, exec_lo, s11
	v_lshrrev_b32_e32 v0, s27, v62
	v_lshrrev_b32_e32 v1, s24, v63
	; wave barrier
	s_delay_alu instid0(VALU_DEP_1) | instskip(NEXT) | instid1(VALU_DEP_1)
	v_and_b32_e32 v1, s25, v1
	v_dual_cndmask_b32 v1, 0, v1 :: v_dual_and_b32 v0, s28, v0
	s_delay_alu instid0(VALU_DEP_1) | instskip(NEXT) | instid1(VALU_DEP_1)
	v_lshlrev_b32_e32 v0, s26, v0
	v_cndmask_b32_e64 v0, 0, v0, s10
	s_delay_alu instid0(VALU_DEP_1) | instskip(NEXT) | instid1(VALU_DEP_1)
	v_or_b32_e32 v0, v1, v0
	v_and_b32_e32 v1, 1, v0
	v_lshlrev_b32_e32 v2, 30, v0
	v_lshlrev_b32_e32 v3, 29, v0
	;; [unrolled: 1-line block ×4, first 2 shown]
	v_add_co_u32 v1, s11, v1, -1
	s_delay_alu instid0(VALU_DEP_1)
	v_cndmask_b32_e64 v5, 0, 1, s11
	v_not_b32_e32 v26, v2
	v_cmp_gt_i32_e64 s12, 0, v2
	v_not_b32_e32 v2, v3
	v_lshlrev_b32_e32 v7, 26, v0
	v_cmp_ne_u32_e64 s11, 0, v5
	v_ashrrev_i32_e32 v26, 31, v26
	v_lshlrev_b32_e32 v25, 25, v0
	v_ashrrev_i32_e32 v2, 31, v2
	v_lshlrev_b32_e32 v5, 24, v0
	v_xor_b32_e32 v1, s11, v1
	v_cmp_gt_i32_e64 s11, 0, v3
	v_not_b32_e32 v3, v4
	v_xor_b32_e32 v26, s12, v26
	v_cmp_gt_i32_e64 s12, 0, v4
	v_and_b32_e32 v1, exec_lo, v1
	v_not_b32_e32 v4, v6
	v_ashrrev_i32_e32 v3, 31, v3
	v_xor_b32_e32 v2, s11, v2
	v_cmp_gt_i32_e64 s11, 0, v6
	v_and_b32_e32 v1, v1, v26
	v_not_b32_e32 v6, v7
	v_ashrrev_i32_e32 v4, 31, v4
	v_xor_b32_e32 v3, s12, v3
	v_cmp_gt_i32_e64 s12, 0, v7
	v_and_b32_e32 v1, v1, v2
	;; [unrolled: 5-line block ×3, first 2 shown]
	v_not_b32_e32 v3, v5
	v_ashrrev_i32_e32 v2, 31, v2
	v_xor_b32_e32 v6, s12, v6
	v_lshlrev_b32_e32 v0, 4, v0
	v_and_b32_e32 v1, v1, v4
	v_cmp_gt_i32_e64 s12, 0, v5
	v_ashrrev_i32_e32 v3, 31, v3
	v_xor_b32_e32 v2, s11, v2
	v_add_lshl_u32 v4, v0, v73, 2
	v_and_b32_e32 v1, v1, v6
	s_delay_alu instid0(VALU_DEP_4) | instskip(SKIP_3) | instid1(VALU_DEP_2)
	v_xor_b32_e32 v0, s12, v3
	ds_load_b32 v25, v4 offset:64
	v_and_b32_e32 v1, v1, v2
	v_add_nc_u32_e32 v27, 64, v4
	; wave barrier
	v_and_b32_e32 v0, v1, v0
	s_delay_alu instid0(VALU_DEP_1) | instskip(SKIP_1) | instid1(VALU_DEP_2)
	v_mbcnt_lo_u32_b32 v26, v0, 0
	v_cmp_ne_u32_e64 s12, 0, v0
	v_cmp_eq_u32_e64 s11, 0, v26
	s_delay_alu instid0(VALU_DEP_1) | instskip(NEXT) | instid1(SALU_CYCLE_1)
	s_and_b32 s12, s11, s12
	s_and_saveexec_b32 s11, s12
	s_cbranch_execz .LBB383_18
; %bb.17:                               ;   in Loop: Header=BB383_4 Depth=2
	s_waitcnt lgkmcnt(0)
	v_bcnt_u32_b32 v0, v0, v25
	ds_store_b32 v27, v0
.LBB383_18:                             ;   in Loop: Header=BB383_4 Depth=2
	s_or_b32 exec_lo, exec_lo, s11
	v_lshrrev_b32_e32 v0, s27, v60
	v_lshrrev_b32_e32 v1, s24, v61
	; wave barrier
	s_delay_alu instid0(VALU_DEP_1) | instskip(NEXT) | instid1(VALU_DEP_1)
	v_and_b32_e32 v1, s25, v1
	v_dual_cndmask_b32 v1, 0, v1 :: v_dual_and_b32 v0, s28, v0
	s_delay_alu instid0(VALU_DEP_1) | instskip(NEXT) | instid1(VALU_DEP_1)
	v_lshlrev_b32_e32 v0, s26, v0
	v_cndmask_b32_e64 v0, 0, v0, s10
	s_delay_alu instid0(VALU_DEP_1) | instskip(NEXT) | instid1(VALU_DEP_1)
	v_or_b32_e32 v0, v1, v0
	v_and_b32_e32 v1, 1, v0
	v_lshlrev_b32_e32 v2, 30, v0
	v_lshlrev_b32_e32 v3, 29, v0
	;; [unrolled: 1-line block ×4, first 2 shown]
	v_add_co_u32 v1, s10, v1, -1
	s_delay_alu instid0(VALU_DEP_1)
	v_cndmask_b32_e64 v5, 0, 1, s10
	v_not_b32_e32 v29, v2
	v_cmp_gt_i32_e64 s10, 0, v2
	v_not_b32_e32 v2, v3
	v_lshlrev_b32_e32 v7, 26, v0
	v_cmp_ne_u32_e32 vcc_lo, 0, v5
	v_ashrrev_i32_e32 v29, 31, v29
	v_lshlrev_b32_e32 v28, 25, v0
	v_ashrrev_i32_e32 v2, 31, v2
	v_lshlrev_b32_e32 v5, 24, v0
	v_xor_b32_e32 v1, vcc_lo, v1
	v_cmp_gt_i32_e32 vcc_lo, 0, v3
	v_not_b32_e32 v3, v4
	v_xor_b32_e32 v29, s10, v29
	v_cmp_gt_i32_e64 s10, 0, v4
	v_and_b32_e32 v1, exec_lo, v1
	v_not_b32_e32 v4, v6
	v_ashrrev_i32_e32 v3, 31, v3
	v_xor_b32_e32 v2, vcc_lo, v2
	v_cmp_gt_i32_e32 vcc_lo, 0, v6
	v_and_b32_e32 v1, v1, v29
	v_not_b32_e32 v6, v7
	v_ashrrev_i32_e32 v4, 31, v4
	v_xor_b32_e32 v3, s10, v3
	v_cmp_gt_i32_e64 s10, 0, v7
	v_and_b32_e32 v1, v1, v2
	v_not_b32_e32 v2, v28
	v_ashrrev_i32_e32 v6, 31, v6
	v_xor_b32_e32 v4, vcc_lo, v4
	v_cmp_gt_i32_e32 vcc_lo, 0, v28
	v_and_b32_e32 v1, v1, v3
	v_not_b32_e32 v3, v5
	v_ashrrev_i32_e32 v2, 31, v2
	v_xor_b32_e32 v6, s10, v6
	v_lshlrev_b32_e32 v0, 4, v0
	v_and_b32_e32 v1, v1, v4
	v_cmp_gt_i32_e64 s10, 0, v5
	v_ashrrev_i32_e32 v3, 31, v3
	v_xor_b32_e32 v2, vcc_lo, v2
	v_add_lshl_u32 v4, v0, v73, 2
	v_and_b32_e32 v1, v1, v6
	s_delay_alu instid0(VALU_DEP_4) | instskip(SKIP_3) | instid1(VALU_DEP_2)
	v_xor_b32_e32 v0, s10, v3
	ds_load_b32 v28, v4 offset:64
	v_and_b32_e32 v1, v1, v2
	v_add_nc_u32_e32 v30, 64, v4
	; wave barrier
	v_and_b32_e32 v0, v1, v0
	s_delay_alu instid0(VALU_DEP_1) | instskip(SKIP_1) | instid1(VALU_DEP_2)
	v_mbcnt_lo_u32_b32 v29, v0, 0
	v_cmp_ne_u32_e64 s10, 0, v0
	v_cmp_eq_u32_e32 vcc_lo, 0, v29
	s_delay_alu instid0(VALU_DEP_2) | instskip(NEXT) | instid1(SALU_CYCLE_1)
	s_and_b32 s11, vcc_lo, s10
	s_and_saveexec_b32 s10, s11
	s_cbranch_execz .LBB383_20
; %bb.19:                               ;   in Loop: Header=BB383_4 Depth=2
	s_waitcnt lgkmcnt(0)
	v_bcnt_u32_b32 v0, v0, v28
	ds_store_b32 v30, v0
.LBB383_20:                             ;   in Loop: Header=BB383_4 Depth=2
	s_or_b32 exec_lo, exec_lo, s10
	; wave barrier
	s_waitcnt lgkmcnt(0)
	s_barrier
	buffer_gl0_inv
	ds_load_2addr_b64 v[4:7], v65 offset0:8 offset1:9
	ds_load_2addr_b64 v[0:3], v66 offset0:2 offset1:3
	s_waitcnt lgkmcnt(1)
	v_add_nc_u32_e32 v31, v5, v4
	s_delay_alu instid0(VALU_DEP_1) | instskip(SKIP_1) | instid1(VALU_DEP_1)
	v_add3_u32 v31, v31, v6, v7
	s_waitcnt lgkmcnt(0)
	v_add3_u32 v31, v31, v0, v1
	s_delay_alu instid0(VALU_DEP_1) | instskip(NEXT) | instid1(VALU_DEP_1)
	v_add3_u32 v3, v31, v2, v3
	v_mov_b32_dpp v31, v3 row_shr:1 row_mask:0xf bank_mask:0xf
	s_delay_alu instid0(VALU_DEP_1) | instskip(NEXT) | instid1(VALU_DEP_1)
	v_cndmask_b32_e64 v31, v31, 0, s1
	v_add_nc_u32_e32 v3, v31, v3
	s_delay_alu instid0(VALU_DEP_1) | instskip(NEXT) | instid1(VALU_DEP_1)
	v_mov_b32_dpp v31, v3 row_shr:2 row_mask:0xf bank_mask:0xf
	v_cndmask_b32_e64 v31, 0, v31, s2
	s_delay_alu instid0(VALU_DEP_1) | instskip(NEXT) | instid1(VALU_DEP_1)
	v_add_nc_u32_e32 v3, v3, v31
	v_mov_b32_dpp v31, v3 row_shr:4 row_mask:0xf bank_mask:0xf
	s_delay_alu instid0(VALU_DEP_1) | instskip(NEXT) | instid1(VALU_DEP_1)
	v_cndmask_b32_e64 v31, 0, v31, s3
	v_add_nc_u32_e32 v3, v3, v31
	s_delay_alu instid0(VALU_DEP_1) | instskip(NEXT) | instid1(VALU_DEP_1)
	v_mov_b32_dpp v31, v3 row_shr:8 row_mask:0xf bank_mask:0xf
	v_cndmask_b32_e64 v31, 0, v31, s4
	s_delay_alu instid0(VALU_DEP_1) | instskip(SKIP_3) | instid1(VALU_DEP_1)
	v_add_nc_u32_e32 v3, v3, v31
	ds_swizzle_b32 v31, v3 offset:swizzle(BROADCAST,32,15)
	s_waitcnt lgkmcnt(0)
	v_cndmask_b32_e64 v31, v31, 0, s5
	v_add_nc_u32_e32 v3, v3, v31
	s_and_saveexec_b32 s10, s9
	s_cbranch_execz .LBB383_22
; %bb.21:                               ;   in Loop: Header=BB383_4 Depth=2
	ds_store_b32 v68, v3
.LBB383_22:                             ;   in Loop: Header=BB383_4 Depth=2
	s_or_b32 exec_lo, exec_lo, s10
	s_waitcnt lgkmcnt(0)
	s_barrier
	buffer_gl0_inv
	s_and_saveexec_b32 s10, s6
	s_cbranch_execz .LBB383_24
; %bb.23:                               ;   in Loop: Header=BB383_4 Depth=2
	ds_load_b32 v31, v69
	s_waitcnt lgkmcnt(0)
	v_mov_b32_dpp v75, v31 row_shr:1 row_mask:0xf bank_mask:0xf
	s_delay_alu instid0(VALU_DEP_1) | instskip(NEXT) | instid1(VALU_DEP_1)
	v_cndmask_b32_e64 v75, v75, 0, s1
	v_add_nc_u32_e32 v31, v75, v31
	s_delay_alu instid0(VALU_DEP_1) | instskip(NEXT) | instid1(VALU_DEP_1)
	v_mov_b32_dpp v75, v31 row_shr:2 row_mask:0xf bank_mask:0xf
	v_cndmask_b32_e64 v75, 0, v75, s2
	s_delay_alu instid0(VALU_DEP_1) | instskip(NEXT) | instid1(VALU_DEP_1)
	v_add_nc_u32_e32 v31, v31, v75
	v_mov_b32_dpp v75, v31 row_shr:4 row_mask:0xf bank_mask:0xf
	s_delay_alu instid0(VALU_DEP_1) | instskip(NEXT) | instid1(VALU_DEP_1)
	v_cndmask_b32_e64 v75, 0, v75, s3
	v_add_nc_u32_e32 v31, v31, v75
	s_delay_alu instid0(VALU_DEP_1) | instskip(NEXT) | instid1(VALU_DEP_1)
	v_mov_b32_dpp v75, v31 row_shr:8 row_mask:0xf bank_mask:0xf
	v_cndmask_b32_e64 v75, 0, v75, s4
	s_delay_alu instid0(VALU_DEP_1)
	v_add_nc_u32_e32 v31, v31, v75
	ds_store_b32 v69, v31
.LBB383_24:                             ;   in Loop: Header=BB383_4 Depth=2
	s_or_b32 exec_lo, exec_lo, s10
	v_mov_b32_e32 v31, 0
	s_waitcnt lgkmcnt(0)
	s_barrier
	buffer_gl0_inv
	s_and_saveexec_b32 s10, s7
	s_cbranch_execz .LBB383_26
; %bb.25:                               ;   in Loop: Header=BB383_4 Depth=2
	ds_load_b32 v31, v72
.LBB383_26:                             ;   in Loop: Header=BB383_4 Depth=2
	s_or_b32 exec_lo, exec_lo, s10
	s_waitcnt lgkmcnt(0)
	v_add_nc_u32_e32 v3, v31, v3
	s_cmp_gt_u32 s24, 55
	ds_bpermute_b32 v3, v67, v3
	s_waitcnt lgkmcnt(0)
	v_cndmask_b32_e64 v3, v3, v31, s0
	s_delay_alu instid0(VALU_DEP_1) | instskip(NEXT) | instid1(VALU_DEP_1)
	v_cndmask_b32_e64 v3, v3, 0, s8
	v_add_nc_u32_e32 v4, v3, v4
	s_delay_alu instid0(VALU_DEP_1) | instskip(NEXT) | instid1(VALU_DEP_1)
	v_add_nc_u32_e32 v5, v4, v5
	v_add_nc_u32_e32 v6, v5, v6
	s_delay_alu instid0(VALU_DEP_1)
	v_add_nc_u32_e32 v75, v6, v7
	v_lshlrev_b32_e32 v7, 3, v12
	v_lshlrev_b32_e32 v12, 3, v13
	;; [unrolled: 1-line block ×4, first 2 shown]
	v_add_nc_u32_e32 v76, v75, v0
	s_delay_alu instid0(VALU_DEP_1) | instskip(NEXT) | instid1(VALU_DEP_1)
	v_add_nc_u32_e32 v0, v76, v1
	v_add_nc_u32_e32 v1, v0, v2
	v_lshlrev_b32_e32 v2, 3, v9
	v_lshlrev_b32_e32 v9, 3, v10
	ds_store_2addr_b64 v65, v[3:4], v[5:6] offset0:8 offset1:9
	ds_store_2addr_b64 v66, v[75:76], v[0:1] offset0:2 offset1:3
	s_waitcnt lgkmcnt(0)
	s_barrier
	buffer_gl0_inv
	ds_load_b32 v0, v8
	ds_load_b32 v1, v11
	;; [unrolled: 1-line block ×8, first 2 shown]
	v_lshlrev_b32_e32 v11, 3, v14
	v_lshlrev_b32_e32 v14, 3, v16
	;; [unrolled: 1-line block ×9, first 2 shown]
	s_waitcnt lgkmcnt(0)
	v_lshl_add_u32 v75, v0, 3, v2
	v_lshlrev_b32_e32 v0, 3, v1
	v_lshlrev_b32_e32 v1, 3, v3
	;; [unrolled: 1-line block ×7, first 2 shown]
	v_add3_u32 v76, v7, v9, v0
	v_add3_u32 v77, v11, v12, v1
	;; [unrolled: 1-line block ×7, first 2 shown]
	s_cbranch_scc0 .LBB383_3
; %bb.27:                               ;   in Loop: Header=BB383_2 Depth=1
                                        ; implicit-def: $sgpr24
                                        ; implicit-def: $vgpr20_vgpr21
                                        ; implicit-def: $vgpr24_vgpr25
                                        ; implicit-def: $vgpr28_vgpr29
                                        ; implicit-def: $vgpr16_vgpr17
                                        ; implicit-def: $vgpr0_vgpr1
                                        ; implicit-def: $vgpr4_vgpr5
                                        ; implicit-def: $vgpr8_vgpr9
                                        ; implicit-def: $vgpr12_vgpr13
                                        ; implicit-def: $sgpr23
                                        ; implicit-def: $sgpr22
	s_branch .LBB383_1
.LBB383_28:
	s_add_u32 s0, s18, s14
	s_waitcnt lgkmcnt(1)
	v_add_nc_u32_e32 v15, v15, v23
	s_addc_u32 s1, s19, s15
	v_add_co_u32 v23, s2, s0, v64
	v_add_nc_u32_e32 v16, v16, v24
	v_add_co_ci_u32_e64 v24, null, s1, 0, s2
	s_waitcnt lgkmcnt(0)
	v_add_nc_u32_e32 v0, v1, v17
	v_add_co_u32 v17, vcc_lo, v23, 0x2000
	v_add_nc_u32_e32 v1, v2, v18
	v_add_co_ci_u32_e32 v18, vcc_lo, 0, v24, vcc_lo
	v_add_nc_u32_e32 v2, v3, v19
	v_add_co_u32 v19, vcc_lo, v23, 0x4000
	v_add_nc_u32_e32 v3, v4, v20
	v_add_co_ci_u32_e32 v20, vcc_lo, 0, v24, vcc_lo
	v_add_nc_u32_e32 v5, v5, v29
	v_add_nc_u32_e32 v6, v6, v30
	;; [unrolled: 1-line block ×3, first 2 shown]
	v_add_co_u32 v21, vcc_lo, v23, 0x6000
	v_add_nc_u32_e32 v9, v9, v25
	v_add_nc_u32_e32 v10, v10, v26
	;; [unrolled: 1-line block ×5, first 2 shown]
	v_add_co_ci_u32_e32 v22, vcc_lo, 0, v24, vcc_lo
	v_add_co_u32 v23, vcc_lo, 0x7000, v23
	v_add_nc_u32_e32 v7, v7, v31
	v_add_nc_u32_e32 v8, v8, v32
	v_add_co_ci_u32_e32 v24, vcc_lo, 0, v24, vcc_lo
	s_clause 0x7
	global_store_b64 v64, v[5:6], s[0:1]
	global_store_b64 v[17:18], v[9:10], off
	global_store_b64 v[19:20], v[11:12], off offset:-4096
	global_store_b64 v[19:20], v[13:14], off
	global_store_b64 v[21:22], v[15:16], off offset:-4096
	;; [unrolled: 2-line block ×3, first 2 shown]
	global_store_b64 v[23:24], v[2:3], off
	s_nop 0
	s_sendmsg sendmsg(MSG_DEALLOC_VGPRS)
	s_endpgm
	.section	.rodata,"a",@progbits
	.p2align	6, 0x0
	.amdhsa_kernel _Z17sort_pairs_kernelI22helper_blocked_stripedN15benchmark_utils11custom_typeIiiEELj512ELj8ELj10EEvPKT0_PS4_
		.amdhsa_group_segment_fixed_size 32768
		.amdhsa_private_segment_fixed_size 0
		.amdhsa_kernarg_size 272
		.amdhsa_user_sgpr_count 15
		.amdhsa_user_sgpr_dispatch_ptr 0
		.amdhsa_user_sgpr_queue_ptr 0
		.amdhsa_user_sgpr_kernarg_segment_ptr 1
		.amdhsa_user_sgpr_dispatch_id 0
		.amdhsa_user_sgpr_private_segment_size 0
		.amdhsa_wavefront_size32 1
		.amdhsa_uses_dynamic_stack 0
		.amdhsa_enable_private_segment 0
		.amdhsa_system_sgpr_workgroup_id_x 1
		.amdhsa_system_sgpr_workgroup_id_y 0
		.amdhsa_system_sgpr_workgroup_id_z 0
		.amdhsa_system_sgpr_workgroup_info 0
		.amdhsa_system_vgpr_workitem_id 2
		.amdhsa_next_free_vgpr 83
		.amdhsa_next_free_sgpr 29
		.amdhsa_reserve_vcc 1
		.amdhsa_float_round_mode_32 0
		.amdhsa_float_round_mode_16_64 0
		.amdhsa_float_denorm_mode_32 3
		.amdhsa_float_denorm_mode_16_64 3
		.amdhsa_dx10_clamp 1
		.amdhsa_ieee_mode 1
		.amdhsa_fp16_overflow 0
		.amdhsa_workgroup_processor_mode 1
		.amdhsa_memory_ordered 1
		.amdhsa_forward_progress 0
		.amdhsa_shared_vgpr_count 0
		.amdhsa_exception_fp_ieee_invalid_op 0
		.amdhsa_exception_fp_denorm_src 0
		.amdhsa_exception_fp_ieee_div_zero 0
		.amdhsa_exception_fp_ieee_overflow 0
		.amdhsa_exception_fp_ieee_underflow 0
		.amdhsa_exception_fp_ieee_inexact 0
		.amdhsa_exception_int_div_zero 0
	.end_amdhsa_kernel
	.section	.text._Z17sort_pairs_kernelI22helper_blocked_stripedN15benchmark_utils11custom_typeIiiEELj512ELj8ELj10EEvPKT0_PS4_,"axG",@progbits,_Z17sort_pairs_kernelI22helper_blocked_stripedN15benchmark_utils11custom_typeIiiEELj512ELj8ELj10EEvPKT0_PS4_,comdat
.Lfunc_end383:
	.size	_Z17sort_pairs_kernelI22helper_blocked_stripedN15benchmark_utils11custom_typeIiiEELj512ELj8ELj10EEvPKT0_PS4_, .Lfunc_end383-_Z17sort_pairs_kernelI22helper_blocked_stripedN15benchmark_utils11custom_typeIiiEELj512ELj8ELj10EEvPKT0_PS4_
                                        ; -- End function
	.section	.AMDGPU.csdata,"",@progbits
; Kernel info:
; codeLenInByte = 5676
; NumSgprs: 31
; NumVgprs: 83
; ScratchSize: 0
; MemoryBound: 0
; FloatMode: 240
; IeeeMode: 1
; LDSByteSize: 32768 bytes/workgroup (compile time only)
; SGPRBlocks: 3
; VGPRBlocks: 10
; NumSGPRsForWavesPerEU: 31
; NumVGPRsForWavesPerEU: 83
; Occupancy: 16
; WaveLimiterHint : 1
; COMPUTE_PGM_RSRC2:SCRATCH_EN: 0
; COMPUTE_PGM_RSRC2:USER_SGPR: 15
; COMPUTE_PGM_RSRC2:TRAP_HANDLER: 0
; COMPUTE_PGM_RSRC2:TGID_X_EN: 1
; COMPUTE_PGM_RSRC2:TGID_Y_EN: 0
; COMPUTE_PGM_RSRC2:TGID_Z_EN: 0
; COMPUTE_PGM_RSRC2:TIDIG_COMP_CNT: 2
	.text
	.p2alignl 7, 3214868480
	.fill 96, 4, 3214868480
	.type	__hip_cuid_c00bcc70d73d4e1a,@object ; @__hip_cuid_c00bcc70d73d4e1a
	.section	.bss,"aw",@nobits
	.globl	__hip_cuid_c00bcc70d73d4e1a
__hip_cuid_c00bcc70d73d4e1a:
	.byte	0                               ; 0x0
	.size	__hip_cuid_c00bcc70d73d4e1a, 1

	.ident	"AMD clang version 19.0.0git (https://github.com/RadeonOpenCompute/llvm-project roc-6.4.0 25133 c7fe45cf4b819c5991fe208aaa96edf142730f1d)"
	.section	".note.GNU-stack","",@progbits
	.addrsig
	.addrsig_sym __hip_cuid_c00bcc70d73d4e1a
	.amdgpu_metadata
---
amdhsa.kernels:
  - .args:
      - .address_space:  global
        .offset:         0
        .size:           8
        .value_kind:     global_buffer
      - .address_space:  global
        .offset:         8
        .size:           8
        .value_kind:     global_buffer
      - .offset:         16
        .size:           4
        .value_kind:     hidden_block_count_x
      - .offset:         20
        .size:           4
        .value_kind:     hidden_block_count_y
      - .offset:         24
        .size:           4
        .value_kind:     hidden_block_count_z
      - .offset:         28
        .size:           2
        .value_kind:     hidden_group_size_x
      - .offset:         30
        .size:           2
        .value_kind:     hidden_group_size_y
      - .offset:         32
        .size:           2
        .value_kind:     hidden_group_size_z
      - .offset:         34
        .size:           2
        .value_kind:     hidden_remainder_x
      - .offset:         36
        .size:           2
        .value_kind:     hidden_remainder_y
      - .offset:         38
        .size:           2
        .value_kind:     hidden_remainder_z
      - .offset:         56
        .size:           8
        .value_kind:     hidden_global_offset_x
      - .offset:         64
        .size:           8
        .value_kind:     hidden_global_offset_y
      - .offset:         72
        .size:           8
        .value_kind:     hidden_global_offset_z
      - .offset:         80
        .size:           2
        .value_kind:     hidden_grid_dims
    .group_segment_fixed_size: 2064
    .kernarg_segment_align: 8
    .kernarg_segment_size: 272
    .language:       OpenCL C
    .language_version:
      - 2
      - 0
    .max_flat_workgroup_size: 64
    .name:           _Z16sort_keys_kernelI22helper_blocked_blockediLj64ELj1ELj10EEvPKT0_PS1_
    .private_segment_fixed_size: 0
    .sgpr_count:     24
    .sgpr_spill_count: 0
    .symbol:         _Z16sort_keys_kernelI22helper_blocked_blockediLj64ELj1ELj10EEvPKT0_PS1_.kd
    .uniform_work_group_size: 1
    .uses_dynamic_stack: false
    .vgpr_count:     26
    .vgpr_spill_count: 0
    .wavefront_size: 32
    .workgroup_processor_mode: 1
  - .args:
      - .address_space:  global
        .offset:         0
        .size:           8
        .value_kind:     global_buffer
      - .address_space:  global
        .offset:         8
        .size:           8
        .value_kind:     global_buffer
      - .offset:         16
        .size:           4
        .value_kind:     hidden_block_count_x
      - .offset:         20
        .size:           4
        .value_kind:     hidden_block_count_y
      - .offset:         24
        .size:           4
        .value_kind:     hidden_block_count_z
      - .offset:         28
        .size:           2
        .value_kind:     hidden_group_size_x
      - .offset:         30
        .size:           2
        .value_kind:     hidden_group_size_y
      - .offset:         32
        .size:           2
        .value_kind:     hidden_group_size_z
      - .offset:         34
        .size:           2
        .value_kind:     hidden_remainder_x
      - .offset:         36
        .size:           2
        .value_kind:     hidden_remainder_y
      - .offset:         38
        .size:           2
        .value_kind:     hidden_remainder_z
      - .offset:         56
        .size:           8
        .value_kind:     hidden_global_offset_x
      - .offset:         64
        .size:           8
        .value_kind:     hidden_global_offset_y
      - .offset:         72
        .size:           8
        .value_kind:     hidden_global_offset_z
      - .offset:         80
        .size:           2
        .value_kind:     hidden_grid_dims
    .group_segment_fixed_size: 2064
    .kernarg_segment_align: 8
    .kernarg_segment_size: 272
    .language:       OpenCL C
    .language_version:
      - 2
      - 0
    .max_flat_workgroup_size: 64
    .name:           _Z17sort_pairs_kernelI22helper_blocked_blockediLj64ELj1ELj10EEvPKT0_PS1_
    .private_segment_fixed_size: 0
    .sgpr_count:     24
    .sgpr_spill_count: 0
    .symbol:         _Z17sort_pairs_kernelI22helper_blocked_blockediLj64ELj1ELj10EEvPKT0_PS1_.kd
    .uniform_work_group_size: 1
    .uses_dynamic_stack: false
    .vgpr_count:     27
    .vgpr_spill_count: 0
    .wavefront_size: 32
    .workgroup_processor_mode: 1
  - .args:
      - .address_space:  global
        .offset:         0
        .size:           8
        .value_kind:     global_buffer
      - .address_space:  global
        .offset:         8
        .size:           8
        .value_kind:     global_buffer
      - .offset:         16
        .size:           4
        .value_kind:     hidden_block_count_x
      - .offset:         20
        .size:           4
        .value_kind:     hidden_block_count_y
      - .offset:         24
        .size:           4
        .value_kind:     hidden_block_count_z
      - .offset:         28
        .size:           2
        .value_kind:     hidden_group_size_x
      - .offset:         30
        .size:           2
        .value_kind:     hidden_group_size_y
      - .offset:         32
        .size:           2
        .value_kind:     hidden_group_size_z
      - .offset:         34
        .size:           2
        .value_kind:     hidden_remainder_x
      - .offset:         36
        .size:           2
        .value_kind:     hidden_remainder_y
      - .offset:         38
        .size:           2
        .value_kind:     hidden_remainder_z
      - .offset:         56
        .size:           8
        .value_kind:     hidden_global_offset_x
      - .offset:         64
        .size:           8
        .value_kind:     hidden_global_offset_y
      - .offset:         72
        .size:           8
        .value_kind:     hidden_global_offset_z
      - .offset:         80
        .size:           2
        .value_kind:     hidden_grid_dims
    .group_segment_fixed_size: 2064
    .kernarg_segment_align: 8
    .kernarg_segment_size: 272
    .language:       OpenCL C
    .language_version:
      - 2
      - 0
    .max_flat_workgroup_size: 64
    .name:           _Z16sort_keys_kernelI22helper_blocked_blockediLj64ELj3ELj10EEvPKT0_PS1_
    .private_segment_fixed_size: 0
    .sgpr_count:     24
    .sgpr_spill_count: 0
    .symbol:         _Z16sort_keys_kernelI22helper_blocked_blockediLj64ELj3ELj10EEvPKT0_PS1_.kd
    .uniform_work_group_size: 1
    .uses_dynamic_stack: false
    .vgpr_count:     37
    .vgpr_spill_count: 0
    .wavefront_size: 32
    .workgroup_processor_mode: 1
  - .args:
      - .address_space:  global
        .offset:         0
        .size:           8
        .value_kind:     global_buffer
      - .address_space:  global
        .offset:         8
        .size:           8
        .value_kind:     global_buffer
      - .offset:         16
        .size:           4
        .value_kind:     hidden_block_count_x
      - .offset:         20
        .size:           4
        .value_kind:     hidden_block_count_y
      - .offset:         24
        .size:           4
        .value_kind:     hidden_block_count_z
      - .offset:         28
        .size:           2
        .value_kind:     hidden_group_size_x
      - .offset:         30
        .size:           2
        .value_kind:     hidden_group_size_y
      - .offset:         32
        .size:           2
        .value_kind:     hidden_group_size_z
      - .offset:         34
        .size:           2
        .value_kind:     hidden_remainder_x
      - .offset:         36
        .size:           2
        .value_kind:     hidden_remainder_y
      - .offset:         38
        .size:           2
        .value_kind:     hidden_remainder_z
      - .offset:         56
        .size:           8
        .value_kind:     hidden_global_offset_x
      - .offset:         64
        .size:           8
        .value_kind:     hidden_global_offset_y
      - .offset:         72
        .size:           8
        .value_kind:     hidden_global_offset_z
      - .offset:         80
        .size:           2
        .value_kind:     hidden_grid_dims
    .group_segment_fixed_size: 2064
    .kernarg_segment_align: 8
    .kernarg_segment_size: 272
    .language:       OpenCL C
    .language_version:
      - 2
      - 0
    .max_flat_workgroup_size: 64
    .name:           _Z17sort_pairs_kernelI22helper_blocked_blockediLj64ELj3ELj10EEvPKT0_PS1_
    .private_segment_fixed_size: 0
    .sgpr_count:     24
    .sgpr_spill_count: 0
    .symbol:         _Z17sort_pairs_kernelI22helper_blocked_blockediLj64ELj3ELj10EEvPKT0_PS1_.kd
    .uniform_work_group_size: 1
    .uses_dynamic_stack: false
    .vgpr_count:     40
    .vgpr_spill_count: 0
    .wavefront_size: 32
    .workgroup_processor_mode: 1
  - .args:
      - .address_space:  global
        .offset:         0
        .size:           8
        .value_kind:     global_buffer
      - .address_space:  global
        .offset:         8
        .size:           8
        .value_kind:     global_buffer
      - .offset:         16
        .size:           4
        .value_kind:     hidden_block_count_x
      - .offset:         20
        .size:           4
        .value_kind:     hidden_block_count_y
      - .offset:         24
        .size:           4
        .value_kind:     hidden_block_count_z
      - .offset:         28
        .size:           2
        .value_kind:     hidden_group_size_x
      - .offset:         30
        .size:           2
        .value_kind:     hidden_group_size_y
      - .offset:         32
        .size:           2
        .value_kind:     hidden_group_size_z
      - .offset:         34
        .size:           2
        .value_kind:     hidden_remainder_x
      - .offset:         36
        .size:           2
        .value_kind:     hidden_remainder_y
      - .offset:         38
        .size:           2
        .value_kind:     hidden_remainder_z
      - .offset:         56
        .size:           8
        .value_kind:     hidden_global_offset_x
      - .offset:         64
        .size:           8
        .value_kind:     hidden_global_offset_y
      - .offset:         72
        .size:           8
        .value_kind:     hidden_global_offset_z
      - .offset:         80
        .size:           2
        .value_kind:     hidden_grid_dims
    .group_segment_fixed_size: 2064
    .kernarg_segment_align: 8
    .kernarg_segment_size: 272
    .language:       OpenCL C
    .language_version:
      - 2
      - 0
    .max_flat_workgroup_size: 64
    .name:           _Z16sort_keys_kernelI22helper_blocked_blockediLj64ELj4ELj10EEvPKT0_PS1_
    .private_segment_fixed_size: 0
    .sgpr_count:     26
    .sgpr_spill_count: 0
    .symbol:         _Z16sort_keys_kernelI22helper_blocked_blockediLj64ELj4ELj10EEvPKT0_PS1_.kd
    .uniform_work_group_size: 1
    .uses_dynamic_stack: false
    .vgpr_count:     43
    .vgpr_spill_count: 0
    .wavefront_size: 32
    .workgroup_processor_mode: 1
  - .args:
      - .address_space:  global
        .offset:         0
        .size:           8
        .value_kind:     global_buffer
      - .address_space:  global
        .offset:         8
        .size:           8
        .value_kind:     global_buffer
      - .offset:         16
        .size:           4
        .value_kind:     hidden_block_count_x
      - .offset:         20
        .size:           4
        .value_kind:     hidden_block_count_y
      - .offset:         24
        .size:           4
        .value_kind:     hidden_block_count_z
      - .offset:         28
        .size:           2
        .value_kind:     hidden_group_size_x
      - .offset:         30
        .size:           2
        .value_kind:     hidden_group_size_y
      - .offset:         32
        .size:           2
        .value_kind:     hidden_group_size_z
      - .offset:         34
        .size:           2
        .value_kind:     hidden_remainder_x
      - .offset:         36
        .size:           2
        .value_kind:     hidden_remainder_y
      - .offset:         38
        .size:           2
        .value_kind:     hidden_remainder_z
      - .offset:         56
        .size:           8
        .value_kind:     hidden_global_offset_x
      - .offset:         64
        .size:           8
        .value_kind:     hidden_global_offset_y
      - .offset:         72
        .size:           8
        .value_kind:     hidden_global_offset_z
      - .offset:         80
        .size:           2
        .value_kind:     hidden_grid_dims
    .group_segment_fixed_size: 2064
    .kernarg_segment_align: 8
    .kernarg_segment_size: 272
    .language:       OpenCL C
    .language_version:
      - 2
      - 0
    .max_flat_workgroup_size: 64
    .name:           _Z17sort_pairs_kernelI22helper_blocked_blockediLj64ELj4ELj10EEvPKT0_PS1_
    .private_segment_fixed_size: 0
    .sgpr_count:     26
    .sgpr_spill_count: 0
    .symbol:         _Z17sort_pairs_kernelI22helper_blocked_blockediLj64ELj4ELj10EEvPKT0_PS1_.kd
    .uniform_work_group_size: 1
    .uses_dynamic_stack: false
    .vgpr_count:     47
    .vgpr_spill_count: 0
    .wavefront_size: 32
    .workgroup_processor_mode: 1
  - .args:
      - .address_space:  global
        .offset:         0
        .size:           8
        .value_kind:     global_buffer
      - .address_space:  global
        .offset:         8
        .size:           8
        .value_kind:     global_buffer
      - .offset:         16
        .size:           4
        .value_kind:     hidden_block_count_x
      - .offset:         20
        .size:           4
        .value_kind:     hidden_block_count_y
      - .offset:         24
        .size:           4
        .value_kind:     hidden_block_count_z
      - .offset:         28
        .size:           2
        .value_kind:     hidden_group_size_x
      - .offset:         30
        .size:           2
        .value_kind:     hidden_group_size_y
      - .offset:         32
        .size:           2
        .value_kind:     hidden_group_size_z
      - .offset:         34
        .size:           2
        .value_kind:     hidden_remainder_x
      - .offset:         36
        .size:           2
        .value_kind:     hidden_remainder_y
      - .offset:         38
        .size:           2
        .value_kind:     hidden_remainder_z
      - .offset:         56
        .size:           8
        .value_kind:     hidden_global_offset_x
      - .offset:         64
        .size:           8
        .value_kind:     hidden_global_offset_y
      - .offset:         72
        .size:           8
        .value_kind:     hidden_global_offset_z
      - .offset:         80
        .size:           2
        .value_kind:     hidden_grid_dims
    .group_segment_fixed_size: 2064
    .kernarg_segment_align: 8
    .kernarg_segment_size: 272
    .language:       OpenCL C
    .language_version:
      - 2
      - 0
    .max_flat_workgroup_size: 64
    .name:           _Z16sort_keys_kernelI22helper_blocked_blockediLj64ELj8ELj10EEvPKT0_PS1_
    .private_segment_fixed_size: 0
    .sgpr_count:     24
    .sgpr_spill_count: 0
    .symbol:         _Z16sort_keys_kernelI22helper_blocked_blockediLj64ELj8ELj10EEvPKT0_PS1_.kd
    .uniform_work_group_size: 1
    .uses_dynamic_stack: false
    .vgpr_count:     56
    .vgpr_spill_count: 0
    .wavefront_size: 32
    .workgroup_processor_mode: 1
  - .args:
      - .address_space:  global
        .offset:         0
        .size:           8
        .value_kind:     global_buffer
      - .address_space:  global
        .offset:         8
        .size:           8
        .value_kind:     global_buffer
      - .offset:         16
        .size:           4
        .value_kind:     hidden_block_count_x
      - .offset:         20
        .size:           4
        .value_kind:     hidden_block_count_y
      - .offset:         24
        .size:           4
        .value_kind:     hidden_block_count_z
      - .offset:         28
        .size:           2
        .value_kind:     hidden_group_size_x
      - .offset:         30
        .size:           2
        .value_kind:     hidden_group_size_y
      - .offset:         32
        .size:           2
        .value_kind:     hidden_group_size_z
      - .offset:         34
        .size:           2
        .value_kind:     hidden_remainder_x
      - .offset:         36
        .size:           2
        .value_kind:     hidden_remainder_y
      - .offset:         38
        .size:           2
        .value_kind:     hidden_remainder_z
      - .offset:         56
        .size:           8
        .value_kind:     hidden_global_offset_x
      - .offset:         64
        .size:           8
        .value_kind:     hidden_global_offset_y
      - .offset:         72
        .size:           8
        .value_kind:     hidden_global_offset_z
      - .offset:         80
        .size:           2
        .value_kind:     hidden_grid_dims
    .group_segment_fixed_size: 2064
    .kernarg_segment_align: 8
    .kernarg_segment_size: 272
    .language:       OpenCL C
    .language_version:
      - 2
      - 0
    .max_flat_workgroup_size: 64
    .name:           _Z17sort_pairs_kernelI22helper_blocked_blockediLj64ELj8ELj10EEvPKT0_PS1_
    .private_segment_fixed_size: 0
    .sgpr_count:     24
    .sgpr_spill_count: 0
    .symbol:         _Z17sort_pairs_kernelI22helper_blocked_blockediLj64ELj8ELj10EEvPKT0_PS1_.kd
    .uniform_work_group_size: 1
    .uses_dynamic_stack: false
    .vgpr_count:     64
    .vgpr_spill_count: 0
    .wavefront_size: 32
    .workgroup_processor_mode: 1
  - .args:
      - .address_space:  global
        .offset:         0
        .size:           8
        .value_kind:     global_buffer
      - .address_space:  global
        .offset:         8
        .size:           8
        .value_kind:     global_buffer
      - .offset:         16
        .size:           4
        .value_kind:     hidden_block_count_x
      - .offset:         20
        .size:           4
        .value_kind:     hidden_block_count_y
      - .offset:         24
        .size:           4
        .value_kind:     hidden_block_count_z
      - .offset:         28
        .size:           2
        .value_kind:     hidden_group_size_x
      - .offset:         30
        .size:           2
        .value_kind:     hidden_group_size_y
      - .offset:         32
        .size:           2
        .value_kind:     hidden_group_size_z
      - .offset:         34
        .size:           2
        .value_kind:     hidden_remainder_x
      - .offset:         36
        .size:           2
        .value_kind:     hidden_remainder_y
      - .offset:         38
        .size:           2
        .value_kind:     hidden_remainder_z
      - .offset:         56
        .size:           8
        .value_kind:     hidden_global_offset_x
      - .offset:         64
        .size:           8
        .value_kind:     hidden_global_offset_y
      - .offset:         72
        .size:           8
        .value_kind:     hidden_global_offset_z
      - .offset:         80
        .size:           2
        .value_kind:     hidden_grid_dims
    .group_segment_fixed_size: 4112
    .kernarg_segment_align: 8
    .kernarg_segment_size: 272
    .language:       OpenCL C
    .language_version:
      - 2
      - 0
    .max_flat_workgroup_size: 128
    .name:           _Z16sort_keys_kernelI22helper_blocked_blockediLj128ELj1ELj10EEvPKT0_PS1_
    .private_segment_fixed_size: 0
    .sgpr_count:     25
    .sgpr_spill_count: 0
    .symbol:         _Z16sort_keys_kernelI22helper_blocked_blockediLj128ELj1ELj10EEvPKT0_PS1_.kd
    .uniform_work_group_size: 1
    .uses_dynamic_stack: false
    .vgpr_count:     26
    .vgpr_spill_count: 0
    .wavefront_size: 32
    .workgroup_processor_mode: 1
  - .args:
      - .address_space:  global
        .offset:         0
        .size:           8
        .value_kind:     global_buffer
      - .address_space:  global
        .offset:         8
        .size:           8
        .value_kind:     global_buffer
      - .offset:         16
        .size:           4
        .value_kind:     hidden_block_count_x
      - .offset:         20
        .size:           4
        .value_kind:     hidden_block_count_y
      - .offset:         24
        .size:           4
        .value_kind:     hidden_block_count_z
      - .offset:         28
        .size:           2
        .value_kind:     hidden_group_size_x
      - .offset:         30
        .size:           2
        .value_kind:     hidden_group_size_y
      - .offset:         32
        .size:           2
        .value_kind:     hidden_group_size_z
      - .offset:         34
        .size:           2
        .value_kind:     hidden_remainder_x
      - .offset:         36
        .size:           2
        .value_kind:     hidden_remainder_y
      - .offset:         38
        .size:           2
        .value_kind:     hidden_remainder_z
      - .offset:         56
        .size:           8
        .value_kind:     hidden_global_offset_x
      - .offset:         64
        .size:           8
        .value_kind:     hidden_global_offset_y
      - .offset:         72
        .size:           8
        .value_kind:     hidden_global_offset_z
      - .offset:         80
        .size:           2
        .value_kind:     hidden_grid_dims
    .group_segment_fixed_size: 4112
    .kernarg_segment_align: 8
    .kernarg_segment_size: 272
    .language:       OpenCL C
    .language_version:
      - 2
      - 0
    .max_flat_workgroup_size: 128
    .name:           _Z17sort_pairs_kernelI22helper_blocked_blockediLj128ELj1ELj10EEvPKT0_PS1_
    .private_segment_fixed_size: 0
    .sgpr_count:     25
    .sgpr_spill_count: 0
    .symbol:         _Z17sort_pairs_kernelI22helper_blocked_blockediLj128ELj1ELj10EEvPKT0_PS1_.kd
    .uniform_work_group_size: 1
    .uses_dynamic_stack: false
    .vgpr_count:     27
    .vgpr_spill_count: 0
    .wavefront_size: 32
    .workgroup_processor_mode: 1
  - .args:
      - .address_space:  global
        .offset:         0
        .size:           8
        .value_kind:     global_buffer
      - .address_space:  global
        .offset:         8
        .size:           8
        .value_kind:     global_buffer
      - .offset:         16
        .size:           4
        .value_kind:     hidden_block_count_x
      - .offset:         20
        .size:           4
        .value_kind:     hidden_block_count_y
      - .offset:         24
        .size:           4
        .value_kind:     hidden_block_count_z
      - .offset:         28
        .size:           2
        .value_kind:     hidden_group_size_x
      - .offset:         30
        .size:           2
        .value_kind:     hidden_group_size_y
      - .offset:         32
        .size:           2
        .value_kind:     hidden_group_size_z
      - .offset:         34
        .size:           2
        .value_kind:     hidden_remainder_x
      - .offset:         36
        .size:           2
        .value_kind:     hidden_remainder_y
      - .offset:         38
        .size:           2
        .value_kind:     hidden_remainder_z
      - .offset:         56
        .size:           8
        .value_kind:     hidden_global_offset_x
      - .offset:         64
        .size:           8
        .value_kind:     hidden_global_offset_y
      - .offset:         72
        .size:           8
        .value_kind:     hidden_global_offset_z
      - .offset:         80
        .size:           2
        .value_kind:     hidden_grid_dims
    .group_segment_fixed_size: 4112
    .kernarg_segment_align: 8
    .kernarg_segment_size: 272
    .language:       OpenCL C
    .language_version:
      - 2
      - 0
    .max_flat_workgroup_size: 128
    .name:           _Z16sort_keys_kernelI22helper_blocked_blockediLj128ELj3ELj10EEvPKT0_PS1_
    .private_segment_fixed_size: 0
    .sgpr_count:     22
    .sgpr_spill_count: 0
    .symbol:         _Z16sort_keys_kernelI22helper_blocked_blockediLj128ELj3ELj10EEvPKT0_PS1_.kd
    .uniform_work_group_size: 1
    .uses_dynamic_stack: false
    .vgpr_count:     37
    .vgpr_spill_count: 0
    .wavefront_size: 32
    .workgroup_processor_mode: 1
  - .args:
      - .address_space:  global
        .offset:         0
        .size:           8
        .value_kind:     global_buffer
      - .address_space:  global
        .offset:         8
        .size:           8
        .value_kind:     global_buffer
      - .offset:         16
        .size:           4
        .value_kind:     hidden_block_count_x
      - .offset:         20
        .size:           4
        .value_kind:     hidden_block_count_y
      - .offset:         24
        .size:           4
        .value_kind:     hidden_block_count_z
      - .offset:         28
        .size:           2
        .value_kind:     hidden_group_size_x
      - .offset:         30
        .size:           2
        .value_kind:     hidden_group_size_y
      - .offset:         32
        .size:           2
        .value_kind:     hidden_group_size_z
      - .offset:         34
        .size:           2
        .value_kind:     hidden_remainder_x
      - .offset:         36
        .size:           2
        .value_kind:     hidden_remainder_y
      - .offset:         38
        .size:           2
        .value_kind:     hidden_remainder_z
      - .offset:         56
        .size:           8
        .value_kind:     hidden_global_offset_x
      - .offset:         64
        .size:           8
        .value_kind:     hidden_global_offset_y
      - .offset:         72
        .size:           8
        .value_kind:     hidden_global_offset_z
      - .offset:         80
        .size:           2
        .value_kind:     hidden_grid_dims
    .group_segment_fixed_size: 4112
    .kernarg_segment_align: 8
    .kernarg_segment_size: 272
    .language:       OpenCL C
    .language_version:
      - 2
      - 0
    .max_flat_workgroup_size: 128
    .name:           _Z17sort_pairs_kernelI22helper_blocked_blockediLj128ELj3ELj10EEvPKT0_PS1_
    .private_segment_fixed_size: 0
    .sgpr_count:     22
    .sgpr_spill_count: 0
    .symbol:         _Z17sort_pairs_kernelI22helper_blocked_blockediLj128ELj3ELj10EEvPKT0_PS1_.kd
    .uniform_work_group_size: 1
    .uses_dynamic_stack: false
    .vgpr_count:     40
    .vgpr_spill_count: 0
    .wavefront_size: 32
    .workgroup_processor_mode: 1
  - .args:
      - .address_space:  global
        .offset:         0
        .size:           8
        .value_kind:     global_buffer
      - .address_space:  global
        .offset:         8
        .size:           8
        .value_kind:     global_buffer
      - .offset:         16
        .size:           4
        .value_kind:     hidden_block_count_x
      - .offset:         20
        .size:           4
        .value_kind:     hidden_block_count_y
      - .offset:         24
        .size:           4
        .value_kind:     hidden_block_count_z
      - .offset:         28
        .size:           2
        .value_kind:     hidden_group_size_x
      - .offset:         30
        .size:           2
        .value_kind:     hidden_group_size_y
      - .offset:         32
        .size:           2
        .value_kind:     hidden_group_size_z
      - .offset:         34
        .size:           2
        .value_kind:     hidden_remainder_x
      - .offset:         36
        .size:           2
        .value_kind:     hidden_remainder_y
      - .offset:         38
        .size:           2
        .value_kind:     hidden_remainder_z
      - .offset:         56
        .size:           8
        .value_kind:     hidden_global_offset_x
      - .offset:         64
        .size:           8
        .value_kind:     hidden_global_offset_y
      - .offset:         72
        .size:           8
        .value_kind:     hidden_global_offset_z
      - .offset:         80
        .size:           2
        .value_kind:     hidden_grid_dims
    .group_segment_fixed_size: 4112
    .kernarg_segment_align: 8
    .kernarg_segment_size: 272
    .language:       OpenCL C
    .language_version:
      - 2
      - 0
    .max_flat_workgroup_size: 128
    .name:           _Z16sort_keys_kernelI22helper_blocked_blockediLj128ELj4ELj10EEvPKT0_PS1_
    .private_segment_fixed_size: 0
    .sgpr_count:     26
    .sgpr_spill_count: 0
    .symbol:         _Z16sort_keys_kernelI22helper_blocked_blockediLj128ELj4ELj10EEvPKT0_PS1_.kd
    .uniform_work_group_size: 1
    .uses_dynamic_stack: false
    .vgpr_count:     43
    .vgpr_spill_count: 0
    .wavefront_size: 32
    .workgroup_processor_mode: 1
  - .args:
      - .address_space:  global
        .offset:         0
        .size:           8
        .value_kind:     global_buffer
      - .address_space:  global
        .offset:         8
        .size:           8
        .value_kind:     global_buffer
      - .offset:         16
        .size:           4
        .value_kind:     hidden_block_count_x
      - .offset:         20
        .size:           4
        .value_kind:     hidden_block_count_y
      - .offset:         24
        .size:           4
        .value_kind:     hidden_block_count_z
      - .offset:         28
        .size:           2
        .value_kind:     hidden_group_size_x
      - .offset:         30
        .size:           2
        .value_kind:     hidden_group_size_y
      - .offset:         32
        .size:           2
        .value_kind:     hidden_group_size_z
      - .offset:         34
        .size:           2
        .value_kind:     hidden_remainder_x
      - .offset:         36
        .size:           2
        .value_kind:     hidden_remainder_y
      - .offset:         38
        .size:           2
        .value_kind:     hidden_remainder_z
      - .offset:         56
        .size:           8
        .value_kind:     hidden_global_offset_x
      - .offset:         64
        .size:           8
        .value_kind:     hidden_global_offset_y
      - .offset:         72
        .size:           8
        .value_kind:     hidden_global_offset_z
      - .offset:         80
        .size:           2
        .value_kind:     hidden_grid_dims
    .group_segment_fixed_size: 4112
    .kernarg_segment_align: 8
    .kernarg_segment_size: 272
    .language:       OpenCL C
    .language_version:
      - 2
      - 0
    .max_flat_workgroup_size: 128
    .name:           _Z17sort_pairs_kernelI22helper_blocked_blockediLj128ELj4ELj10EEvPKT0_PS1_
    .private_segment_fixed_size: 0
    .sgpr_count:     26
    .sgpr_spill_count: 0
    .symbol:         _Z17sort_pairs_kernelI22helper_blocked_blockediLj128ELj4ELj10EEvPKT0_PS1_.kd
    .uniform_work_group_size: 1
    .uses_dynamic_stack: false
    .vgpr_count:     47
    .vgpr_spill_count: 0
    .wavefront_size: 32
    .workgroup_processor_mode: 1
  - .args:
      - .address_space:  global
        .offset:         0
        .size:           8
        .value_kind:     global_buffer
      - .address_space:  global
        .offset:         8
        .size:           8
        .value_kind:     global_buffer
      - .offset:         16
        .size:           4
        .value_kind:     hidden_block_count_x
      - .offset:         20
        .size:           4
        .value_kind:     hidden_block_count_y
      - .offset:         24
        .size:           4
        .value_kind:     hidden_block_count_z
      - .offset:         28
        .size:           2
        .value_kind:     hidden_group_size_x
      - .offset:         30
        .size:           2
        .value_kind:     hidden_group_size_y
      - .offset:         32
        .size:           2
        .value_kind:     hidden_group_size_z
      - .offset:         34
        .size:           2
        .value_kind:     hidden_remainder_x
      - .offset:         36
        .size:           2
        .value_kind:     hidden_remainder_y
      - .offset:         38
        .size:           2
        .value_kind:     hidden_remainder_z
      - .offset:         56
        .size:           8
        .value_kind:     hidden_global_offset_x
      - .offset:         64
        .size:           8
        .value_kind:     hidden_global_offset_y
      - .offset:         72
        .size:           8
        .value_kind:     hidden_global_offset_z
      - .offset:         80
        .size:           2
        .value_kind:     hidden_grid_dims
    .group_segment_fixed_size: 4112
    .kernarg_segment_align: 8
    .kernarg_segment_size: 272
    .language:       OpenCL C
    .language_version:
      - 2
      - 0
    .max_flat_workgroup_size: 128
    .name:           _Z16sort_keys_kernelI22helper_blocked_blockediLj128ELj8ELj10EEvPKT0_PS1_
    .private_segment_fixed_size: 0
    .sgpr_count:     22
    .sgpr_spill_count: 0
    .symbol:         _Z16sort_keys_kernelI22helper_blocked_blockediLj128ELj8ELj10EEvPKT0_PS1_.kd
    .uniform_work_group_size: 1
    .uses_dynamic_stack: false
    .vgpr_count:     56
    .vgpr_spill_count: 0
    .wavefront_size: 32
    .workgroup_processor_mode: 1
  - .args:
      - .address_space:  global
        .offset:         0
        .size:           8
        .value_kind:     global_buffer
      - .address_space:  global
        .offset:         8
        .size:           8
        .value_kind:     global_buffer
      - .offset:         16
        .size:           4
        .value_kind:     hidden_block_count_x
      - .offset:         20
        .size:           4
        .value_kind:     hidden_block_count_y
      - .offset:         24
        .size:           4
        .value_kind:     hidden_block_count_z
      - .offset:         28
        .size:           2
        .value_kind:     hidden_group_size_x
      - .offset:         30
        .size:           2
        .value_kind:     hidden_group_size_y
      - .offset:         32
        .size:           2
        .value_kind:     hidden_group_size_z
      - .offset:         34
        .size:           2
        .value_kind:     hidden_remainder_x
      - .offset:         36
        .size:           2
        .value_kind:     hidden_remainder_y
      - .offset:         38
        .size:           2
        .value_kind:     hidden_remainder_z
      - .offset:         56
        .size:           8
        .value_kind:     hidden_global_offset_x
      - .offset:         64
        .size:           8
        .value_kind:     hidden_global_offset_y
      - .offset:         72
        .size:           8
        .value_kind:     hidden_global_offset_z
      - .offset:         80
        .size:           2
        .value_kind:     hidden_grid_dims
    .group_segment_fixed_size: 4112
    .kernarg_segment_align: 8
    .kernarg_segment_size: 272
    .language:       OpenCL C
    .language_version:
      - 2
      - 0
    .max_flat_workgroup_size: 128
    .name:           _Z17sort_pairs_kernelI22helper_blocked_blockediLj128ELj8ELj10EEvPKT0_PS1_
    .private_segment_fixed_size: 0
    .sgpr_count:     22
    .sgpr_spill_count: 0
    .symbol:         _Z17sort_pairs_kernelI22helper_blocked_blockediLj128ELj8ELj10EEvPKT0_PS1_.kd
    .uniform_work_group_size: 1
    .uses_dynamic_stack: false
    .vgpr_count:     64
    .vgpr_spill_count: 0
    .wavefront_size: 32
    .workgroup_processor_mode: 1
  - .args:
      - .address_space:  global
        .offset:         0
        .size:           8
        .value_kind:     global_buffer
      - .address_space:  global
        .offset:         8
        .size:           8
        .value_kind:     global_buffer
      - .offset:         16
        .size:           4
        .value_kind:     hidden_block_count_x
      - .offset:         20
        .size:           4
        .value_kind:     hidden_block_count_y
      - .offset:         24
        .size:           4
        .value_kind:     hidden_block_count_z
      - .offset:         28
        .size:           2
        .value_kind:     hidden_group_size_x
      - .offset:         30
        .size:           2
        .value_kind:     hidden_group_size_y
      - .offset:         32
        .size:           2
        .value_kind:     hidden_group_size_z
      - .offset:         34
        .size:           2
        .value_kind:     hidden_remainder_x
      - .offset:         36
        .size:           2
        .value_kind:     hidden_remainder_y
      - .offset:         38
        .size:           2
        .value_kind:     hidden_remainder_z
      - .offset:         56
        .size:           8
        .value_kind:     hidden_global_offset_x
      - .offset:         64
        .size:           8
        .value_kind:     hidden_global_offset_y
      - .offset:         72
        .size:           8
        .value_kind:     hidden_global_offset_z
      - .offset:         80
        .size:           2
        .value_kind:     hidden_grid_dims
    .group_segment_fixed_size: 6176
    .kernarg_segment_align: 8
    .kernarg_segment_size: 272
    .language:       OpenCL C
    .language_version:
      - 2
      - 0
    .max_flat_workgroup_size: 192
    .name:           _Z16sort_keys_kernelI22helper_blocked_blockediLj192ELj1ELj10EEvPKT0_PS1_
    .private_segment_fixed_size: 0
    .sgpr_count:     26
    .sgpr_spill_count: 0
    .symbol:         _Z16sort_keys_kernelI22helper_blocked_blockediLj192ELj1ELj10EEvPKT0_PS1_.kd
    .uniform_work_group_size: 1
    .uses_dynamic_stack: false
    .vgpr_count:     26
    .vgpr_spill_count: 0
    .wavefront_size: 32
    .workgroup_processor_mode: 1
  - .args:
      - .address_space:  global
        .offset:         0
        .size:           8
        .value_kind:     global_buffer
      - .address_space:  global
        .offset:         8
        .size:           8
        .value_kind:     global_buffer
      - .offset:         16
        .size:           4
        .value_kind:     hidden_block_count_x
      - .offset:         20
        .size:           4
        .value_kind:     hidden_block_count_y
      - .offset:         24
        .size:           4
        .value_kind:     hidden_block_count_z
      - .offset:         28
        .size:           2
        .value_kind:     hidden_group_size_x
      - .offset:         30
        .size:           2
        .value_kind:     hidden_group_size_y
      - .offset:         32
        .size:           2
        .value_kind:     hidden_group_size_z
      - .offset:         34
        .size:           2
        .value_kind:     hidden_remainder_x
      - .offset:         36
        .size:           2
        .value_kind:     hidden_remainder_y
      - .offset:         38
        .size:           2
        .value_kind:     hidden_remainder_z
      - .offset:         56
        .size:           8
        .value_kind:     hidden_global_offset_x
      - .offset:         64
        .size:           8
        .value_kind:     hidden_global_offset_y
      - .offset:         72
        .size:           8
        .value_kind:     hidden_global_offset_z
      - .offset:         80
        .size:           2
        .value_kind:     hidden_grid_dims
    .group_segment_fixed_size: 6176
    .kernarg_segment_align: 8
    .kernarg_segment_size: 272
    .language:       OpenCL C
    .language_version:
      - 2
      - 0
    .max_flat_workgroup_size: 192
    .name:           _Z17sort_pairs_kernelI22helper_blocked_blockediLj192ELj1ELj10EEvPKT0_PS1_
    .private_segment_fixed_size: 0
    .sgpr_count:     26
    .sgpr_spill_count: 0
    .symbol:         _Z17sort_pairs_kernelI22helper_blocked_blockediLj192ELj1ELj10EEvPKT0_PS1_.kd
    .uniform_work_group_size: 1
    .uses_dynamic_stack: false
    .vgpr_count:     27
    .vgpr_spill_count: 0
    .wavefront_size: 32
    .workgroup_processor_mode: 1
  - .args:
      - .address_space:  global
        .offset:         0
        .size:           8
        .value_kind:     global_buffer
      - .address_space:  global
        .offset:         8
        .size:           8
        .value_kind:     global_buffer
      - .offset:         16
        .size:           4
        .value_kind:     hidden_block_count_x
      - .offset:         20
        .size:           4
        .value_kind:     hidden_block_count_y
      - .offset:         24
        .size:           4
        .value_kind:     hidden_block_count_z
      - .offset:         28
        .size:           2
        .value_kind:     hidden_group_size_x
      - .offset:         30
        .size:           2
        .value_kind:     hidden_group_size_y
      - .offset:         32
        .size:           2
        .value_kind:     hidden_group_size_z
      - .offset:         34
        .size:           2
        .value_kind:     hidden_remainder_x
      - .offset:         36
        .size:           2
        .value_kind:     hidden_remainder_y
      - .offset:         38
        .size:           2
        .value_kind:     hidden_remainder_z
      - .offset:         56
        .size:           8
        .value_kind:     hidden_global_offset_x
      - .offset:         64
        .size:           8
        .value_kind:     hidden_global_offset_y
      - .offset:         72
        .size:           8
        .value_kind:     hidden_global_offset_z
      - .offset:         80
        .size:           2
        .value_kind:     hidden_grid_dims
    .group_segment_fixed_size: 6176
    .kernarg_segment_align: 8
    .kernarg_segment_size: 272
    .language:       OpenCL C
    .language_version:
      - 2
      - 0
    .max_flat_workgroup_size: 192
    .name:           _Z16sort_keys_kernelI22helper_blocked_blockediLj192ELj3ELj10EEvPKT0_PS1_
    .private_segment_fixed_size: 0
    .sgpr_count:     24
    .sgpr_spill_count: 0
    .symbol:         _Z16sort_keys_kernelI22helper_blocked_blockediLj192ELj3ELj10EEvPKT0_PS1_.kd
    .uniform_work_group_size: 1
    .uses_dynamic_stack: false
    .vgpr_count:     37
    .vgpr_spill_count: 0
    .wavefront_size: 32
    .workgroup_processor_mode: 1
  - .args:
      - .address_space:  global
        .offset:         0
        .size:           8
        .value_kind:     global_buffer
      - .address_space:  global
        .offset:         8
        .size:           8
        .value_kind:     global_buffer
      - .offset:         16
        .size:           4
        .value_kind:     hidden_block_count_x
      - .offset:         20
        .size:           4
        .value_kind:     hidden_block_count_y
      - .offset:         24
        .size:           4
        .value_kind:     hidden_block_count_z
      - .offset:         28
        .size:           2
        .value_kind:     hidden_group_size_x
      - .offset:         30
        .size:           2
        .value_kind:     hidden_group_size_y
      - .offset:         32
        .size:           2
        .value_kind:     hidden_group_size_z
      - .offset:         34
        .size:           2
        .value_kind:     hidden_remainder_x
      - .offset:         36
        .size:           2
        .value_kind:     hidden_remainder_y
      - .offset:         38
        .size:           2
        .value_kind:     hidden_remainder_z
      - .offset:         56
        .size:           8
        .value_kind:     hidden_global_offset_x
      - .offset:         64
        .size:           8
        .value_kind:     hidden_global_offset_y
      - .offset:         72
        .size:           8
        .value_kind:     hidden_global_offset_z
      - .offset:         80
        .size:           2
        .value_kind:     hidden_grid_dims
    .group_segment_fixed_size: 6176
    .kernarg_segment_align: 8
    .kernarg_segment_size: 272
    .language:       OpenCL C
    .language_version:
      - 2
      - 0
    .max_flat_workgroup_size: 192
    .name:           _Z17sort_pairs_kernelI22helper_blocked_blockediLj192ELj3ELj10EEvPKT0_PS1_
    .private_segment_fixed_size: 0
    .sgpr_count:     24
    .sgpr_spill_count: 0
    .symbol:         _Z17sort_pairs_kernelI22helper_blocked_blockediLj192ELj3ELj10EEvPKT0_PS1_.kd
    .uniform_work_group_size: 1
    .uses_dynamic_stack: false
    .vgpr_count:     40
    .vgpr_spill_count: 0
    .wavefront_size: 32
    .workgroup_processor_mode: 1
  - .args:
      - .address_space:  global
        .offset:         0
        .size:           8
        .value_kind:     global_buffer
      - .address_space:  global
        .offset:         8
        .size:           8
        .value_kind:     global_buffer
      - .offset:         16
        .size:           4
        .value_kind:     hidden_block_count_x
      - .offset:         20
        .size:           4
        .value_kind:     hidden_block_count_y
      - .offset:         24
        .size:           4
        .value_kind:     hidden_block_count_z
      - .offset:         28
        .size:           2
        .value_kind:     hidden_group_size_x
      - .offset:         30
        .size:           2
        .value_kind:     hidden_group_size_y
      - .offset:         32
        .size:           2
        .value_kind:     hidden_group_size_z
      - .offset:         34
        .size:           2
        .value_kind:     hidden_remainder_x
      - .offset:         36
        .size:           2
        .value_kind:     hidden_remainder_y
      - .offset:         38
        .size:           2
        .value_kind:     hidden_remainder_z
      - .offset:         56
        .size:           8
        .value_kind:     hidden_global_offset_x
      - .offset:         64
        .size:           8
        .value_kind:     hidden_global_offset_y
      - .offset:         72
        .size:           8
        .value_kind:     hidden_global_offset_z
      - .offset:         80
        .size:           2
        .value_kind:     hidden_grid_dims
    .group_segment_fixed_size: 6176
    .kernarg_segment_align: 8
    .kernarg_segment_size: 272
    .language:       OpenCL C
    .language_version:
      - 2
      - 0
    .max_flat_workgroup_size: 192
    .name:           _Z16sort_keys_kernelI22helper_blocked_blockediLj192ELj4ELj10EEvPKT0_PS1_
    .private_segment_fixed_size: 0
    .sgpr_count:     26
    .sgpr_spill_count: 0
    .symbol:         _Z16sort_keys_kernelI22helper_blocked_blockediLj192ELj4ELj10EEvPKT0_PS1_.kd
    .uniform_work_group_size: 1
    .uses_dynamic_stack: false
    .vgpr_count:     43
    .vgpr_spill_count: 0
    .wavefront_size: 32
    .workgroup_processor_mode: 1
  - .args:
      - .address_space:  global
        .offset:         0
        .size:           8
        .value_kind:     global_buffer
      - .address_space:  global
        .offset:         8
        .size:           8
        .value_kind:     global_buffer
      - .offset:         16
        .size:           4
        .value_kind:     hidden_block_count_x
      - .offset:         20
        .size:           4
        .value_kind:     hidden_block_count_y
      - .offset:         24
        .size:           4
        .value_kind:     hidden_block_count_z
      - .offset:         28
        .size:           2
        .value_kind:     hidden_group_size_x
      - .offset:         30
        .size:           2
        .value_kind:     hidden_group_size_y
      - .offset:         32
        .size:           2
        .value_kind:     hidden_group_size_z
      - .offset:         34
        .size:           2
        .value_kind:     hidden_remainder_x
      - .offset:         36
        .size:           2
        .value_kind:     hidden_remainder_y
      - .offset:         38
        .size:           2
        .value_kind:     hidden_remainder_z
      - .offset:         56
        .size:           8
        .value_kind:     hidden_global_offset_x
      - .offset:         64
        .size:           8
        .value_kind:     hidden_global_offset_y
      - .offset:         72
        .size:           8
        .value_kind:     hidden_global_offset_z
      - .offset:         80
        .size:           2
        .value_kind:     hidden_grid_dims
    .group_segment_fixed_size: 6176
    .kernarg_segment_align: 8
    .kernarg_segment_size: 272
    .language:       OpenCL C
    .language_version:
      - 2
      - 0
    .max_flat_workgroup_size: 192
    .name:           _Z17sort_pairs_kernelI22helper_blocked_blockediLj192ELj4ELj10EEvPKT0_PS1_
    .private_segment_fixed_size: 0
    .sgpr_count:     26
    .sgpr_spill_count: 0
    .symbol:         _Z17sort_pairs_kernelI22helper_blocked_blockediLj192ELj4ELj10EEvPKT0_PS1_.kd
    .uniform_work_group_size: 1
    .uses_dynamic_stack: false
    .vgpr_count:     47
    .vgpr_spill_count: 0
    .wavefront_size: 32
    .workgroup_processor_mode: 1
  - .args:
      - .address_space:  global
        .offset:         0
        .size:           8
        .value_kind:     global_buffer
      - .address_space:  global
        .offset:         8
        .size:           8
        .value_kind:     global_buffer
      - .offset:         16
        .size:           4
        .value_kind:     hidden_block_count_x
      - .offset:         20
        .size:           4
        .value_kind:     hidden_block_count_y
      - .offset:         24
        .size:           4
        .value_kind:     hidden_block_count_z
      - .offset:         28
        .size:           2
        .value_kind:     hidden_group_size_x
      - .offset:         30
        .size:           2
        .value_kind:     hidden_group_size_y
      - .offset:         32
        .size:           2
        .value_kind:     hidden_group_size_z
      - .offset:         34
        .size:           2
        .value_kind:     hidden_remainder_x
      - .offset:         36
        .size:           2
        .value_kind:     hidden_remainder_y
      - .offset:         38
        .size:           2
        .value_kind:     hidden_remainder_z
      - .offset:         56
        .size:           8
        .value_kind:     hidden_global_offset_x
      - .offset:         64
        .size:           8
        .value_kind:     hidden_global_offset_y
      - .offset:         72
        .size:           8
        .value_kind:     hidden_global_offset_z
      - .offset:         80
        .size:           2
        .value_kind:     hidden_grid_dims
    .group_segment_fixed_size: 6176
    .kernarg_segment_align: 8
    .kernarg_segment_size: 272
    .language:       OpenCL C
    .language_version:
      - 2
      - 0
    .max_flat_workgroup_size: 192
    .name:           _Z16sort_keys_kernelI22helper_blocked_blockediLj192ELj8ELj10EEvPKT0_PS1_
    .private_segment_fixed_size: 0
    .sgpr_count:     24
    .sgpr_spill_count: 0
    .symbol:         _Z16sort_keys_kernelI22helper_blocked_blockediLj192ELj8ELj10EEvPKT0_PS1_.kd
    .uniform_work_group_size: 1
    .uses_dynamic_stack: false
    .vgpr_count:     56
    .vgpr_spill_count: 0
    .wavefront_size: 32
    .workgroup_processor_mode: 1
  - .args:
      - .address_space:  global
        .offset:         0
        .size:           8
        .value_kind:     global_buffer
      - .address_space:  global
        .offset:         8
        .size:           8
        .value_kind:     global_buffer
      - .offset:         16
        .size:           4
        .value_kind:     hidden_block_count_x
      - .offset:         20
        .size:           4
        .value_kind:     hidden_block_count_y
      - .offset:         24
        .size:           4
        .value_kind:     hidden_block_count_z
      - .offset:         28
        .size:           2
        .value_kind:     hidden_group_size_x
      - .offset:         30
        .size:           2
        .value_kind:     hidden_group_size_y
      - .offset:         32
        .size:           2
        .value_kind:     hidden_group_size_z
      - .offset:         34
        .size:           2
        .value_kind:     hidden_remainder_x
      - .offset:         36
        .size:           2
        .value_kind:     hidden_remainder_y
      - .offset:         38
        .size:           2
        .value_kind:     hidden_remainder_z
      - .offset:         56
        .size:           8
        .value_kind:     hidden_global_offset_x
      - .offset:         64
        .size:           8
        .value_kind:     hidden_global_offset_y
      - .offset:         72
        .size:           8
        .value_kind:     hidden_global_offset_z
      - .offset:         80
        .size:           2
        .value_kind:     hidden_grid_dims
    .group_segment_fixed_size: 6176
    .kernarg_segment_align: 8
    .kernarg_segment_size: 272
    .language:       OpenCL C
    .language_version:
      - 2
      - 0
    .max_flat_workgroup_size: 192
    .name:           _Z17sort_pairs_kernelI22helper_blocked_blockediLj192ELj8ELj10EEvPKT0_PS1_
    .private_segment_fixed_size: 0
    .sgpr_count:     24
    .sgpr_spill_count: 0
    .symbol:         _Z17sort_pairs_kernelI22helper_blocked_blockediLj192ELj8ELj10EEvPKT0_PS1_.kd
    .uniform_work_group_size: 1
    .uses_dynamic_stack: false
    .vgpr_count:     64
    .vgpr_spill_count: 0
    .wavefront_size: 32
    .workgroup_processor_mode: 1
  - .args:
      - .address_space:  global
        .offset:         0
        .size:           8
        .value_kind:     global_buffer
      - .address_space:  global
        .offset:         8
        .size:           8
        .value_kind:     global_buffer
      - .offset:         16
        .size:           4
        .value_kind:     hidden_block_count_x
      - .offset:         20
        .size:           4
        .value_kind:     hidden_block_count_y
      - .offset:         24
        .size:           4
        .value_kind:     hidden_block_count_z
      - .offset:         28
        .size:           2
        .value_kind:     hidden_group_size_x
      - .offset:         30
        .size:           2
        .value_kind:     hidden_group_size_y
      - .offset:         32
        .size:           2
        .value_kind:     hidden_group_size_z
      - .offset:         34
        .size:           2
        .value_kind:     hidden_remainder_x
      - .offset:         36
        .size:           2
        .value_kind:     hidden_remainder_y
      - .offset:         38
        .size:           2
        .value_kind:     hidden_remainder_z
      - .offset:         56
        .size:           8
        .value_kind:     hidden_global_offset_x
      - .offset:         64
        .size:           8
        .value_kind:     hidden_global_offset_y
      - .offset:         72
        .size:           8
        .value_kind:     hidden_global_offset_z
      - .offset:         80
        .size:           2
        .value_kind:     hidden_grid_dims
    .group_segment_fixed_size: 8224
    .kernarg_segment_align: 8
    .kernarg_segment_size: 272
    .language:       OpenCL C
    .language_version:
      - 2
      - 0
    .max_flat_workgroup_size: 256
    .name:           _Z16sort_keys_kernelI22helper_blocked_blockediLj256ELj1ELj10EEvPKT0_PS1_
    .private_segment_fixed_size: 0
    .sgpr_count:     26
    .sgpr_spill_count: 0
    .symbol:         _Z16sort_keys_kernelI22helper_blocked_blockediLj256ELj1ELj10EEvPKT0_PS1_.kd
    .uniform_work_group_size: 1
    .uses_dynamic_stack: false
    .vgpr_count:     26
    .vgpr_spill_count: 0
    .wavefront_size: 32
    .workgroup_processor_mode: 1
  - .args:
      - .address_space:  global
        .offset:         0
        .size:           8
        .value_kind:     global_buffer
      - .address_space:  global
        .offset:         8
        .size:           8
        .value_kind:     global_buffer
      - .offset:         16
        .size:           4
        .value_kind:     hidden_block_count_x
      - .offset:         20
        .size:           4
        .value_kind:     hidden_block_count_y
      - .offset:         24
        .size:           4
        .value_kind:     hidden_block_count_z
      - .offset:         28
        .size:           2
        .value_kind:     hidden_group_size_x
      - .offset:         30
        .size:           2
        .value_kind:     hidden_group_size_y
      - .offset:         32
        .size:           2
        .value_kind:     hidden_group_size_z
      - .offset:         34
        .size:           2
        .value_kind:     hidden_remainder_x
      - .offset:         36
        .size:           2
        .value_kind:     hidden_remainder_y
      - .offset:         38
        .size:           2
        .value_kind:     hidden_remainder_z
      - .offset:         56
        .size:           8
        .value_kind:     hidden_global_offset_x
      - .offset:         64
        .size:           8
        .value_kind:     hidden_global_offset_y
      - .offset:         72
        .size:           8
        .value_kind:     hidden_global_offset_z
      - .offset:         80
        .size:           2
        .value_kind:     hidden_grid_dims
    .group_segment_fixed_size: 8224
    .kernarg_segment_align: 8
    .kernarg_segment_size: 272
    .language:       OpenCL C
    .language_version:
      - 2
      - 0
    .max_flat_workgroup_size: 256
    .name:           _Z17sort_pairs_kernelI22helper_blocked_blockediLj256ELj1ELj10EEvPKT0_PS1_
    .private_segment_fixed_size: 0
    .sgpr_count:     26
    .sgpr_spill_count: 0
    .symbol:         _Z17sort_pairs_kernelI22helper_blocked_blockediLj256ELj1ELj10EEvPKT0_PS1_.kd
    .uniform_work_group_size: 1
    .uses_dynamic_stack: false
    .vgpr_count:     27
    .vgpr_spill_count: 0
    .wavefront_size: 32
    .workgroup_processor_mode: 1
  - .args:
      - .address_space:  global
        .offset:         0
        .size:           8
        .value_kind:     global_buffer
      - .address_space:  global
        .offset:         8
        .size:           8
        .value_kind:     global_buffer
      - .offset:         16
        .size:           4
        .value_kind:     hidden_block_count_x
      - .offset:         20
        .size:           4
        .value_kind:     hidden_block_count_y
      - .offset:         24
        .size:           4
        .value_kind:     hidden_block_count_z
      - .offset:         28
        .size:           2
        .value_kind:     hidden_group_size_x
      - .offset:         30
        .size:           2
        .value_kind:     hidden_group_size_y
      - .offset:         32
        .size:           2
        .value_kind:     hidden_group_size_z
      - .offset:         34
        .size:           2
        .value_kind:     hidden_remainder_x
      - .offset:         36
        .size:           2
        .value_kind:     hidden_remainder_y
      - .offset:         38
        .size:           2
        .value_kind:     hidden_remainder_z
      - .offset:         56
        .size:           8
        .value_kind:     hidden_global_offset_x
      - .offset:         64
        .size:           8
        .value_kind:     hidden_global_offset_y
      - .offset:         72
        .size:           8
        .value_kind:     hidden_global_offset_z
      - .offset:         80
        .size:           2
        .value_kind:     hidden_grid_dims
    .group_segment_fixed_size: 8224
    .kernarg_segment_align: 8
    .kernarg_segment_size: 272
    .language:       OpenCL C
    .language_version:
      - 2
      - 0
    .max_flat_workgroup_size: 256
    .name:           _Z16sort_keys_kernelI22helper_blocked_blockediLj256ELj3ELj10EEvPKT0_PS1_
    .private_segment_fixed_size: 0
    .sgpr_count:     24
    .sgpr_spill_count: 0
    .symbol:         _Z16sort_keys_kernelI22helper_blocked_blockediLj256ELj3ELj10EEvPKT0_PS1_.kd
    .uniform_work_group_size: 1
    .uses_dynamic_stack: false
    .vgpr_count:     37
    .vgpr_spill_count: 0
    .wavefront_size: 32
    .workgroup_processor_mode: 1
  - .args:
      - .address_space:  global
        .offset:         0
        .size:           8
        .value_kind:     global_buffer
      - .address_space:  global
        .offset:         8
        .size:           8
        .value_kind:     global_buffer
      - .offset:         16
        .size:           4
        .value_kind:     hidden_block_count_x
      - .offset:         20
        .size:           4
        .value_kind:     hidden_block_count_y
      - .offset:         24
        .size:           4
        .value_kind:     hidden_block_count_z
      - .offset:         28
        .size:           2
        .value_kind:     hidden_group_size_x
      - .offset:         30
        .size:           2
        .value_kind:     hidden_group_size_y
      - .offset:         32
        .size:           2
        .value_kind:     hidden_group_size_z
      - .offset:         34
        .size:           2
        .value_kind:     hidden_remainder_x
      - .offset:         36
        .size:           2
        .value_kind:     hidden_remainder_y
      - .offset:         38
        .size:           2
        .value_kind:     hidden_remainder_z
      - .offset:         56
        .size:           8
        .value_kind:     hidden_global_offset_x
      - .offset:         64
        .size:           8
        .value_kind:     hidden_global_offset_y
      - .offset:         72
        .size:           8
        .value_kind:     hidden_global_offset_z
      - .offset:         80
        .size:           2
        .value_kind:     hidden_grid_dims
    .group_segment_fixed_size: 8224
    .kernarg_segment_align: 8
    .kernarg_segment_size: 272
    .language:       OpenCL C
    .language_version:
      - 2
      - 0
    .max_flat_workgroup_size: 256
    .name:           _Z17sort_pairs_kernelI22helper_blocked_blockediLj256ELj3ELj10EEvPKT0_PS1_
    .private_segment_fixed_size: 0
    .sgpr_count:     24
    .sgpr_spill_count: 0
    .symbol:         _Z17sort_pairs_kernelI22helper_blocked_blockediLj256ELj3ELj10EEvPKT0_PS1_.kd
    .uniform_work_group_size: 1
    .uses_dynamic_stack: false
    .vgpr_count:     40
    .vgpr_spill_count: 0
    .wavefront_size: 32
    .workgroup_processor_mode: 1
  - .args:
      - .address_space:  global
        .offset:         0
        .size:           8
        .value_kind:     global_buffer
      - .address_space:  global
        .offset:         8
        .size:           8
        .value_kind:     global_buffer
      - .offset:         16
        .size:           4
        .value_kind:     hidden_block_count_x
      - .offset:         20
        .size:           4
        .value_kind:     hidden_block_count_y
      - .offset:         24
        .size:           4
        .value_kind:     hidden_block_count_z
      - .offset:         28
        .size:           2
        .value_kind:     hidden_group_size_x
      - .offset:         30
        .size:           2
        .value_kind:     hidden_group_size_y
      - .offset:         32
        .size:           2
        .value_kind:     hidden_group_size_z
      - .offset:         34
        .size:           2
        .value_kind:     hidden_remainder_x
      - .offset:         36
        .size:           2
        .value_kind:     hidden_remainder_y
      - .offset:         38
        .size:           2
        .value_kind:     hidden_remainder_z
      - .offset:         56
        .size:           8
        .value_kind:     hidden_global_offset_x
      - .offset:         64
        .size:           8
        .value_kind:     hidden_global_offset_y
      - .offset:         72
        .size:           8
        .value_kind:     hidden_global_offset_z
      - .offset:         80
        .size:           2
        .value_kind:     hidden_grid_dims
    .group_segment_fixed_size: 8224
    .kernarg_segment_align: 8
    .kernarg_segment_size: 272
    .language:       OpenCL C
    .language_version:
      - 2
      - 0
    .max_flat_workgroup_size: 256
    .name:           _Z16sort_keys_kernelI22helper_blocked_blockediLj256ELj4ELj10EEvPKT0_PS1_
    .private_segment_fixed_size: 0
    .sgpr_count:     26
    .sgpr_spill_count: 0
    .symbol:         _Z16sort_keys_kernelI22helper_blocked_blockediLj256ELj4ELj10EEvPKT0_PS1_.kd
    .uniform_work_group_size: 1
    .uses_dynamic_stack: false
    .vgpr_count:     43
    .vgpr_spill_count: 0
    .wavefront_size: 32
    .workgroup_processor_mode: 1
  - .args:
      - .address_space:  global
        .offset:         0
        .size:           8
        .value_kind:     global_buffer
      - .address_space:  global
        .offset:         8
        .size:           8
        .value_kind:     global_buffer
      - .offset:         16
        .size:           4
        .value_kind:     hidden_block_count_x
      - .offset:         20
        .size:           4
        .value_kind:     hidden_block_count_y
      - .offset:         24
        .size:           4
        .value_kind:     hidden_block_count_z
      - .offset:         28
        .size:           2
        .value_kind:     hidden_group_size_x
      - .offset:         30
        .size:           2
        .value_kind:     hidden_group_size_y
      - .offset:         32
        .size:           2
        .value_kind:     hidden_group_size_z
      - .offset:         34
        .size:           2
        .value_kind:     hidden_remainder_x
      - .offset:         36
        .size:           2
        .value_kind:     hidden_remainder_y
      - .offset:         38
        .size:           2
        .value_kind:     hidden_remainder_z
      - .offset:         56
        .size:           8
        .value_kind:     hidden_global_offset_x
      - .offset:         64
        .size:           8
        .value_kind:     hidden_global_offset_y
      - .offset:         72
        .size:           8
        .value_kind:     hidden_global_offset_z
      - .offset:         80
        .size:           2
        .value_kind:     hidden_grid_dims
    .group_segment_fixed_size: 8224
    .kernarg_segment_align: 8
    .kernarg_segment_size: 272
    .language:       OpenCL C
    .language_version:
      - 2
      - 0
    .max_flat_workgroup_size: 256
    .name:           _Z17sort_pairs_kernelI22helper_blocked_blockediLj256ELj4ELj10EEvPKT0_PS1_
    .private_segment_fixed_size: 0
    .sgpr_count:     26
    .sgpr_spill_count: 0
    .symbol:         _Z17sort_pairs_kernelI22helper_blocked_blockediLj256ELj4ELj10EEvPKT0_PS1_.kd
    .uniform_work_group_size: 1
    .uses_dynamic_stack: false
    .vgpr_count:     47
    .vgpr_spill_count: 0
    .wavefront_size: 32
    .workgroup_processor_mode: 1
  - .args:
      - .address_space:  global
        .offset:         0
        .size:           8
        .value_kind:     global_buffer
      - .address_space:  global
        .offset:         8
        .size:           8
        .value_kind:     global_buffer
      - .offset:         16
        .size:           4
        .value_kind:     hidden_block_count_x
      - .offset:         20
        .size:           4
        .value_kind:     hidden_block_count_y
      - .offset:         24
        .size:           4
        .value_kind:     hidden_block_count_z
      - .offset:         28
        .size:           2
        .value_kind:     hidden_group_size_x
      - .offset:         30
        .size:           2
        .value_kind:     hidden_group_size_y
      - .offset:         32
        .size:           2
        .value_kind:     hidden_group_size_z
      - .offset:         34
        .size:           2
        .value_kind:     hidden_remainder_x
      - .offset:         36
        .size:           2
        .value_kind:     hidden_remainder_y
      - .offset:         38
        .size:           2
        .value_kind:     hidden_remainder_z
      - .offset:         56
        .size:           8
        .value_kind:     hidden_global_offset_x
      - .offset:         64
        .size:           8
        .value_kind:     hidden_global_offset_y
      - .offset:         72
        .size:           8
        .value_kind:     hidden_global_offset_z
      - .offset:         80
        .size:           2
        .value_kind:     hidden_grid_dims
    .group_segment_fixed_size: 8224
    .kernarg_segment_align: 8
    .kernarg_segment_size: 272
    .language:       OpenCL C
    .language_version:
      - 2
      - 0
    .max_flat_workgroup_size: 256
    .name:           _Z16sort_keys_kernelI22helper_blocked_blockediLj256ELj8ELj10EEvPKT0_PS1_
    .private_segment_fixed_size: 0
    .sgpr_count:     24
    .sgpr_spill_count: 0
    .symbol:         _Z16sort_keys_kernelI22helper_blocked_blockediLj256ELj8ELj10EEvPKT0_PS1_.kd
    .uniform_work_group_size: 1
    .uses_dynamic_stack: false
    .vgpr_count:     56
    .vgpr_spill_count: 0
    .wavefront_size: 32
    .workgroup_processor_mode: 1
  - .args:
      - .address_space:  global
        .offset:         0
        .size:           8
        .value_kind:     global_buffer
      - .address_space:  global
        .offset:         8
        .size:           8
        .value_kind:     global_buffer
      - .offset:         16
        .size:           4
        .value_kind:     hidden_block_count_x
      - .offset:         20
        .size:           4
        .value_kind:     hidden_block_count_y
      - .offset:         24
        .size:           4
        .value_kind:     hidden_block_count_z
      - .offset:         28
        .size:           2
        .value_kind:     hidden_group_size_x
      - .offset:         30
        .size:           2
        .value_kind:     hidden_group_size_y
      - .offset:         32
        .size:           2
        .value_kind:     hidden_group_size_z
      - .offset:         34
        .size:           2
        .value_kind:     hidden_remainder_x
      - .offset:         36
        .size:           2
        .value_kind:     hidden_remainder_y
      - .offset:         38
        .size:           2
        .value_kind:     hidden_remainder_z
      - .offset:         56
        .size:           8
        .value_kind:     hidden_global_offset_x
      - .offset:         64
        .size:           8
        .value_kind:     hidden_global_offset_y
      - .offset:         72
        .size:           8
        .value_kind:     hidden_global_offset_z
      - .offset:         80
        .size:           2
        .value_kind:     hidden_grid_dims
    .group_segment_fixed_size: 8224
    .kernarg_segment_align: 8
    .kernarg_segment_size: 272
    .language:       OpenCL C
    .language_version:
      - 2
      - 0
    .max_flat_workgroup_size: 256
    .name:           _Z17sort_pairs_kernelI22helper_blocked_blockediLj256ELj8ELj10EEvPKT0_PS1_
    .private_segment_fixed_size: 0
    .sgpr_count:     24
    .sgpr_spill_count: 0
    .symbol:         _Z17sort_pairs_kernelI22helper_blocked_blockediLj256ELj8ELj10EEvPKT0_PS1_.kd
    .uniform_work_group_size: 1
    .uses_dynamic_stack: false
    .vgpr_count:     64
    .vgpr_spill_count: 0
    .wavefront_size: 32
    .workgroup_processor_mode: 1
  - .args:
      - .address_space:  global
        .offset:         0
        .size:           8
        .value_kind:     global_buffer
      - .address_space:  global
        .offset:         8
        .size:           8
        .value_kind:     global_buffer
      - .offset:         16
        .size:           4
        .value_kind:     hidden_block_count_x
      - .offset:         20
        .size:           4
        .value_kind:     hidden_block_count_y
      - .offset:         24
        .size:           4
        .value_kind:     hidden_block_count_z
      - .offset:         28
        .size:           2
        .value_kind:     hidden_group_size_x
      - .offset:         30
        .size:           2
        .value_kind:     hidden_group_size_y
      - .offset:         32
        .size:           2
        .value_kind:     hidden_group_size_z
      - .offset:         34
        .size:           2
        .value_kind:     hidden_remainder_x
      - .offset:         36
        .size:           2
        .value_kind:     hidden_remainder_y
      - .offset:         38
        .size:           2
        .value_kind:     hidden_remainder_z
      - .offset:         56
        .size:           8
        .value_kind:     hidden_global_offset_x
      - .offset:         64
        .size:           8
        .value_kind:     hidden_global_offset_y
      - .offset:         72
        .size:           8
        .value_kind:     hidden_global_offset_z
      - .offset:         80
        .size:           2
        .value_kind:     hidden_grid_dims
    .group_segment_fixed_size: 10288
    .kernarg_segment_align: 8
    .kernarg_segment_size: 272
    .language:       OpenCL C
    .language_version:
      - 2
      - 0
    .max_flat_workgroup_size: 320
    .name:           _Z16sort_keys_kernelI22helper_blocked_blockediLj320ELj1ELj10EEvPKT0_PS1_
    .private_segment_fixed_size: 0
    .sgpr_count:     24
    .sgpr_spill_count: 0
    .symbol:         _Z16sort_keys_kernelI22helper_blocked_blockediLj320ELj1ELj10EEvPKT0_PS1_.kd
    .uniform_work_group_size: 1
    .uses_dynamic_stack: false
    .vgpr_count:     26
    .vgpr_spill_count: 0
    .wavefront_size: 32
    .workgroup_processor_mode: 1
  - .args:
      - .address_space:  global
        .offset:         0
        .size:           8
        .value_kind:     global_buffer
      - .address_space:  global
        .offset:         8
        .size:           8
        .value_kind:     global_buffer
      - .offset:         16
        .size:           4
        .value_kind:     hidden_block_count_x
      - .offset:         20
        .size:           4
        .value_kind:     hidden_block_count_y
      - .offset:         24
        .size:           4
        .value_kind:     hidden_block_count_z
      - .offset:         28
        .size:           2
        .value_kind:     hidden_group_size_x
      - .offset:         30
        .size:           2
        .value_kind:     hidden_group_size_y
      - .offset:         32
        .size:           2
        .value_kind:     hidden_group_size_z
      - .offset:         34
        .size:           2
        .value_kind:     hidden_remainder_x
      - .offset:         36
        .size:           2
        .value_kind:     hidden_remainder_y
      - .offset:         38
        .size:           2
        .value_kind:     hidden_remainder_z
      - .offset:         56
        .size:           8
        .value_kind:     hidden_global_offset_x
      - .offset:         64
        .size:           8
        .value_kind:     hidden_global_offset_y
      - .offset:         72
        .size:           8
        .value_kind:     hidden_global_offset_z
      - .offset:         80
        .size:           2
        .value_kind:     hidden_grid_dims
    .group_segment_fixed_size: 10288
    .kernarg_segment_align: 8
    .kernarg_segment_size: 272
    .language:       OpenCL C
    .language_version:
      - 2
      - 0
    .max_flat_workgroup_size: 320
    .name:           _Z17sort_pairs_kernelI22helper_blocked_blockediLj320ELj1ELj10EEvPKT0_PS1_
    .private_segment_fixed_size: 0
    .sgpr_count:     24
    .sgpr_spill_count: 0
    .symbol:         _Z17sort_pairs_kernelI22helper_blocked_blockediLj320ELj1ELj10EEvPKT0_PS1_.kd
    .uniform_work_group_size: 1
    .uses_dynamic_stack: false
    .vgpr_count:     27
    .vgpr_spill_count: 0
    .wavefront_size: 32
    .workgroup_processor_mode: 1
  - .args:
      - .address_space:  global
        .offset:         0
        .size:           8
        .value_kind:     global_buffer
      - .address_space:  global
        .offset:         8
        .size:           8
        .value_kind:     global_buffer
      - .offset:         16
        .size:           4
        .value_kind:     hidden_block_count_x
      - .offset:         20
        .size:           4
        .value_kind:     hidden_block_count_y
      - .offset:         24
        .size:           4
        .value_kind:     hidden_block_count_z
      - .offset:         28
        .size:           2
        .value_kind:     hidden_group_size_x
      - .offset:         30
        .size:           2
        .value_kind:     hidden_group_size_y
      - .offset:         32
        .size:           2
        .value_kind:     hidden_group_size_z
      - .offset:         34
        .size:           2
        .value_kind:     hidden_remainder_x
      - .offset:         36
        .size:           2
        .value_kind:     hidden_remainder_y
      - .offset:         38
        .size:           2
        .value_kind:     hidden_remainder_z
      - .offset:         56
        .size:           8
        .value_kind:     hidden_global_offset_x
      - .offset:         64
        .size:           8
        .value_kind:     hidden_global_offset_y
      - .offset:         72
        .size:           8
        .value_kind:     hidden_global_offset_z
      - .offset:         80
        .size:           2
        .value_kind:     hidden_grid_dims
    .group_segment_fixed_size: 10288
    .kernarg_segment_align: 8
    .kernarg_segment_size: 272
    .language:       OpenCL C
    .language_version:
      - 2
      - 0
    .max_flat_workgroup_size: 320
    .name:           _Z16sort_keys_kernelI22helper_blocked_blockediLj320ELj3ELj10EEvPKT0_PS1_
    .private_segment_fixed_size: 0
    .sgpr_count:     22
    .sgpr_spill_count: 0
    .symbol:         _Z16sort_keys_kernelI22helper_blocked_blockediLj320ELj3ELj10EEvPKT0_PS1_.kd
    .uniform_work_group_size: 1
    .uses_dynamic_stack: false
    .vgpr_count:     37
    .vgpr_spill_count: 0
    .wavefront_size: 32
    .workgroup_processor_mode: 1
  - .args:
      - .address_space:  global
        .offset:         0
        .size:           8
        .value_kind:     global_buffer
      - .address_space:  global
        .offset:         8
        .size:           8
        .value_kind:     global_buffer
      - .offset:         16
        .size:           4
        .value_kind:     hidden_block_count_x
      - .offset:         20
        .size:           4
        .value_kind:     hidden_block_count_y
      - .offset:         24
        .size:           4
        .value_kind:     hidden_block_count_z
      - .offset:         28
        .size:           2
        .value_kind:     hidden_group_size_x
      - .offset:         30
        .size:           2
        .value_kind:     hidden_group_size_y
      - .offset:         32
        .size:           2
        .value_kind:     hidden_group_size_z
      - .offset:         34
        .size:           2
        .value_kind:     hidden_remainder_x
      - .offset:         36
        .size:           2
        .value_kind:     hidden_remainder_y
      - .offset:         38
        .size:           2
        .value_kind:     hidden_remainder_z
      - .offset:         56
        .size:           8
        .value_kind:     hidden_global_offset_x
      - .offset:         64
        .size:           8
        .value_kind:     hidden_global_offset_y
      - .offset:         72
        .size:           8
        .value_kind:     hidden_global_offset_z
      - .offset:         80
        .size:           2
        .value_kind:     hidden_grid_dims
    .group_segment_fixed_size: 10288
    .kernarg_segment_align: 8
    .kernarg_segment_size: 272
    .language:       OpenCL C
    .language_version:
      - 2
      - 0
    .max_flat_workgroup_size: 320
    .name:           _Z17sort_pairs_kernelI22helper_blocked_blockediLj320ELj3ELj10EEvPKT0_PS1_
    .private_segment_fixed_size: 0
    .sgpr_count:     22
    .sgpr_spill_count: 0
    .symbol:         _Z17sort_pairs_kernelI22helper_blocked_blockediLj320ELj3ELj10EEvPKT0_PS1_.kd
    .uniform_work_group_size: 1
    .uses_dynamic_stack: false
    .vgpr_count:     40
    .vgpr_spill_count: 0
    .wavefront_size: 32
    .workgroup_processor_mode: 1
  - .args:
      - .address_space:  global
        .offset:         0
        .size:           8
        .value_kind:     global_buffer
      - .address_space:  global
        .offset:         8
        .size:           8
        .value_kind:     global_buffer
      - .offset:         16
        .size:           4
        .value_kind:     hidden_block_count_x
      - .offset:         20
        .size:           4
        .value_kind:     hidden_block_count_y
      - .offset:         24
        .size:           4
        .value_kind:     hidden_block_count_z
      - .offset:         28
        .size:           2
        .value_kind:     hidden_group_size_x
      - .offset:         30
        .size:           2
        .value_kind:     hidden_group_size_y
      - .offset:         32
        .size:           2
        .value_kind:     hidden_group_size_z
      - .offset:         34
        .size:           2
        .value_kind:     hidden_remainder_x
      - .offset:         36
        .size:           2
        .value_kind:     hidden_remainder_y
      - .offset:         38
        .size:           2
        .value_kind:     hidden_remainder_z
      - .offset:         56
        .size:           8
        .value_kind:     hidden_global_offset_x
      - .offset:         64
        .size:           8
        .value_kind:     hidden_global_offset_y
      - .offset:         72
        .size:           8
        .value_kind:     hidden_global_offset_z
      - .offset:         80
        .size:           2
        .value_kind:     hidden_grid_dims
    .group_segment_fixed_size: 10288
    .kernarg_segment_align: 8
    .kernarg_segment_size: 272
    .language:       OpenCL C
    .language_version:
      - 2
      - 0
    .max_flat_workgroup_size: 320
    .name:           _Z16sort_keys_kernelI22helper_blocked_blockediLj320ELj4ELj10EEvPKT0_PS1_
    .private_segment_fixed_size: 0
    .sgpr_count:     24
    .sgpr_spill_count: 0
    .symbol:         _Z16sort_keys_kernelI22helper_blocked_blockediLj320ELj4ELj10EEvPKT0_PS1_.kd
    .uniform_work_group_size: 1
    .uses_dynamic_stack: false
    .vgpr_count:     43
    .vgpr_spill_count: 0
    .wavefront_size: 32
    .workgroup_processor_mode: 1
  - .args:
      - .address_space:  global
        .offset:         0
        .size:           8
        .value_kind:     global_buffer
      - .address_space:  global
        .offset:         8
        .size:           8
        .value_kind:     global_buffer
      - .offset:         16
        .size:           4
        .value_kind:     hidden_block_count_x
      - .offset:         20
        .size:           4
        .value_kind:     hidden_block_count_y
      - .offset:         24
        .size:           4
        .value_kind:     hidden_block_count_z
      - .offset:         28
        .size:           2
        .value_kind:     hidden_group_size_x
      - .offset:         30
        .size:           2
        .value_kind:     hidden_group_size_y
      - .offset:         32
        .size:           2
        .value_kind:     hidden_group_size_z
      - .offset:         34
        .size:           2
        .value_kind:     hidden_remainder_x
      - .offset:         36
        .size:           2
        .value_kind:     hidden_remainder_y
      - .offset:         38
        .size:           2
        .value_kind:     hidden_remainder_z
      - .offset:         56
        .size:           8
        .value_kind:     hidden_global_offset_x
      - .offset:         64
        .size:           8
        .value_kind:     hidden_global_offset_y
      - .offset:         72
        .size:           8
        .value_kind:     hidden_global_offset_z
      - .offset:         80
        .size:           2
        .value_kind:     hidden_grid_dims
    .group_segment_fixed_size: 10288
    .kernarg_segment_align: 8
    .kernarg_segment_size: 272
    .language:       OpenCL C
    .language_version:
      - 2
      - 0
    .max_flat_workgroup_size: 320
    .name:           _Z17sort_pairs_kernelI22helper_blocked_blockediLj320ELj4ELj10EEvPKT0_PS1_
    .private_segment_fixed_size: 0
    .sgpr_count:     24
    .sgpr_spill_count: 0
    .symbol:         _Z17sort_pairs_kernelI22helper_blocked_blockediLj320ELj4ELj10EEvPKT0_PS1_.kd
    .uniform_work_group_size: 1
    .uses_dynamic_stack: false
    .vgpr_count:     47
    .vgpr_spill_count: 0
    .wavefront_size: 32
    .workgroup_processor_mode: 1
  - .args:
      - .address_space:  global
        .offset:         0
        .size:           8
        .value_kind:     global_buffer
      - .address_space:  global
        .offset:         8
        .size:           8
        .value_kind:     global_buffer
      - .offset:         16
        .size:           4
        .value_kind:     hidden_block_count_x
      - .offset:         20
        .size:           4
        .value_kind:     hidden_block_count_y
      - .offset:         24
        .size:           4
        .value_kind:     hidden_block_count_z
      - .offset:         28
        .size:           2
        .value_kind:     hidden_group_size_x
      - .offset:         30
        .size:           2
        .value_kind:     hidden_group_size_y
      - .offset:         32
        .size:           2
        .value_kind:     hidden_group_size_z
      - .offset:         34
        .size:           2
        .value_kind:     hidden_remainder_x
      - .offset:         36
        .size:           2
        .value_kind:     hidden_remainder_y
      - .offset:         38
        .size:           2
        .value_kind:     hidden_remainder_z
      - .offset:         56
        .size:           8
        .value_kind:     hidden_global_offset_x
      - .offset:         64
        .size:           8
        .value_kind:     hidden_global_offset_y
      - .offset:         72
        .size:           8
        .value_kind:     hidden_global_offset_z
      - .offset:         80
        .size:           2
        .value_kind:     hidden_grid_dims
    .group_segment_fixed_size: 10560
    .kernarg_segment_align: 8
    .kernarg_segment_size: 272
    .language:       OpenCL C
    .language_version:
      - 2
      - 0
    .max_flat_workgroup_size: 320
    .name:           _Z16sort_keys_kernelI22helper_blocked_blockediLj320ELj8ELj10EEvPKT0_PS1_
    .private_segment_fixed_size: 0
    .sgpr_count:     22
    .sgpr_spill_count: 0
    .symbol:         _Z16sort_keys_kernelI22helper_blocked_blockediLj320ELj8ELj10EEvPKT0_PS1_.kd
    .uniform_work_group_size: 1
    .uses_dynamic_stack: false
    .vgpr_count:     63
    .vgpr_spill_count: 0
    .wavefront_size: 32
    .workgroup_processor_mode: 1
  - .args:
      - .address_space:  global
        .offset:         0
        .size:           8
        .value_kind:     global_buffer
      - .address_space:  global
        .offset:         8
        .size:           8
        .value_kind:     global_buffer
      - .offset:         16
        .size:           4
        .value_kind:     hidden_block_count_x
      - .offset:         20
        .size:           4
        .value_kind:     hidden_block_count_y
      - .offset:         24
        .size:           4
        .value_kind:     hidden_block_count_z
      - .offset:         28
        .size:           2
        .value_kind:     hidden_group_size_x
      - .offset:         30
        .size:           2
        .value_kind:     hidden_group_size_y
      - .offset:         32
        .size:           2
        .value_kind:     hidden_group_size_z
      - .offset:         34
        .size:           2
        .value_kind:     hidden_remainder_x
      - .offset:         36
        .size:           2
        .value_kind:     hidden_remainder_y
      - .offset:         38
        .size:           2
        .value_kind:     hidden_remainder_z
      - .offset:         56
        .size:           8
        .value_kind:     hidden_global_offset_x
      - .offset:         64
        .size:           8
        .value_kind:     hidden_global_offset_y
      - .offset:         72
        .size:           8
        .value_kind:     hidden_global_offset_z
      - .offset:         80
        .size:           2
        .value_kind:     hidden_grid_dims
    .group_segment_fixed_size: 10560
    .kernarg_segment_align: 8
    .kernarg_segment_size: 272
    .language:       OpenCL C
    .language_version:
      - 2
      - 0
    .max_flat_workgroup_size: 320
    .name:           _Z17sort_pairs_kernelI22helper_blocked_blockediLj320ELj8ELj10EEvPKT0_PS1_
    .private_segment_fixed_size: 0
    .sgpr_count:     22
    .sgpr_spill_count: 0
    .symbol:         _Z17sort_pairs_kernelI22helper_blocked_blockediLj320ELj8ELj10EEvPKT0_PS1_.kd
    .uniform_work_group_size: 1
    .uses_dynamic_stack: false
    .vgpr_count:     71
    .vgpr_spill_count: 0
    .wavefront_size: 32
    .workgroup_processor_mode: 1
  - .args:
      - .address_space:  global
        .offset:         0
        .size:           8
        .value_kind:     global_buffer
      - .address_space:  global
        .offset:         8
        .size:           8
        .value_kind:     global_buffer
      - .offset:         16
        .size:           4
        .value_kind:     hidden_block_count_x
      - .offset:         20
        .size:           4
        .value_kind:     hidden_block_count_y
      - .offset:         24
        .size:           4
        .value_kind:     hidden_block_count_z
      - .offset:         28
        .size:           2
        .value_kind:     hidden_group_size_x
      - .offset:         30
        .size:           2
        .value_kind:     hidden_group_size_y
      - .offset:         32
        .size:           2
        .value_kind:     hidden_group_size_z
      - .offset:         34
        .size:           2
        .value_kind:     hidden_remainder_x
      - .offset:         36
        .size:           2
        .value_kind:     hidden_remainder_y
      - .offset:         38
        .size:           2
        .value_kind:     hidden_remainder_z
      - .offset:         56
        .size:           8
        .value_kind:     hidden_global_offset_x
      - .offset:         64
        .size:           8
        .value_kind:     hidden_global_offset_y
      - .offset:         72
        .size:           8
        .value_kind:     hidden_global_offset_z
      - .offset:         80
        .size:           2
        .value_kind:     hidden_grid_dims
    .group_segment_fixed_size: 16448
    .kernarg_segment_align: 8
    .kernarg_segment_size: 272
    .language:       OpenCL C
    .language_version:
      - 2
      - 0
    .max_flat_workgroup_size: 512
    .name:           _Z16sort_keys_kernelI22helper_blocked_blockediLj512ELj1ELj10EEvPKT0_PS1_
    .private_segment_fixed_size: 0
    .sgpr_count:     24
    .sgpr_spill_count: 0
    .symbol:         _Z16sort_keys_kernelI22helper_blocked_blockediLj512ELj1ELj10EEvPKT0_PS1_.kd
    .uniform_work_group_size: 1
    .uses_dynamic_stack: false
    .vgpr_count:     26
    .vgpr_spill_count: 0
    .wavefront_size: 32
    .workgroup_processor_mode: 1
  - .args:
      - .address_space:  global
        .offset:         0
        .size:           8
        .value_kind:     global_buffer
      - .address_space:  global
        .offset:         8
        .size:           8
        .value_kind:     global_buffer
      - .offset:         16
        .size:           4
        .value_kind:     hidden_block_count_x
      - .offset:         20
        .size:           4
        .value_kind:     hidden_block_count_y
      - .offset:         24
        .size:           4
        .value_kind:     hidden_block_count_z
      - .offset:         28
        .size:           2
        .value_kind:     hidden_group_size_x
      - .offset:         30
        .size:           2
        .value_kind:     hidden_group_size_y
      - .offset:         32
        .size:           2
        .value_kind:     hidden_group_size_z
      - .offset:         34
        .size:           2
        .value_kind:     hidden_remainder_x
      - .offset:         36
        .size:           2
        .value_kind:     hidden_remainder_y
      - .offset:         38
        .size:           2
        .value_kind:     hidden_remainder_z
      - .offset:         56
        .size:           8
        .value_kind:     hidden_global_offset_x
      - .offset:         64
        .size:           8
        .value_kind:     hidden_global_offset_y
      - .offset:         72
        .size:           8
        .value_kind:     hidden_global_offset_z
      - .offset:         80
        .size:           2
        .value_kind:     hidden_grid_dims
    .group_segment_fixed_size: 16448
    .kernarg_segment_align: 8
    .kernarg_segment_size: 272
    .language:       OpenCL C
    .language_version:
      - 2
      - 0
    .max_flat_workgroup_size: 512
    .name:           _Z17sort_pairs_kernelI22helper_blocked_blockediLj512ELj1ELj10EEvPKT0_PS1_
    .private_segment_fixed_size: 0
    .sgpr_count:     24
    .sgpr_spill_count: 0
    .symbol:         _Z17sort_pairs_kernelI22helper_blocked_blockediLj512ELj1ELj10EEvPKT0_PS1_.kd
    .uniform_work_group_size: 1
    .uses_dynamic_stack: false
    .vgpr_count:     27
    .vgpr_spill_count: 0
    .wavefront_size: 32
    .workgroup_processor_mode: 1
  - .args:
      - .address_space:  global
        .offset:         0
        .size:           8
        .value_kind:     global_buffer
      - .address_space:  global
        .offset:         8
        .size:           8
        .value_kind:     global_buffer
      - .offset:         16
        .size:           4
        .value_kind:     hidden_block_count_x
      - .offset:         20
        .size:           4
        .value_kind:     hidden_block_count_y
      - .offset:         24
        .size:           4
        .value_kind:     hidden_block_count_z
      - .offset:         28
        .size:           2
        .value_kind:     hidden_group_size_x
      - .offset:         30
        .size:           2
        .value_kind:     hidden_group_size_y
      - .offset:         32
        .size:           2
        .value_kind:     hidden_group_size_z
      - .offset:         34
        .size:           2
        .value_kind:     hidden_remainder_x
      - .offset:         36
        .size:           2
        .value_kind:     hidden_remainder_y
      - .offset:         38
        .size:           2
        .value_kind:     hidden_remainder_z
      - .offset:         56
        .size:           8
        .value_kind:     hidden_global_offset_x
      - .offset:         64
        .size:           8
        .value_kind:     hidden_global_offset_y
      - .offset:         72
        .size:           8
        .value_kind:     hidden_global_offset_z
      - .offset:         80
        .size:           2
        .value_kind:     hidden_grid_dims
    .group_segment_fixed_size: 16448
    .kernarg_segment_align: 8
    .kernarg_segment_size: 272
    .language:       OpenCL C
    .language_version:
      - 2
      - 0
    .max_flat_workgroup_size: 512
    .name:           _Z16sort_keys_kernelI22helper_blocked_blockediLj512ELj3ELj10EEvPKT0_PS1_
    .private_segment_fixed_size: 0
    .sgpr_count:     22
    .sgpr_spill_count: 0
    .symbol:         _Z16sort_keys_kernelI22helper_blocked_blockediLj512ELj3ELj10EEvPKT0_PS1_.kd
    .uniform_work_group_size: 1
    .uses_dynamic_stack: false
    .vgpr_count:     37
    .vgpr_spill_count: 0
    .wavefront_size: 32
    .workgroup_processor_mode: 1
  - .args:
      - .address_space:  global
        .offset:         0
        .size:           8
        .value_kind:     global_buffer
      - .address_space:  global
        .offset:         8
        .size:           8
        .value_kind:     global_buffer
      - .offset:         16
        .size:           4
        .value_kind:     hidden_block_count_x
      - .offset:         20
        .size:           4
        .value_kind:     hidden_block_count_y
      - .offset:         24
        .size:           4
        .value_kind:     hidden_block_count_z
      - .offset:         28
        .size:           2
        .value_kind:     hidden_group_size_x
      - .offset:         30
        .size:           2
        .value_kind:     hidden_group_size_y
      - .offset:         32
        .size:           2
        .value_kind:     hidden_group_size_z
      - .offset:         34
        .size:           2
        .value_kind:     hidden_remainder_x
      - .offset:         36
        .size:           2
        .value_kind:     hidden_remainder_y
      - .offset:         38
        .size:           2
        .value_kind:     hidden_remainder_z
      - .offset:         56
        .size:           8
        .value_kind:     hidden_global_offset_x
      - .offset:         64
        .size:           8
        .value_kind:     hidden_global_offset_y
      - .offset:         72
        .size:           8
        .value_kind:     hidden_global_offset_z
      - .offset:         80
        .size:           2
        .value_kind:     hidden_grid_dims
    .group_segment_fixed_size: 16448
    .kernarg_segment_align: 8
    .kernarg_segment_size: 272
    .language:       OpenCL C
    .language_version:
      - 2
      - 0
    .max_flat_workgroup_size: 512
    .name:           _Z17sort_pairs_kernelI22helper_blocked_blockediLj512ELj3ELj10EEvPKT0_PS1_
    .private_segment_fixed_size: 0
    .sgpr_count:     22
    .sgpr_spill_count: 0
    .symbol:         _Z17sort_pairs_kernelI22helper_blocked_blockediLj512ELj3ELj10EEvPKT0_PS1_.kd
    .uniform_work_group_size: 1
    .uses_dynamic_stack: false
    .vgpr_count:     40
    .vgpr_spill_count: 0
    .wavefront_size: 32
    .workgroup_processor_mode: 1
  - .args:
      - .address_space:  global
        .offset:         0
        .size:           8
        .value_kind:     global_buffer
      - .address_space:  global
        .offset:         8
        .size:           8
        .value_kind:     global_buffer
      - .offset:         16
        .size:           4
        .value_kind:     hidden_block_count_x
      - .offset:         20
        .size:           4
        .value_kind:     hidden_block_count_y
      - .offset:         24
        .size:           4
        .value_kind:     hidden_block_count_z
      - .offset:         28
        .size:           2
        .value_kind:     hidden_group_size_x
      - .offset:         30
        .size:           2
        .value_kind:     hidden_group_size_y
      - .offset:         32
        .size:           2
        .value_kind:     hidden_group_size_z
      - .offset:         34
        .size:           2
        .value_kind:     hidden_remainder_x
      - .offset:         36
        .size:           2
        .value_kind:     hidden_remainder_y
      - .offset:         38
        .size:           2
        .value_kind:     hidden_remainder_z
      - .offset:         56
        .size:           8
        .value_kind:     hidden_global_offset_x
      - .offset:         64
        .size:           8
        .value_kind:     hidden_global_offset_y
      - .offset:         72
        .size:           8
        .value_kind:     hidden_global_offset_z
      - .offset:         80
        .size:           2
        .value_kind:     hidden_grid_dims
    .group_segment_fixed_size: 16448
    .kernarg_segment_align: 8
    .kernarg_segment_size: 272
    .language:       OpenCL C
    .language_version:
      - 2
      - 0
    .max_flat_workgroup_size: 512
    .name:           _Z16sort_keys_kernelI22helper_blocked_blockediLj512ELj4ELj10EEvPKT0_PS1_
    .private_segment_fixed_size: 0
    .sgpr_count:     24
    .sgpr_spill_count: 0
    .symbol:         _Z16sort_keys_kernelI22helper_blocked_blockediLj512ELj4ELj10EEvPKT0_PS1_.kd
    .uniform_work_group_size: 1
    .uses_dynamic_stack: false
    .vgpr_count:     43
    .vgpr_spill_count: 0
    .wavefront_size: 32
    .workgroup_processor_mode: 1
  - .args:
      - .address_space:  global
        .offset:         0
        .size:           8
        .value_kind:     global_buffer
      - .address_space:  global
        .offset:         8
        .size:           8
        .value_kind:     global_buffer
      - .offset:         16
        .size:           4
        .value_kind:     hidden_block_count_x
      - .offset:         20
        .size:           4
        .value_kind:     hidden_block_count_y
      - .offset:         24
        .size:           4
        .value_kind:     hidden_block_count_z
      - .offset:         28
        .size:           2
        .value_kind:     hidden_group_size_x
      - .offset:         30
        .size:           2
        .value_kind:     hidden_group_size_y
      - .offset:         32
        .size:           2
        .value_kind:     hidden_group_size_z
      - .offset:         34
        .size:           2
        .value_kind:     hidden_remainder_x
      - .offset:         36
        .size:           2
        .value_kind:     hidden_remainder_y
      - .offset:         38
        .size:           2
        .value_kind:     hidden_remainder_z
      - .offset:         56
        .size:           8
        .value_kind:     hidden_global_offset_x
      - .offset:         64
        .size:           8
        .value_kind:     hidden_global_offset_y
      - .offset:         72
        .size:           8
        .value_kind:     hidden_global_offset_z
      - .offset:         80
        .size:           2
        .value_kind:     hidden_grid_dims
    .group_segment_fixed_size: 16448
    .kernarg_segment_align: 8
    .kernarg_segment_size: 272
    .language:       OpenCL C
    .language_version:
      - 2
      - 0
    .max_flat_workgroup_size: 512
    .name:           _Z17sort_pairs_kernelI22helper_blocked_blockediLj512ELj4ELj10EEvPKT0_PS1_
    .private_segment_fixed_size: 0
    .sgpr_count:     24
    .sgpr_spill_count: 0
    .symbol:         _Z17sort_pairs_kernelI22helper_blocked_blockediLj512ELj4ELj10EEvPKT0_PS1_.kd
    .uniform_work_group_size: 1
    .uses_dynamic_stack: false
    .vgpr_count:     47
    .vgpr_spill_count: 0
    .wavefront_size: 32
    .workgroup_processor_mode: 1
  - .args:
      - .address_space:  global
        .offset:         0
        .size:           8
        .value_kind:     global_buffer
      - .address_space:  global
        .offset:         8
        .size:           8
        .value_kind:     global_buffer
      - .offset:         16
        .size:           4
        .value_kind:     hidden_block_count_x
      - .offset:         20
        .size:           4
        .value_kind:     hidden_block_count_y
      - .offset:         24
        .size:           4
        .value_kind:     hidden_block_count_z
      - .offset:         28
        .size:           2
        .value_kind:     hidden_group_size_x
      - .offset:         30
        .size:           2
        .value_kind:     hidden_group_size_y
      - .offset:         32
        .size:           2
        .value_kind:     hidden_group_size_z
      - .offset:         34
        .size:           2
        .value_kind:     hidden_remainder_x
      - .offset:         36
        .size:           2
        .value_kind:     hidden_remainder_y
      - .offset:         38
        .size:           2
        .value_kind:     hidden_remainder_z
      - .offset:         56
        .size:           8
        .value_kind:     hidden_global_offset_x
      - .offset:         64
        .size:           8
        .value_kind:     hidden_global_offset_y
      - .offset:         72
        .size:           8
        .value_kind:     hidden_global_offset_z
      - .offset:         80
        .size:           2
        .value_kind:     hidden_grid_dims
    .group_segment_fixed_size: 16448
    .kernarg_segment_align: 8
    .kernarg_segment_size: 272
    .language:       OpenCL C
    .language_version:
      - 2
      - 0
    .max_flat_workgroup_size: 512
    .name:           _Z16sort_keys_kernelI22helper_blocked_blockediLj512ELj8ELj10EEvPKT0_PS1_
    .private_segment_fixed_size: 0
    .sgpr_count:     22
    .sgpr_spill_count: 0
    .symbol:         _Z16sort_keys_kernelI22helper_blocked_blockediLj512ELj8ELj10EEvPKT0_PS1_.kd
    .uniform_work_group_size: 1
    .uses_dynamic_stack: false
    .vgpr_count:     56
    .vgpr_spill_count: 0
    .wavefront_size: 32
    .workgroup_processor_mode: 1
  - .args:
      - .address_space:  global
        .offset:         0
        .size:           8
        .value_kind:     global_buffer
      - .address_space:  global
        .offset:         8
        .size:           8
        .value_kind:     global_buffer
      - .offset:         16
        .size:           4
        .value_kind:     hidden_block_count_x
      - .offset:         20
        .size:           4
        .value_kind:     hidden_block_count_y
      - .offset:         24
        .size:           4
        .value_kind:     hidden_block_count_z
      - .offset:         28
        .size:           2
        .value_kind:     hidden_group_size_x
      - .offset:         30
        .size:           2
        .value_kind:     hidden_group_size_y
      - .offset:         32
        .size:           2
        .value_kind:     hidden_group_size_z
      - .offset:         34
        .size:           2
        .value_kind:     hidden_remainder_x
      - .offset:         36
        .size:           2
        .value_kind:     hidden_remainder_y
      - .offset:         38
        .size:           2
        .value_kind:     hidden_remainder_z
      - .offset:         56
        .size:           8
        .value_kind:     hidden_global_offset_x
      - .offset:         64
        .size:           8
        .value_kind:     hidden_global_offset_y
      - .offset:         72
        .size:           8
        .value_kind:     hidden_global_offset_z
      - .offset:         80
        .size:           2
        .value_kind:     hidden_grid_dims
    .group_segment_fixed_size: 16448
    .kernarg_segment_align: 8
    .kernarg_segment_size: 272
    .language:       OpenCL C
    .language_version:
      - 2
      - 0
    .max_flat_workgroup_size: 512
    .name:           _Z17sort_pairs_kernelI22helper_blocked_blockediLj512ELj8ELj10EEvPKT0_PS1_
    .private_segment_fixed_size: 0
    .sgpr_count:     22
    .sgpr_spill_count: 0
    .symbol:         _Z17sort_pairs_kernelI22helper_blocked_blockediLj512ELj8ELj10EEvPKT0_PS1_.kd
    .uniform_work_group_size: 1
    .uses_dynamic_stack: false
    .vgpr_count:     64
    .vgpr_spill_count: 0
    .wavefront_size: 32
    .workgroup_processor_mode: 1
  - .args:
      - .address_space:  global
        .offset:         0
        .size:           8
        .value_kind:     global_buffer
      - .address_space:  global
        .offset:         8
        .size:           8
        .value_kind:     global_buffer
      - .offset:         16
        .size:           4
        .value_kind:     hidden_block_count_x
      - .offset:         20
        .size:           4
        .value_kind:     hidden_block_count_y
      - .offset:         24
        .size:           4
        .value_kind:     hidden_block_count_z
      - .offset:         28
        .size:           2
        .value_kind:     hidden_group_size_x
      - .offset:         30
        .size:           2
        .value_kind:     hidden_group_size_y
      - .offset:         32
        .size:           2
        .value_kind:     hidden_group_size_z
      - .offset:         34
        .size:           2
        .value_kind:     hidden_remainder_x
      - .offset:         36
        .size:           2
        .value_kind:     hidden_remainder_y
      - .offset:         38
        .size:           2
        .value_kind:     hidden_remainder_z
      - .offset:         56
        .size:           8
        .value_kind:     hidden_global_offset_x
      - .offset:         64
        .size:           8
        .value_kind:     hidden_global_offset_y
      - .offset:         72
        .size:           8
        .value_kind:     hidden_global_offset_z
      - .offset:         80
        .size:           2
        .value_kind:     hidden_grid_dims
    .group_segment_fixed_size: 2064
    .kernarg_segment_align: 8
    .kernarg_segment_size: 272
    .language:       OpenCL C
    .language_version:
      - 2
      - 0
    .max_flat_workgroup_size: 64
    .name:           _Z16sort_keys_kernelI22helper_blocked_blockedaLj64ELj1ELj10EEvPKT0_PS1_
    .private_segment_fixed_size: 0
    .sgpr_count:     22
    .sgpr_spill_count: 0
    .symbol:         _Z16sort_keys_kernelI22helper_blocked_blockedaLj64ELj1ELj10EEvPKT0_PS1_.kd
    .uniform_work_group_size: 1
    .uses_dynamic_stack: false
    .vgpr_count:     25
    .vgpr_spill_count: 0
    .wavefront_size: 32
    .workgroup_processor_mode: 1
  - .args:
      - .address_space:  global
        .offset:         0
        .size:           8
        .value_kind:     global_buffer
      - .address_space:  global
        .offset:         8
        .size:           8
        .value_kind:     global_buffer
      - .offset:         16
        .size:           4
        .value_kind:     hidden_block_count_x
      - .offset:         20
        .size:           4
        .value_kind:     hidden_block_count_y
      - .offset:         24
        .size:           4
        .value_kind:     hidden_block_count_z
      - .offset:         28
        .size:           2
        .value_kind:     hidden_group_size_x
      - .offset:         30
        .size:           2
        .value_kind:     hidden_group_size_y
      - .offset:         32
        .size:           2
        .value_kind:     hidden_group_size_z
      - .offset:         34
        .size:           2
        .value_kind:     hidden_remainder_x
      - .offset:         36
        .size:           2
        .value_kind:     hidden_remainder_y
      - .offset:         38
        .size:           2
        .value_kind:     hidden_remainder_z
      - .offset:         56
        .size:           8
        .value_kind:     hidden_global_offset_x
      - .offset:         64
        .size:           8
        .value_kind:     hidden_global_offset_y
      - .offset:         72
        .size:           8
        .value_kind:     hidden_global_offset_z
      - .offset:         80
        .size:           2
        .value_kind:     hidden_grid_dims
    .group_segment_fixed_size: 2064
    .kernarg_segment_align: 8
    .kernarg_segment_size: 272
    .language:       OpenCL C
    .language_version:
      - 2
      - 0
    .max_flat_workgroup_size: 64
    .name:           _Z17sort_pairs_kernelI22helper_blocked_blockedaLj64ELj1ELj10EEvPKT0_PS1_
    .private_segment_fixed_size: 0
    .sgpr_count:     22
    .sgpr_spill_count: 0
    .symbol:         _Z17sort_pairs_kernelI22helper_blocked_blockedaLj64ELj1ELj10EEvPKT0_PS1_.kd
    .uniform_work_group_size: 1
    .uses_dynamic_stack: false
    .vgpr_count:     26
    .vgpr_spill_count: 0
    .wavefront_size: 32
    .workgroup_processor_mode: 1
  - .args:
      - .address_space:  global
        .offset:         0
        .size:           8
        .value_kind:     global_buffer
      - .address_space:  global
        .offset:         8
        .size:           8
        .value_kind:     global_buffer
      - .offset:         16
        .size:           4
        .value_kind:     hidden_block_count_x
      - .offset:         20
        .size:           4
        .value_kind:     hidden_block_count_y
      - .offset:         24
        .size:           4
        .value_kind:     hidden_block_count_z
      - .offset:         28
        .size:           2
        .value_kind:     hidden_group_size_x
      - .offset:         30
        .size:           2
        .value_kind:     hidden_group_size_y
      - .offset:         32
        .size:           2
        .value_kind:     hidden_group_size_z
      - .offset:         34
        .size:           2
        .value_kind:     hidden_remainder_x
      - .offset:         36
        .size:           2
        .value_kind:     hidden_remainder_y
      - .offset:         38
        .size:           2
        .value_kind:     hidden_remainder_z
      - .offset:         56
        .size:           8
        .value_kind:     hidden_global_offset_x
      - .offset:         64
        .size:           8
        .value_kind:     hidden_global_offset_y
      - .offset:         72
        .size:           8
        .value_kind:     hidden_global_offset_z
      - .offset:         80
        .size:           2
        .value_kind:     hidden_grid_dims
    .group_segment_fixed_size: 2064
    .kernarg_segment_align: 8
    .kernarg_segment_size: 272
    .language:       OpenCL C
    .language_version:
      - 2
      - 0
    .max_flat_workgroup_size: 64
    .name:           _Z16sort_keys_kernelI22helper_blocked_blockedaLj64ELj3ELj10EEvPKT0_PS1_
    .private_segment_fixed_size: 0
    .sgpr_count:     22
    .sgpr_spill_count: 0
    .symbol:         _Z16sort_keys_kernelI22helper_blocked_blockedaLj64ELj3ELj10EEvPKT0_PS1_.kd
    .uniform_work_group_size: 1
    .uses_dynamic_stack: false
    .vgpr_count:     36
    .vgpr_spill_count: 0
    .wavefront_size: 32
    .workgroup_processor_mode: 1
  - .args:
      - .address_space:  global
        .offset:         0
        .size:           8
        .value_kind:     global_buffer
      - .address_space:  global
        .offset:         8
        .size:           8
        .value_kind:     global_buffer
      - .offset:         16
        .size:           4
        .value_kind:     hidden_block_count_x
      - .offset:         20
        .size:           4
        .value_kind:     hidden_block_count_y
      - .offset:         24
        .size:           4
        .value_kind:     hidden_block_count_z
      - .offset:         28
        .size:           2
        .value_kind:     hidden_group_size_x
      - .offset:         30
        .size:           2
        .value_kind:     hidden_group_size_y
      - .offset:         32
        .size:           2
        .value_kind:     hidden_group_size_z
      - .offset:         34
        .size:           2
        .value_kind:     hidden_remainder_x
      - .offset:         36
        .size:           2
        .value_kind:     hidden_remainder_y
      - .offset:         38
        .size:           2
        .value_kind:     hidden_remainder_z
      - .offset:         56
        .size:           8
        .value_kind:     hidden_global_offset_x
      - .offset:         64
        .size:           8
        .value_kind:     hidden_global_offset_y
      - .offset:         72
        .size:           8
        .value_kind:     hidden_global_offset_z
      - .offset:         80
        .size:           2
        .value_kind:     hidden_grid_dims
    .group_segment_fixed_size: 2064
    .kernarg_segment_align: 8
    .kernarg_segment_size: 272
    .language:       OpenCL C
    .language_version:
      - 2
      - 0
    .max_flat_workgroup_size: 64
    .name:           _Z17sort_pairs_kernelI22helper_blocked_blockedaLj64ELj3ELj10EEvPKT0_PS1_
    .private_segment_fixed_size: 0
    .sgpr_count:     22
    .sgpr_spill_count: 0
    .symbol:         _Z17sort_pairs_kernelI22helper_blocked_blockedaLj64ELj3ELj10EEvPKT0_PS1_.kd
    .uniform_work_group_size: 1
    .uses_dynamic_stack: false
    .vgpr_count:     39
    .vgpr_spill_count: 0
    .wavefront_size: 32
    .workgroup_processor_mode: 1
  - .args:
      - .address_space:  global
        .offset:         0
        .size:           8
        .value_kind:     global_buffer
      - .address_space:  global
        .offset:         8
        .size:           8
        .value_kind:     global_buffer
      - .offset:         16
        .size:           4
        .value_kind:     hidden_block_count_x
      - .offset:         20
        .size:           4
        .value_kind:     hidden_block_count_y
      - .offset:         24
        .size:           4
        .value_kind:     hidden_block_count_z
      - .offset:         28
        .size:           2
        .value_kind:     hidden_group_size_x
      - .offset:         30
        .size:           2
        .value_kind:     hidden_group_size_y
      - .offset:         32
        .size:           2
        .value_kind:     hidden_group_size_z
      - .offset:         34
        .size:           2
        .value_kind:     hidden_remainder_x
      - .offset:         36
        .size:           2
        .value_kind:     hidden_remainder_y
      - .offset:         38
        .size:           2
        .value_kind:     hidden_remainder_z
      - .offset:         56
        .size:           8
        .value_kind:     hidden_global_offset_x
      - .offset:         64
        .size:           8
        .value_kind:     hidden_global_offset_y
      - .offset:         72
        .size:           8
        .value_kind:     hidden_global_offset_z
      - .offset:         80
        .size:           2
        .value_kind:     hidden_grid_dims
    .group_segment_fixed_size: 2064
    .kernarg_segment_align: 8
    .kernarg_segment_size: 272
    .language:       OpenCL C
    .language_version:
      - 2
      - 0
    .max_flat_workgroup_size: 64
    .name:           _Z16sort_keys_kernelI22helper_blocked_blockedaLj64ELj4ELj10EEvPKT0_PS1_
    .private_segment_fixed_size: 0
    .sgpr_count:     23
    .sgpr_spill_count: 0
    .symbol:         _Z16sort_keys_kernelI22helper_blocked_blockedaLj64ELj4ELj10EEvPKT0_PS1_.kd
    .uniform_work_group_size: 1
    .uses_dynamic_stack: false
    .vgpr_count:     41
    .vgpr_spill_count: 0
    .wavefront_size: 32
    .workgroup_processor_mode: 1
  - .args:
      - .address_space:  global
        .offset:         0
        .size:           8
        .value_kind:     global_buffer
      - .address_space:  global
        .offset:         8
        .size:           8
        .value_kind:     global_buffer
      - .offset:         16
        .size:           4
        .value_kind:     hidden_block_count_x
      - .offset:         20
        .size:           4
        .value_kind:     hidden_block_count_y
      - .offset:         24
        .size:           4
        .value_kind:     hidden_block_count_z
      - .offset:         28
        .size:           2
        .value_kind:     hidden_group_size_x
      - .offset:         30
        .size:           2
        .value_kind:     hidden_group_size_y
      - .offset:         32
        .size:           2
        .value_kind:     hidden_group_size_z
      - .offset:         34
        .size:           2
        .value_kind:     hidden_remainder_x
      - .offset:         36
        .size:           2
        .value_kind:     hidden_remainder_y
      - .offset:         38
        .size:           2
        .value_kind:     hidden_remainder_z
      - .offset:         56
        .size:           8
        .value_kind:     hidden_global_offset_x
      - .offset:         64
        .size:           8
        .value_kind:     hidden_global_offset_y
      - .offset:         72
        .size:           8
        .value_kind:     hidden_global_offset_z
      - .offset:         80
        .size:           2
        .value_kind:     hidden_grid_dims
    .group_segment_fixed_size: 2064
    .kernarg_segment_align: 8
    .kernarg_segment_size: 272
    .language:       OpenCL C
    .language_version:
      - 2
      - 0
    .max_flat_workgroup_size: 64
    .name:           _Z17sort_pairs_kernelI22helper_blocked_blockedaLj64ELj4ELj10EEvPKT0_PS1_
    .private_segment_fixed_size: 0
    .sgpr_count:     23
    .sgpr_spill_count: 0
    .symbol:         _Z17sort_pairs_kernelI22helper_blocked_blockedaLj64ELj4ELj10EEvPKT0_PS1_.kd
    .uniform_work_group_size: 1
    .uses_dynamic_stack: false
    .vgpr_count:     57
    .vgpr_spill_count: 0
    .wavefront_size: 32
    .workgroup_processor_mode: 1
  - .args:
      - .address_space:  global
        .offset:         0
        .size:           8
        .value_kind:     global_buffer
      - .address_space:  global
        .offset:         8
        .size:           8
        .value_kind:     global_buffer
      - .offset:         16
        .size:           4
        .value_kind:     hidden_block_count_x
      - .offset:         20
        .size:           4
        .value_kind:     hidden_block_count_y
      - .offset:         24
        .size:           4
        .value_kind:     hidden_block_count_z
      - .offset:         28
        .size:           2
        .value_kind:     hidden_group_size_x
      - .offset:         30
        .size:           2
        .value_kind:     hidden_group_size_y
      - .offset:         32
        .size:           2
        .value_kind:     hidden_group_size_z
      - .offset:         34
        .size:           2
        .value_kind:     hidden_remainder_x
      - .offset:         36
        .size:           2
        .value_kind:     hidden_remainder_y
      - .offset:         38
        .size:           2
        .value_kind:     hidden_remainder_z
      - .offset:         56
        .size:           8
        .value_kind:     hidden_global_offset_x
      - .offset:         64
        .size:           8
        .value_kind:     hidden_global_offset_y
      - .offset:         72
        .size:           8
        .value_kind:     hidden_global_offset_z
      - .offset:         80
        .size:           2
        .value_kind:     hidden_grid_dims
    .group_segment_fixed_size: 2064
    .kernarg_segment_align: 8
    .kernarg_segment_size: 272
    .language:       OpenCL C
    .language_version:
      - 2
      - 0
    .max_flat_workgroup_size: 64
    .name:           _Z16sort_keys_kernelI22helper_blocked_blockedaLj64ELj8ELj10EEvPKT0_PS1_
    .private_segment_fixed_size: 0
    .sgpr_count:     22
    .sgpr_spill_count: 0
    .symbol:         _Z16sort_keys_kernelI22helper_blocked_blockedaLj64ELj8ELj10EEvPKT0_PS1_.kd
    .uniform_work_group_size: 1
    .uses_dynamic_stack: false
    .vgpr_count:     56
    .vgpr_spill_count: 0
    .wavefront_size: 32
    .workgroup_processor_mode: 1
  - .args:
      - .address_space:  global
        .offset:         0
        .size:           8
        .value_kind:     global_buffer
      - .address_space:  global
        .offset:         8
        .size:           8
        .value_kind:     global_buffer
      - .offset:         16
        .size:           4
        .value_kind:     hidden_block_count_x
      - .offset:         20
        .size:           4
        .value_kind:     hidden_block_count_y
      - .offset:         24
        .size:           4
        .value_kind:     hidden_block_count_z
      - .offset:         28
        .size:           2
        .value_kind:     hidden_group_size_x
      - .offset:         30
        .size:           2
        .value_kind:     hidden_group_size_y
      - .offset:         32
        .size:           2
        .value_kind:     hidden_group_size_z
      - .offset:         34
        .size:           2
        .value_kind:     hidden_remainder_x
      - .offset:         36
        .size:           2
        .value_kind:     hidden_remainder_y
      - .offset:         38
        .size:           2
        .value_kind:     hidden_remainder_z
      - .offset:         56
        .size:           8
        .value_kind:     hidden_global_offset_x
      - .offset:         64
        .size:           8
        .value_kind:     hidden_global_offset_y
      - .offset:         72
        .size:           8
        .value_kind:     hidden_global_offset_z
      - .offset:         80
        .size:           2
        .value_kind:     hidden_grid_dims
    .group_segment_fixed_size: 2064
    .kernarg_segment_align: 8
    .kernarg_segment_size: 272
    .language:       OpenCL C
    .language_version:
      - 2
      - 0
    .max_flat_workgroup_size: 64
    .name:           _Z17sort_pairs_kernelI22helper_blocked_blockedaLj64ELj8ELj10EEvPKT0_PS1_
    .private_segment_fixed_size: 0
    .sgpr_count:     22
    .sgpr_spill_count: 0
    .symbol:         _Z17sort_pairs_kernelI22helper_blocked_blockedaLj64ELj8ELj10EEvPKT0_PS1_.kd
    .uniform_work_group_size: 1
    .uses_dynamic_stack: false
    .vgpr_count:     64
    .vgpr_spill_count: 0
    .wavefront_size: 32
    .workgroup_processor_mode: 1
  - .args:
      - .address_space:  global
        .offset:         0
        .size:           8
        .value_kind:     global_buffer
      - .address_space:  global
        .offset:         8
        .size:           8
        .value_kind:     global_buffer
      - .offset:         16
        .size:           4
        .value_kind:     hidden_block_count_x
      - .offset:         20
        .size:           4
        .value_kind:     hidden_block_count_y
      - .offset:         24
        .size:           4
        .value_kind:     hidden_block_count_z
      - .offset:         28
        .size:           2
        .value_kind:     hidden_group_size_x
      - .offset:         30
        .size:           2
        .value_kind:     hidden_group_size_y
      - .offset:         32
        .size:           2
        .value_kind:     hidden_group_size_z
      - .offset:         34
        .size:           2
        .value_kind:     hidden_remainder_x
      - .offset:         36
        .size:           2
        .value_kind:     hidden_remainder_y
      - .offset:         38
        .size:           2
        .value_kind:     hidden_remainder_z
      - .offset:         56
        .size:           8
        .value_kind:     hidden_global_offset_x
      - .offset:         64
        .size:           8
        .value_kind:     hidden_global_offset_y
      - .offset:         72
        .size:           8
        .value_kind:     hidden_global_offset_z
      - .offset:         80
        .size:           2
        .value_kind:     hidden_grid_dims
    .group_segment_fixed_size: 4112
    .kernarg_segment_align: 8
    .kernarg_segment_size: 272
    .language:       OpenCL C
    .language_version:
      - 2
      - 0
    .max_flat_workgroup_size: 128
    .name:           _Z16sort_keys_kernelI22helper_blocked_blockedaLj128ELj1ELj10EEvPKT0_PS1_
    .private_segment_fixed_size: 0
    .sgpr_count:     22
    .sgpr_spill_count: 0
    .symbol:         _Z16sort_keys_kernelI22helper_blocked_blockedaLj128ELj1ELj10EEvPKT0_PS1_.kd
    .uniform_work_group_size: 1
    .uses_dynamic_stack: false
    .vgpr_count:     25
    .vgpr_spill_count: 0
    .wavefront_size: 32
    .workgroup_processor_mode: 1
  - .args:
      - .address_space:  global
        .offset:         0
        .size:           8
        .value_kind:     global_buffer
      - .address_space:  global
        .offset:         8
        .size:           8
        .value_kind:     global_buffer
      - .offset:         16
        .size:           4
        .value_kind:     hidden_block_count_x
      - .offset:         20
        .size:           4
        .value_kind:     hidden_block_count_y
      - .offset:         24
        .size:           4
        .value_kind:     hidden_block_count_z
      - .offset:         28
        .size:           2
        .value_kind:     hidden_group_size_x
      - .offset:         30
        .size:           2
        .value_kind:     hidden_group_size_y
      - .offset:         32
        .size:           2
        .value_kind:     hidden_group_size_z
      - .offset:         34
        .size:           2
        .value_kind:     hidden_remainder_x
      - .offset:         36
        .size:           2
        .value_kind:     hidden_remainder_y
      - .offset:         38
        .size:           2
        .value_kind:     hidden_remainder_z
      - .offset:         56
        .size:           8
        .value_kind:     hidden_global_offset_x
      - .offset:         64
        .size:           8
        .value_kind:     hidden_global_offset_y
      - .offset:         72
        .size:           8
        .value_kind:     hidden_global_offset_z
      - .offset:         80
        .size:           2
        .value_kind:     hidden_grid_dims
    .group_segment_fixed_size: 4112
    .kernarg_segment_align: 8
    .kernarg_segment_size: 272
    .language:       OpenCL C
    .language_version:
      - 2
      - 0
    .max_flat_workgroup_size: 128
    .name:           _Z17sort_pairs_kernelI22helper_blocked_blockedaLj128ELj1ELj10EEvPKT0_PS1_
    .private_segment_fixed_size: 0
    .sgpr_count:     22
    .sgpr_spill_count: 0
    .symbol:         _Z17sort_pairs_kernelI22helper_blocked_blockedaLj128ELj1ELj10EEvPKT0_PS1_.kd
    .uniform_work_group_size: 1
    .uses_dynamic_stack: false
    .vgpr_count:     26
    .vgpr_spill_count: 0
    .wavefront_size: 32
    .workgroup_processor_mode: 1
  - .args:
      - .address_space:  global
        .offset:         0
        .size:           8
        .value_kind:     global_buffer
      - .address_space:  global
        .offset:         8
        .size:           8
        .value_kind:     global_buffer
      - .offset:         16
        .size:           4
        .value_kind:     hidden_block_count_x
      - .offset:         20
        .size:           4
        .value_kind:     hidden_block_count_y
      - .offset:         24
        .size:           4
        .value_kind:     hidden_block_count_z
      - .offset:         28
        .size:           2
        .value_kind:     hidden_group_size_x
      - .offset:         30
        .size:           2
        .value_kind:     hidden_group_size_y
      - .offset:         32
        .size:           2
        .value_kind:     hidden_group_size_z
      - .offset:         34
        .size:           2
        .value_kind:     hidden_remainder_x
      - .offset:         36
        .size:           2
        .value_kind:     hidden_remainder_y
      - .offset:         38
        .size:           2
        .value_kind:     hidden_remainder_z
      - .offset:         56
        .size:           8
        .value_kind:     hidden_global_offset_x
      - .offset:         64
        .size:           8
        .value_kind:     hidden_global_offset_y
      - .offset:         72
        .size:           8
        .value_kind:     hidden_global_offset_z
      - .offset:         80
        .size:           2
        .value_kind:     hidden_grid_dims
    .group_segment_fixed_size: 4112
    .kernarg_segment_align: 8
    .kernarg_segment_size: 272
    .language:       OpenCL C
    .language_version:
      - 2
      - 0
    .max_flat_workgroup_size: 128
    .name:           _Z16sort_keys_kernelI22helper_blocked_blockedaLj128ELj3ELj10EEvPKT0_PS1_
    .private_segment_fixed_size: 0
    .sgpr_count:     22
    .sgpr_spill_count: 0
    .symbol:         _Z16sort_keys_kernelI22helper_blocked_blockedaLj128ELj3ELj10EEvPKT0_PS1_.kd
    .uniform_work_group_size: 1
    .uses_dynamic_stack: false
    .vgpr_count:     36
    .vgpr_spill_count: 0
    .wavefront_size: 32
    .workgroup_processor_mode: 1
  - .args:
      - .address_space:  global
        .offset:         0
        .size:           8
        .value_kind:     global_buffer
      - .address_space:  global
        .offset:         8
        .size:           8
        .value_kind:     global_buffer
      - .offset:         16
        .size:           4
        .value_kind:     hidden_block_count_x
      - .offset:         20
        .size:           4
        .value_kind:     hidden_block_count_y
      - .offset:         24
        .size:           4
        .value_kind:     hidden_block_count_z
      - .offset:         28
        .size:           2
        .value_kind:     hidden_group_size_x
      - .offset:         30
        .size:           2
        .value_kind:     hidden_group_size_y
      - .offset:         32
        .size:           2
        .value_kind:     hidden_group_size_z
      - .offset:         34
        .size:           2
        .value_kind:     hidden_remainder_x
      - .offset:         36
        .size:           2
        .value_kind:     hidden_remainder_y
      - .offset:         38
        .size:           2
        .value_kind:     hidden_remainder_z
      - .offset:         56
        .size:           8
        .value_kind:     hidden_global_offset_x
      - .offset:         64
        .size:           8
        .value_kind:     hidden_global_offset_y
      - .offset:         72
        .size:           8
        .value_kind:     hidden_global_offset_z
      - .offset:         80
        .size:           2
        .value_kind:     hidden_grid_dims
    .group_segment_fixed_size: 4112
    .kernarg_segment_align: 8
    .kernarg_segment_size: 272
    .language:       OpenCL C
    .language_version:
      - 2
      - 0
    .max_flat_workgroup_size: 128
    .name:           _Z17sort_pairs_kernelI22helper_blocked_blockedaLj128ELj3ELj10EEvPKT0_PS1_
    .private_segment_fixed_size: 0
    .sgpr_count:     22
    .sgpr_spill_count: 0
    .symbol:         _Z17sort_pairs_kernelI22helper_blocked_blockedaLj128ELj3ELj10EEvPKT0_PS1_.kd
    .uniform_work_group_size: 1
    .uses_dynamic_stack: false
    .vgpr_count:     39
    .vgpr_spill_count: 0
    .wavefront_size: 32
    .workgroup_processor_mode: 1
  - .args:
      - .address_space:  global
        .offset:         0
        .size:           8
        .value_kind:     global_buffer
      - .address_space:  global
        .offset:         8
        .size:           8
        .value_kind:     global_buffer
      - .offset:         16
        .size:           4
        .value_kind:     hidden_block_count_x
      - .offset:         20
        .size:           4
        .value_kind:     hidden_block_count_y
      - .offset:         24
        .size:           4
        .value_kind:     hidden_block_count_z
      - .offset:         28
        .size:           2
        .value_kind:     hidden_group_size_x
      - .offset:         30
        .size:           2
        .value_kind:     hidden_group_size_y
      - .offset:         32
        .size:           2
        .value_kind:     hidden_group_size_z
      - .offset:         34
        .size:           2
        .value_kind:     hidden_remainder_x
      - .offset:         36
        .size:           2
        .value_kind:     hidden_remainder_y
      - .offset:         38
        .size:           2
        .value_kind:     hidden_remainder_z
      - .offset:         56
        .size:           8
        .value_kind:     hidden_global_offset_x
      - .offset:         64
        .size:           8
        .value_kind:     hidden_global_offset_y
      - .offset:         72
        .size:           8
        .value_kind:     hidden_global_offset_z
      - .offset:         80
        .size:           2
        .value_kind:     hidden_grid_dims
    .group_segment_fixed_size: 4112
    .kernarg_segment_align: 8
    .kernarg_segment_size: 272
    .language:       OpenCL C
    .language_version:
      - 2
      - 0
    .max_flat_workgroup_size: 128
    .name:           _Z16sort_keys_kernelI22helper_blocked_blockedaLj128ELj4ELj10EEvPKT0_PS1_
    .private_segment_fixed_size: 0
    .sgpr_count:     23
    .sgpr_spill_count: 0
    .symbol:         _Z16sort_keys_kernelI22helper_blocked_blockedaLj128ELj4ELj10EEvPKT0_PS1_.kd
    .uniform_work_group_size: 1
    .uses_dynamic_stack: false
    .vgpr_count:     41
    .vgpr_spill_count: 0
    .wavefront_size: 32
    .workgroup_processor_mode: 1
  - .args:
      - .address_space:  global
        .offset:         0
        .size:           8
        .value_kind:     global_buffer
      - .address_space:  global
        .offset:         8
        .size:           8
        .value_kind:     global_buffer
      - .offset:         16
        .size:           4
        .value_kind:     hidden_block_count_x
      - .offset:         20
        .size:           4
        .value_kind:     hidden_block_count_y
      - .offset:         24
        .size:           4
        .value_kind:     hidden_block_count_z
      - .offset:         28
        .size:           2
        .value_kind:     hidden_group_size_x
      - .offset:         30
        .size:           2
        .value_kind:     hidden_group_size_y
      - .offset:         32
        .size:           2
        .value_kind:     hidden_group_size_z
      - .offset:         34
        .size:           2
        .value_kind:     hidden_remainder_x
      - .offset:         36
        .size:           2
        .value_kind:     hidden_remainder_y
      - .offset:         38
        .size:           2
        .value_kind:     hidden_remainder_z
      - .offset:         56
        .size:           8
        .value_kind:     hidden_global_offset_x
      - .offset:         64
        .size:           8
        .value_kind:     hidden_global_offset_y
      - .offset:         72
        .size:           8
        .value_kind:     hidden_global_offset_z
      - .offset:         80
        .size:           2
        .value_kind:     hidden_grid_dims
    .group_segment_fixed_size: 4112
    .kernarg_segment_align: 8
    .kernarg_segment_size: 272
    .language:       OpenCL C
    .language_version:
      - 2
      - 0
    .max_flat_workgroup_size: 128
    .name:           _Z17sort_pairs_kernelI22helper_blocked_blockedaLj128ELj4ELj10EEvPKT0_PS1_
    .private_segment_fixed_size: 0
    .sgpr_count:     23
    .sgpr_spill_count: 0
    .symbol:         _Z17sort_pairs_kernelI22helper_blocked_blockedaLj128ELj4ELj10EEvPKT0_PS1_.kd
    .uniform_work_group_size: 1
    .uses_dynamic_stack: false
    .vgpr_count:     57
    .vgpr_spill_count: 0
    .wavefront_size: 32
    .workgroup_processor_mode: 1
  - .args:
      - .address_space:  global
        .offset:         0
        .size:           8
        .value_kind:     global_buffer
      - .address_space:  global
        .offset:         8
        .size:           8
        .value_kind:     global_buffer
      - .offset:         16
        .size:           4
        .value_kind:     hidden_block_count_x
      - .offset:         20
        .size:           4
        .value_kind:     hidden_block_count_y
      - .offset:         24
        .size:           4
        .value_kind:     hidden_block_count_z
      - .offset:         28
        .size:           2
        .value_kind:     hidden_group_size_x
      - .offset:         30
        .size:           2
        .value_kind:     hidden_group_size_y
      - .offset:         32
        .size:           2
        .value_kind:     hidden_group_size_z
      - .offset:         34
        .size:           2
        .value_kind:     hidden_remainder_x
      - .offset:         36
        .size:           2
        .value_kind:     hidden_remainder_y
      - .offset:         38
        .size:           2
        .value_kind:     hidden_remainder_z
      - .offset:         56
        .size:           8
        .value_kind:     hidden_global_offset_x
      - .offset:         64
        .size:           8
        .value_kind:     hidden_global_offset_y
      - .offset:         72
        .size:           8
        .value_kind:     hidden_global_offset_z
      - .offset:         80
        .size:           2
        .value_kind:     hidden_grid_dims
    .group_segment_fixed_size: 4112
    .kernarg_segment_align: 8
    .kernarg_segment_size: 272
    .language:       OpenCL C
    .language_version:
      - 2
      - 0
    .max_flat_workgroup_size: 128
    .name:           _Z16sort_keys_kernelI22helper_blocked_blockedaLj128ELj8ELj10EEvPKT0_PS1_
    .private_segment_fixed_size: 0
    .sgpr_count:     22
    .sgpr_spill_count: 0
    .symbol:         _Z16sort_keys_kernelI22helper_blocked_blockedaLj128ELj8ELj10EEvPKT0_PS1_.kd
    .uniform_work_group_size: 1
    .uses_dynamic_stack: false
    .vgpr_count:     56
    .vgpr_spill_count: 0
    .wavefront_size: 32
    .workgroup_processor_mode: 1
  - .args:
      - .address_space:  global
        .offset:         0
        .size:           8
        .value_kind:     global_buffer
      - .address_space:  global
        .offset:         8
        .size:           8
        .value_kind:     global_buffer
      - .offset:         16
        .size:           4
        .value_kind:     hidden_block_count_x
      - .offset:         20
        .size:           4
        .value_kind:     hidden_block_count_y
      - .offset:         24
        .size:           4
        .value_kind:     hidden_block_count_z
      - .offset:         28
        .size:           2
        .value_kind:     hidden_group_size_x
      - .offset:         30
        .size:           2
        .value_kind:     hidden_group_size_y
      - .offset:         32
        .size:           2
        .value_kind:     hidden_group_size_z
      - .offset:         34
        .size:           2
        .value_kind:     hidden_remainder_x
      - .offset:         36
        .size:           2
        .value_kind:     hidden_remainder_y
      - .offset:         38
        .size:           2
        .value_kind:     hidden_remainder_z
      - .offset:         56
        .size:           8
        .value_kind:     hidden_global_offset_x
      - .offset:         64
        .size:           8
        .value_kind:     hidden_global_offset_y
      - .offset:         72
        .size:           8
        .value_kind:     hidden_global_offset_z
      - .offset:         80
        .size:           2
        .value_kind:     hidden_grid_dims
    .group_segment_fixed_size: 4112
    .kernarg_segment_align: 8
    .kernarg_segment_size: 272
    .language:       OpenCL C
    .language_version:
      - 2
      - 0
    .max_flat_workgroup_size: 128
    .name:           _Z17sort_pairs_kernelI22helper_blocked_blockedaLj128ELj8ELj10EEvPKT0_PS1_
    .private_segment_fixed_size: 0
    .sgpr_count:     22
    .sgpr_spill_count: 0
    .symbol:         _Z17sort_pairs_kernelI22helper_blocked_blockedaLj128ELj8ELj10EEvPKT0_PS1_.kd
    .uniform_work_group_size: 1
    .uses_dynamic_stack: false
    .vgpr_count:     64
    .vgpr_spill_count: 0
    .wavefront_size: 32
    .workgroup_processor_mode: 1
  - .args:
      - .address_space:  global
        .offset:         0
        .size:           8
        .value_kind:     global_buffer
      - .address_space:  global
        .offset:         8
        .size:           8
        .value_kind:     global_buffer
      - .offset:         16
        .size:           4
        .value_kind:     hidden_block_count_x
      - .offset:         20
        .size:           4
        .value_kind:     hidden_block_count_y
      - .offset:         24
        .size:           4
        .value_kind:     hidden_block_count_z
      - .offset:         28
        .size:           2
        .value_kind:     hidden_group_size_x
      - .offset:         30
        .size:           2
        .value_kind:     hidden_group_size_y
      - .offset:         32
        .size:           2
        .value_kind:     hidden_group_size_z
      - .offset:         34
        .size:           2
        .value_kind:     hidden_remainder_x
      - .offset:         36
        .size:           2
        .value_kind:     hidden_remainder_y
      - .offset:         38
        .size:           2
        .value_kind:     hidden_remainder_z
      - .offset:         56
        .size:           8
        .value_kind:     hidden_global_offset_x
      - .offset:         64
        .size:           8
        .value_kind:     hidden_global_offset_y
      - .offset:         72
        .size:           8
        .value_kind:     hidden_global_offset_z
      - .offset:         80
        .size:           2
        .value_kind:     hidden_grid_dims
    .group_segment_fixed_size: 6176
    .kernarg_segment_align: 8
    .kernarg_segment_size: 272
    .language:       OpenCL C
    .language_version:
      - 2
      - 0
    .max_flat_workgroup_size: 192
    .name:           _Z16sort_keys_kernelI22helper_blocked_blockedaLj192ELj1ELj10EEvPKT0_PS1_
    .private_segment_fixed_size: 0
    .sgpr_count:     22
    .sgpr_spill_count: 0
    .symbol:         _Z16sort_keys_kernelI22helper_blocked_blockedaLj192ELj1ELj10EEvPKT0_PS1_.kd
    .uniform_work_group_size: 1
    .uses_dynamic_stack: false
    .vgpr_count:     25
    .vgpr_spill_count: 0
    .wavefront_size: 32
    .workgroup_processor_mode: 1
  - .args:
      - .address_space:  global
        .offset:         0
        .size:           8
        .value_kind:     global_buffer
      - .address_space:  global
        .offset:         8
        .size:           8
        .value_kind:     global_buffer
      - .offset:         16
        .size:           4
        .value_kind:     hidden_block_count_x
      - .offset:         20
        .size:           4
        .value_kind:     hidden_block_count_y
      - .offset:         24
        .size:           4
        .value_kind:     hidden_block_count_z
      - .offset:         28
        .size:           2
        .value_kind:     hidden_group_size_x
      - .offset:         30
        .size:           2
        .value_kind:     hidden_group_size_y
      - .offset:         32
        .size:           2
        .value_kind:     hidden_group_size_z
      - .offset:         34
        .size:           2
        .value_kind:     hidden_remainder_x
      - .offset:         36
        .size:           2
        .value_kind:     hidden_remainder_y
      - .offset:         38
        .size:           2
        .value_kind:     hidden_remainder_z
      - .offset:         56
        .size:           8
        .value_kind:     hidden_global_offset_x
      - .offset:         64
        .size:           8
        .value_kind:     hidden_global_offset_y
      - .offset:         72
        .size:           8
        .value_kind:     hidden_global_offset_z
      - .offset:         80
        .size:           2
        .value_kind:     hidden_grid_dims
    .group_segment_fixed_size: 6176
    .kernarg_segment_align: 8
    .kernarg_segment_size: 272
    .language:       OpenCL C
    .language_version:
      - 2
      - 0
    .max_flat_workgroup_size: 192
    .name:           _Z17sort_pairs_kernelI22helper_blocked_blockedaLj192ELj1ELj10EEvPKT0_PS1_
    .private_segment_fixed_size: 0
    .sgpr_count:     22
    .sgpr_spill_count: 0
    .symbol:         _Z17sort_pairs_kernelI22helper_blocked_blockedaLj192ELj1ELj10EEvPKT0_PS1_.kd
    .uniform_work_group_size: 1
    .uses_dynamic_stack: false
    .vgpr_count:     26
    .vgpr_spill_count: 0
    .wavefront_size: 32
    .workgroup_processor_mode: 1
  - .args:
      - .address_space:  global
        .offset:         0
        .size:           8
        .value_kind:     global_buffer
      - .address_space:  global
        .offset:         8
        .size:           8
        .value_kind:     global_buffer
      - .offset:         16
        .size:           4
        .value_kind:     hidden_block_count_x
      - .offset:         20
        .size:           4
        .value_kind:     hidden_block_count_y
      - .offset:         24
        .size:           4
        .value_kind:     hidden_block_count_z
      - .offset:         28
        .size:           2
        .value_kind:     hidden_group_size_x
      - .offset:         30
        .size:           2
        .value_kind:     hidden_group_size_y
      - .offset:         32
        .size:           2
        .value_kind:     hidden_group_size_z
      - .offset:         34
        .size:           2
        .value_kind:     hidden_remainder_x
      - .offset:         36
        .size:           2
        .value_kind:     hidden_remainder_y
      - .offset:         38
        .size:           2
        .value_kind:     hidden_remainder_z
      - .offset:         56
        .size:           8
        .value_kind:     hidden_global_offset_x
      - .offset:         64
        .size:           8
        .value_kind:     hidden_global_offset_y
      - .offset:         72
        .size:           8
        .value_kind:     hidden_global_offset_z
      - .offset:         80
        .size:           2
        .value_kind:     hidden_grid_dims
    .group_segment_fixed_size: 6176
    .kernarg_segment_align: 8
    .kernarg_segment_size: 272
    .language:       OpenCL C
    .language_version:
      - 2
      - 0
    .max_flat_workgroup_size: 192
    .name:           _Z16sort_keys_kernelI22helper_blocked_blockedaLj192ELj3ELj10EEvPKT0_PS1_
    .private_segment_fixed_size: 0
    .sgpr_count:     22
    .sgpr_spill_count: 0
    .symbol:         _Z16sort_keys_kernelI22helper_blocked_blockedaLj192ELj3ELj10EEvPKT0_PS1_.kd
    .uniform_work_group_size: 1
    .uses_dynamic_stack: false
    .vgpr_count:     36
    .vgpr_spill_count: 0
    .wavefront_size: 32
    .workgroup_processor_mode: 1
  - .args:
      - .address_space:  global
        .offset:         0
        .size:           8
        .value_kind:     global_buffer
      - .address_space:  global
        .offset:         8
        .size:           8
        .value_kind:     global_buffer
      - .offset:         16
        .size:           4
        .value_kind:     hidden_block_count_x
      - .offset:         20
        .size:           4
        .value_kind:     hidden_block_count_y
      - .offset:         24
        .size:           4
        .value_kind:     hidden_block_count_z
      - .offset:         28
        .size:           2
        .value_kind:     hidden_group_size_x
      - .offset:         30
        .size:           2
        .value_kind:     hidden_group_size_y
      - .offset:         32
        .size:           2
        .value_kind:     hidden_group_size_z
      - .offset:         34
        .size:           2
        .value_kind:     hidden_remainder_x
      - .offset:         36
        .size:           2
        .value_kind:     hidden_remainder_y
      - .offset:         38
        .size:           2
        .value_kind:     hidden_remainder_z
      - .offset:         56
        .size:           8
        .value_kind:     hidden_global_offset_x
      - .offset:         64
        .size:           8
        .value_kind:     hidden_global_offset_y
      - .offset:         72
        .size:           8
        .value_kind:     hidden_global_offset_z
      - .offset:         80
        .size:           2
        .value_kind:     hidden_grid_dims
    .group_segment_fixed_size: 6176
    .kernarg_segment_align: 8
    .kernarg_segment_size: 272
    .language:       OpenCL C
    .language_version:
      - 2
      - 0
    .max_flat_workgroup_size: 192
    .name:           _Z17sort_pairs_kernelI22helper_blocked_blockedaLj192ELj3ELj10EEvPKT0_PS1_
    .private_segment_fixed_size: 0
    .sgpr_count:     22
    .sgpr_spill_count: 0
    .symbol:         _Z17sort_pairs_kernelI22helper_blocked_blockedaLj192ELj3ELj10EEvPKT0_PS1_.kd
    .uniform_work_group_size: 1
    .uses_dynamic_stack: false
    .vgpr_count:     39
    .vgpr_spill_count: 0
    .wavefront_size: 32
    .workgroup_processor_mode: 1
  - .args:
      - .address_space:  global
        .offset:         0
        .size:           8
        .value_kind:     global_buffer
      - .address_space:  global
        .offset:         8
        .size:           8
        .value_kind:     global_buffer
      - .offset:         16
        .size:           4
        .value_kind:     hidden_block_count_x
      - .offset:         20
        .size:           4
        .value_kind:     hidden_block_count_y
      - .offset:         24
        .size:           4
        .value_kind:     hidden_block_count_z
      - .offset:         28
        .size:           2
        .value_kind:     hidden_group_size_x
      - .offset:         30
        .size:           2
        .value_kind:     hidden_group_size_y
      - .offset:         32
        .size:           2
        .value_kind:     hidden_group_size_z
      - .offset:         34
        .size:           2
        .value_kind:     hidden_remainder_x
      - .offset:         36
        .size:           2
        .value_kind:     hidden_remainder_y
      - .offset:         38
        .size:           2
        .value_kind:     hidden_remainder_z
      - .offset:         56
        .size:           8
        .value_kind:     hidden_global_offset_x
      - .offset:         64
        .size:           8
        .value_kind:     hidden_global_offset_y
      - .offset:         72
        .size:           8
        .value_kind:     hidden_global_offset_z
      - .offset:         80
        .size:           2
        .value_kind:     hidden_grid_dims
    .group_segment_fixed_size: 6176
    .kernarg_segment_align: 8
    .kernarg_segment_size: 272
    .language:       OpenCL C
    .language_version:
      - 2
      - 0
    .max_flat_workgroup_size: 192
    .name:           _Z16sort_keys_kernelI22helper_blocked_blockedaLj192ELj4ELj10EEvPKT0_PS1_
    .private_segment_fixed_size: 0
    .sgpr_count:     24
    .sgpr_spill_count: 0
    .symbol:         _Z16sort_keys_kernelI22helper_blocked_blockedaLj192ELj4ELj10EEvPKT0_PS1_.kd
    .uniform_work_group_size: 1
    .uses_dynamic_stack: false
    .vgpr_count:     41
    .vgpr_spill_count: 0
    .wavefront_size: 32
    .workgroup_processor_mode: 1
  - .args:
      - .address_space:  global
        .offset:         0
        .size:           8
        .value_kind:     global_buffer
      - .address_space:  global
        .offset:         8
        .size:           8
        .value_kind:     global_buffer
      - .offset:         16
        .size:           4
        .value_kind:     hidden_block_count_x
      - .offset:         20
        .size:           4
        .value_kind:     hidden_block_count_y
      - .offset:         24
        .size:           4
        .value_kind:     hidden_block_count_z
      - .offset:         28
        .size:           2
        .value_kind:     hidden_group_size_x
      - .offset:         30
        .size:           2
        .value_kind:     hidden_group_size_y
      - .offset:         32
        .size:           2
        .value_kind:     hidden_group_size_z
      - .offset:         34
        .size:           2
        .value_kind:     hidden_remainder_x
      - .offset:         36
        .size:           2
        .value_kind:     hidden_remainder_y
      - .offset:         38
        .size:           2
        .value_kind:     hidden_remainder_z
      - .offset:         56
        .size:           8
        .value_kind:     hidden_global_offset_x
      - .offset:         64
        .size:           8
        .value_kind:     hidden_global_offset_y
      - .offset:         72
        .size:           8
        .value_kind:     hidden_global_offset_z
      - .offset:         80
        .size:           2
        .value_kind:     hidden_grid_dims
    .group_segment_fixed_size: 6176
    .kernarg_segment_align: 8
    .kernarg_segment_size: 272
    .language:       OpenCL C
    .language_version:
      - 2
      - 0
    .max_flat_workgroup_size: 192
    .name:           _Z17sort_pairs_kernelI22helper_blocked_blockedaLj192ELj4ELj10EEvPKT0_PS1_
    .private_segment_fixed_size: 0
    .sgpr_count:     24
    .sgpr_spill_count: 0
    .symbol:         _Z17sort_pairs_kernelI22helper_blocked_blockedaLj192ELj4ELj10EEvPKT0_PS1_.kd
    .uniform_work_group_size: 1
    .uses_dynamic_stack: false
    .vgpr_count:     57
    .vgpr_spill_count: 0
    .wavefront_size: 32
    .workgroup_processor_mode: 1
  - .args:
      - .address_space:  global
        .offset:         0
        .size:           8
        .value_kind:     global_buffer
      - .address_space:  global
        .offset:         8
        .size:           8
        .value_kind:     global_buffer
      - .offset:         16
        .size:           4
        .value_kind:     hidden_block_count_x
      - .offset:         20
        .size:           4
        .value_kind:     hidden_block_count_y
      - .offset:         24
        .size:           4
        .value_kind:     hidden_block_count_z
      - .offset:         28
        .size:           2
        .value_kind:     hidden_group_size_x
      - .offset:         30
        .size:           2
        .value_kind:     hidden_group_size_y
      - .offset:         32
        .size:           2
        .value_kind:     hidden_group_size_z
      - .offset:         34
        .size:           2
        .value_kind:     hidden_remainder_x
      - .offset:         36
        .size:           2
        .value_kind:     hidden_remainder_y
      - .offset:         38
        .size:           2
        .value_kind:     hidden_remainder_z
      - .offset:         56
        .size:           8
        .value_kind:     hidden_global_offset_x
      - .offset:         64
        .size:           8
        .value_kind:     hidden_global_offset_y
      - .offset:         72
        .size:           8
        .value_kind:     hidden_global_offset_z
      - .offset:         80
        .size:           2
        .value_kind:     hidden_grid_dims
    .group_segment_fixed_size: 6176
    .kernarg_segment_align: 8
    .kernarg_segment_size: 272
    .language:       OpenCL C
    .language_version:
      - 2
      - 0
    .max_flat_workgroup_size: 192
    .name:           _Z16sort_keys_kernelI22helper_blocked_blockedaLj192ELj8ELj10EEvPKT0_PS1_
    .private_segment_fixed_size: 0
    .sgpr_count:     22
    .sgpr_spill_count: 0
    .symbol:         _Z16sort_keys_kernelI22helper_blocked_blockedaLj192ELj8ELj10EEvPKT0_PS1_.kd
    .uniform_work_group_size: 1
    .uses_dynamic_stack: false
    .vgpr_count:     56
    .vgpr_spill_count: 0
    .wavefront_size: 32
    .workgroup_processor_mode: 1
  - .args:
      - .address_space:  global
        .offset:         0
        .size:           8
        .value_kind:     global_buffer
      - .address_space:  global
        .offset:         8
        .size:           8
        .value_kind:     global_buffer
      - .offset:         16
        .size:           4
        .value_kind:     hidden_block_count_x
      - .offset:         20
        .size:           4
        .value_kind:     hidden_block_count_y
      - .offset:         24
        .size:           4
        .value_kind:     hidden_block_count_z
      - .offset:         28
        .size:           2
        .value_kind:     hidden_group_size_x
      - .offset:         30
        .size:           2
        .value_kind:     hidden_group_size_y
      - .offset:         32
        .size:           2
        .value_kind:     hidden_group_size_z
      - .offset:         34
        .size:           2
        .value_kind:     hidden_remainder_x
      - .offset:         36
        .size:           2
        .value_kind:     hidden_remainder_y
      - .offset:         38
        .size:           2
        .value_kind:     hidden_remainder_z
      - .offset:         56
        .size:           8
        .value_kind:     hidden_global_offset_x
      - .offset:         64
        .size:           8
        .value_kind:     hidden_global_offset_y
      - .offset:         72
        .size:           8
        .value_kind:     hidden_global_offset_z
      - .offset:         80
        .size:           2
        .value_kind:     hidden_grid_dims
    .group_segment_fixed_size: 6176
    .kernarg_segment_align: 8
    .kernarg_segment_size: 272
    .language:       OpenCL C
    .language_version:
      - 2
      - 0
    .max_flat_workgroup_size: 192
    .name:           _Z17sort_pairs_kernelI22helper_blocked_blockedaLj192ELj8ELj10EEvPKT0_PS1_
    .private_segment_fixed_size: 0
    .sgpr_count:     22
    .sgpr_spill_count: 0
    .symbol:         _Z17sort_pairs_kernelI22helper_blocked_blockedaLj192ELj8ELj10EEvPKT0_PS1_.kd
    .uniform_work_group_size: 1
    .uses_dynamic_stack: false
    .vgpr_count:     64
    .vgpr_spill_count: 0
    .wavefront_size: 32
    .workgroup_processor_mode: 1
  - .args:
      - .address_space:  global
        .offset:         0
        .size:           8
        .value_kind:     global_buffer
      - .address_space:  global
        .offset:         8
        .size:           8
        .value_kind:     global_buffer
      - .offset:         16
        .size:           4
        .value_kind:     hidden_block_count_x
      - .offset:         20
        .size:           4
        .value_kind:     hidden_block_count_y
      - .offset:         24
        .size:           4
        .value_kind:     hidden_block_count_z
      - .offset:         28
        .size:           2
        .value_kind:     hidden_group_size_x
      - .offset:         30
        .size:           2
        .value_kind:     hidden_group_size_y
      - .offset:         32
        .size:           2
        .value_kind:     hidden_group_size_z
      - .offset:         34
        .size:           2
        .value_kind:     hidden_remainder_x
      - .offset:         36
        .size:           2
        .value_kind:     hidden_remainder_y
      - .offset:         38
        .size:           2
        .value_kind:     hidden_remainder_z
      - .offset:         56
        .size:           8
        .value_kind:     hidden_global_offset_x
      - .offset:         64
        .size:           8
        .value_kind:     hidden_global_offset_y
      - .offset:         72
        .size:           8
        .value_kind:     hidden_global_offset_z
      - .offset:         80
        .size:           2
        .value_kind:     hidden_grid_dims
    .group_segment_fixed_size: 8224
    .kernarg_segment_align: 8
    .kernarg_segment_size: 272
    .language:       OpenCL C
    .language_version:
      - 2
      - 0
    .max_flat_workgroup_size: 256
    .name:           _Z16sort_keys_kernelI22helper_blocked_blockedaLj256ELj1ELj10EEvPKT0_PS1_
    .private_segment_fixed_size: 0
    .sgpr_count:     22
    .sgpr_spill_count: 0
    .symbol:         _Z16sort_keys_kernelI22helper_blocked_blockedaLj256ELj1ELj10EEvPKT0_PS1_.kd
    .uniform_work_group_size: 1
    .uses_dynamic_stack: false
    .vgpr_count:     25
    .vgpr_spill_count: 0
    .wavefront_size: 32
    .workgroup_processor_mode: 1
  - .args:
      - .address_space:  global
        .offset:         0
        .size:           8
        .value_kind:     global_buffer
      - .address_space:  global
        .offset:         8
        .size:           8
        .value_kind:     global_buffer
      - .offset:         16
        .size:           4
        .value_kind:     hidden_block_count_x
      - .offset:         20
        .size:           4
        .value_kind:     hidden_block_count_y
      - .offset:         24
        .size:           4
        .value_kind:     hidden_block_count_z
      - .offset:         28
        .size:           2
        .value_kind:     hidden_group_size_x
      - .offset:         30
        .size:           2
        .value_kind:     hidden_group_size_y
      - .offset:         32
        .size:           2
        .value_kind:     hidden_group_size_z
      - .offset:         34
        .size:           2
        .value_kind:     hidden_remainder_x
      - .offset:         36
        .size:           2
        .value_kind:     hidden_remainder_y
      - .offset:         38
        .size:           2
        .value_kind:     hidden_remainder_z
      - .offset:         56
        .size:           8
        .value_kind:     hidden_global_offset_x
      - .offset:         64
        .size:           8
        .value_kind:     hidden_global_offset_y
      - .offset:         72
        .size:           8
        .value_kind:     hidden_global_offset_z
      - .offset:         80
        .size:           2
        .value_kind:     hidden_grid_dims
    .group_segment_fixed_size: 8224
    .kernarg_segment_align: 8
    .kernarg_segment_size: 272
    .language:       OpenCL C
    .language_version:
      - 2
      - 0
    .max_flat_workgroup_size: 256
    .name:           _Z17sort_pairs_kernelI22helper_blocked_blockedaLj256ELj1ELj10EEvPKT0_PS1_
    .private_segment_fixed_size: 0
    .sgpr_count:     22
    .sgpr_spill_count: 0
    .symbol:         _Z17sort_pairs_kernelI22helper_blocked_blockedaLj256ELj1ELj10EEvPKT0_PS1_.kd
    .uniform_work_group_size: 1
    .uses_dynamic_stack: false
    .vgpr_count:     26
    .vgpr_spill_count: 0
    .wavefront_size: 32
    .workgroup_processor_mode: 1
  - .args:
      - .address_space:  global
        .offset:         0
        .size:           8
        .value_kind:     global_buffer
      - .address_space:  global
        .offset:         8
        .size:           8
        .value_kind:     global_buffer
      - .offset:         16
        .size:           4
        .value_kind:     hidden_block_count_x
      - .offset:         20
        .size:           4
        .value_kind:     hidden_block_count_y
      - .offset:         24
        .size:           4
        .value_kind:     hidden_block_count_z
      - .offset:         28
        .size:           2
        .value_kind:     hidden_group_size_x
      - .offset:         30
        .size:           2
        .value_kind:     hidden_group_size_y
      - .offset:         32
        .size:           2
        .value_kind:     hidden_group_size_z
      - .offset:         34
        .size:           2
        .value_kind:     hidden_remainder_x
      - .offset:         36
        .size:           2
        .value_kind:     hidden_remainder_y
      - .offset:         38
        .size:           2
        .value_kind:     hidden_remainder_z
      - .offset:         56
        .size:           8
        .value_kind:     hidden_global_offset_x
      - .offset:         64
        .size:           8
        .value_kind:     hidden_global_offset_y
      - .offset:         72
        .size:           8
        .value_kind:     hidden_global_offset_z
      - .offset:         80
        .size:           2
        .value_kind:     hidden_grid_dims
    .group_segment_fixed_size: 8224
    .kernarg_segment_align: 8
    .kernarg_segment_size: 272
    .language:       OpenCL C
    .language_version:
      - 2
      - 0
    .max_flat_workgroup_size: 256
    .name:           _Z16sort_keys_kernelI22helper_blocked_blockedaLj256ELj3ELj10EEvPKT0_PS1_
    .private_segment_fixed_size: 0
    .sgpr_count:     22
    .sgpr_spill_count: 0
    .symbol:         _Z16sort_keys_kernelI22helper_blocked_blockedaLj256ELj3ELj10EEvPKT0_PS1_.kd
    .uniform_work_group_size: 1
    .uses_dynamic_stack: false
    .vgpr_count:     36
    .vgpr_spill_count: 0
    .wavefront_size: 32
    .workgroup_processor_mode: 1
  - .args:
      - .address_space:  global
        .offset:         0
        .size:           8
        .value_kind:     global_buffer
      - .address_space:  global
        .offset:         8
        .size:           8
        .value_kind:     global_buffer
      - .offset:         16
        .size:           4
        .value_kind:     hidden_block_count_x
      - .offset:         20
        .size:           4
        .value_kind:     hidden_block_count_y
      - .offset:         24
        .size:           4
        .value_kind:     hidden_block_count_z
      - .offset:         28
        .size:           2
        .value_kind:     hidden_group_size_x
      - .offset:         30
        .size:           2
        .value_kind:     hidden_group_size_y
      - .offset:         32
        .size:           2
        .value_kind:     hidden_group_size_z
      - .offset:         34
        .size:           2
        .value_kind:     hidden_remainder_x
      - .offset:         36
        .size:           2
        .value_kind:     hidden_remainder_y
      - .offset:         38
        .size:           2
        .value_kind:     hidden_remainder_z
      - .offset:         56
        .size:           8
        .value_kind:     hidden_global_offset_x
      - .offset:         64
        .size:           8
        .value_kind:     hidden_global_offset_y
      - .offset:         72
        .size:           8
        .value_kind:     hidden_global_offset_z
      - .offset:         80
        .size:           2
        .value_kind:     hidden_grid_dims
    .group_segment_fixed_size: 8224
    .kernarg_segment_align: 8
    .kernarg_segment_size: 272
    .language:       OpenCL C
    .language_version:
      - 2
      - 0
    .max_flat_workgroup_size: 256
    .name:           _Z17sort_pairs_kernelI22helper_blocked_blockedaLj256ELj3ELj10EEvPKT0_PS1_
    .private_segment_fixed_size: 0
    .sgpr_count:     22
    .sgpr_spill_count: 0
    .symbol:         _Z17sort_pairs_kernelI22helper_blocked_blockedaLj256ELj3ELj10EEvPKT0_PS1_.kd
    .uniform_work_group_size: 1
    .uses_dynamic_stack: false
    .vgpr_count:     39
    .vgpr_spill_count: 0
    .wavefront_size: 32
    .workgroup_processor_mode: 1
  - .args:
      - .address_space:  global
        .offset:         0
        .size:           8
        .value_kind:     global_buffer
      - .address_space:  global
        .offset:         8
        .size:           8
        .value_kind:     global_buffer
      - .offset:         16
        .size:           4
        .value_kind:     hidden_block_count_x
      - .offset:         20
        .size:           4
        .value_kind:     hidden_block_count_y
      - .offset:         24
        .size:           4
        .value_kind:     hidden_block_count_z
      - .offset:         28
        .size:           2
        .value_kind:     hidden_group_size_x
      - .offset:         30
        .size:           2
        .value_kind:     hidden_group_size_y
      - .offset:         32
        .size:           2
        .value_kind:     hidden_group_size_z
      - .offset:         34
        .size:           2
        .value_kind:     hidden_remainder_x
      - .offset:         36
        .size:           2
        .value_kind:     hidden_remainder_y
      - .offset:         38
        .size:           2
        .value_kind:     hidden_remainder_z
      - .offset:         56
        .size:           8
        .value_kind:     hidden_global_offset_x
      - .offset:         64
        .size:           8
        .value_kind:     hidden_global_offset_y
      - .offset:         72
        .size:           8
        .value_kind:     hidden_global_offset_z
      - .offset:         80
        .size:           2
        .value_kind:     hidden_grid_dims
    .group_segment_fixed_size: 8224
    .kernarg_segment_align: 8
    .kernarg_segment_size: 272
    .language:       OpenCL C
    .language_version:
      - 2
      - 0
    .max_flat_workgroup_size: 256
    .name:           _Z16sort_keys_kernelI22helper_blocked_blockedaLj256ELj4ELj10EEvPKT0_PS1_
    .private_segment_fixed_size: 0
    .sgpr_count:     24
    .sgpr_spill_count: 0
    .symbol:         _Z16sort_keys_kernelI22helper_blocked_blockedaLj256ELj4ELj10EEvPKT0_PS1_.kd
    .uniform_work_group_size: 1
    .uses_dynamic_stack: false
    .vgpr_count:     41
    .vgpr_spill_count: 0
    .wavefront_size: 32
    .workgroup_processor_mode: 1
  - .args:
      - .address_space:  global
        .offset:         0
        .size:           8
        .value_kind:     global_buffer
      - .address_space:  global
        .offset:         8
        .size:           8
        .value_kind:     global_buffer
      - .offset:         16
        .size:           4
        .value_kind:     hidden_block_count_x
      - .offset:         20
        .size:           4
        .value_kind:     hidden_block_count_y
      - .offset:         24
        .size:           4
        .value_kind:     hidden_block_count_z
      - .offset:         28
        .size:           2
        .value_kind:     hidden_group_size_x
      - .offset:         30
        .size:           2
        .value_kind:     hidden_group_size_y
      - .offset:         32
        .size:           2
        .value_kind:     hidden_group_size_z
      - .offset:         34
        .size:           2
        .value_kind:     hidden_remainder_x
      - .offset:         36
        .size:           2
        .value_kind:     hidden_remainder_y
      - .offset:         38
        .size:           2
        .value_kind:     hidden_remainder_z
      - .offset:         56
        .size:           8
        .value_kind:     hidden_global_offset_x
      - .offset:         64
        .size:           8
        .value_kind:     hidden_global_offset_y
      - .offset:         72
        .size:           8
        .value_kind:     hidden_global_offset_z
      - .offset:         80
        .size:           2
        .value_kind:     hidden_grid_dims
    .group_segment_fixed_size: 8224
    .kernarg_segment_align: 8
    .kernarg_segment_size: 272
    .language:       OpenCL C
    .language_version:
      - 2
      - 0
    .max_flat_workgroup_size: 256
    .name:           _Z17sort_pairs_kernelI22helper_blocked_blockedaLj256ELj4ELj10EEvPKT0_PS1_
    .private_segment_fixed_size: 0
    .sgpr_count:     24
    .sgpr_spill_count: 0
    .symbol:         _Z17sort_pairs_kernelI22helper_blocked_blockedaLj256ELj4ELj10EEvPKT0_PS1_.kd
    .uniform_work_group_size: 1
    .uses_dynamic_stack: false
    .vgpr_count:     57
    .vgpr_spill_count: 0
    .wavefront_size: 32
    .workgroup_processor_mode: 1
  - .args:
      - .address_space:  global
        .offset:         0
        .size:           8
        .value_kind:     global_buffer
      - .address_space:  global
        .offset:         8
        .size:           8
        .value_kind:     global_buffer
      - .offset:         16
        .size:           4
        .value_kind:     hidden_block_count_x
      - .offset:         20
        .size:           4
        .value_kind:     hidden_block_count_y
      - .offset:         24
        .size:           4
        .value_kind:     hidden_block_count_z
      - .offset:         28
        .size:           2
        .value_kind:     hidden_group_size_x
      - .offset:         30
        .size:           2
        .value_kind:     hidden_group_size_y
      - .offset:         32
        .size:           2
        .value_kind:     hidden_group_size_z
      - .offset:         34
        .size:           2
        .value_kind:     hidden_remainder_x
      - .offset:         36
        .size:           2
        .value_kind:     hidden_remainder_y
      - .offset:         38
        .size:           2
        .value_kind:     hidden_remainder_z
      - .offset:         56
        .size:           8
        .value_kind:     hidden_global_offset_x
      - .offset:         64
        .size:           8
        .value_kind:     hidden_global_offset_y
      - .offset:         72
        .size:           8
        .value_kind:     hidden_global_offset_z
      - .offset:         80
        .size:           2
        .value_kind:     hidden_grid_dims
    .group_segment_fixed_size: 8224
    .kernarg_segment_align: 8
    .kernarg_segment_size: 272
    .language:       OpenCL C
    .language_version:
      - 2
      - 0
    .max_flat_workgroup_size: 256
    .name:           _Z16sort_keys_kernelI22helper_blocked_blockedaLj256ELj8ELj10EEvPKT0_PS1_
    .private_segment_fixed_size: 0
    .sgpr_count:     22
    .sgpr_spill_count: 0
    .symbol:         _Z16sort_keys_kernelI22helper_blocked_blockedaLj256ELj8ELj10EEvPKT0_PS1_.kd
    .uniform_work_group_size: 1
    .uses_dynamic_stack: false
    .vgpr_count:     56
    .vgpr_spill_count: 0
    .wavefront_size: 32
    .workgroup_processor_mode: 1
  - .args:
      - .address_space:  global
        .offset:         0
        .size:           8
        .value_kind:     global_buffer
      - .address_space:  global
        .offset:         8
        .size:           8
        .value_kind:     global_buffer
      - .offset:         16
        .size:           4
        .value_kind:     hidden_block_count_x
      - .offset:         20
        .size:           4
        .value_kind:     hidden_block_count_y
      - .offset:         24
        .size:           4
        .value_kind:     hidden_block_count_z
      - .offset:         28
        .size:           2
        .value_kind:     hidden_group_size_x
      - .offset:         30
        .size:           2
        .value_kind:     hidden_group_size_y
      - .offset:         32
        .size:           2
        .value_kind:     hidden_group_size_z
      - .offset:         34
        .size:           2
        .value_kind:     hidden_remainder_x
      - .offset:         36
        .size:           2
        .value_kind:     hidden_remainder_y
      - .offset:         38
        .size:           2
        .value_kind:     hidden_remainder_z
      - .offset:         56
        .size:           8
        .value_kind:     hidden_global_offset_x
      - .offset:         64
        .size:           8
        .value_kind:     hidden_global_offset_y
      - .offset:         72
        .size:           8
        .value_kind:     hidden_global_offset_z
      - .offset:         80
        .size:           2
        .value_kind:     hidden_grid_dims
    .group_segment_fixed_size: 8224
    .kernarg_segment_align: 8
    .kernarg_segment_size: 272
    .language:       OpenCL C
    .language_version:
      - 2
      - 0
    .max_flat_workgroup_size: 256
    .name:           _Z17sort_pairs_kernelI22helper_blocked_blockedaLj256ELj8ELj10EEvPKT0_PS1_
    .private_segment_fixed_size: 0
    .sgpr_count:     22
    .sgpr_spill_count: 0
    .symbol:         _Z17sort_pairs_kernelI22helper_blocked_blockedaLj256ELj8ELj10EEvPKT0_PS1_.kd
    .uniform_work_group_size: 1
    .uses_dynamic_stack: false
    .vgpr_count:     64
    .vgpr_spill_count: 0
    .wavefront_size: 32
    .workgroup_processor_mode: 1
  - .args:
      - .address_space:  global
        .offset:         0
        .size:           8
        .value_kind:     global_buffer
      - .address_space:  global
        .offset:         8
        .size:           8
        .value_kind:     global_buffer
      - .offset:         16
        .size:           4
        .value_kind:     hidden_block_count_x
      - .offset:         20
        .size:           4
        .value_kind:     hidden_block_count_y
      - .offset:         24
        .size:           4
        .value_kind:     hidden_block_count_z
      - .offset:         28
        .size:           2
        .value_kind:     hidden_group_size_x
      - .offset:         30
        .size:           2
        .value_kind:     hidden_group_size_y
      - .offset:         32
        .size:           2
        .value_kind:     hidden_group_size_z
      - .offset:         34
        .size:           2
        .value_kind:     hidden_remainder_x
      - .offset:         36
        .size:           2
        .value_kind:     hidden_remainder_y
      - .offset:         38
        .size:           2
        .value_kind:     hidden_remainder_z
      - .offset:         56
        .size:           8
        .value_kind:     hidden_global_offset_x
      - .offset:         64
        .size:           8
        .value_kind:     hidden_global_offset_y
      - .offset:         72
        .size:           8
        .value_kind:     hidden_global_offset_z
      - .offset:         80
        .size:           2
        .value_kind:     hidden_grid_dims
    .group_segment_fixed_size: 10288
    .kernarg_segment_align: 8
    .kernarg_segment_size: 272
    .language:       OpenCL C
    .language_version:
      - 2
      - 0
    .max_flat_workgroup_size: 320
    .name:           _Z16sort_keys_kernelI22helper_blocked_blockedaLj320ELj1ELj10EEvPKT0_PS1_
    .private_segment_fixed_size: 0
    .sgpr_count:     22
    .sgpr_spill_count: 0
    .symbol:         _Z16sort_keys_kernelI22helper_blocked_blockedaLj320ELj1ELj10EEvPKT0_PS1_.kd
    .uniform_work_group_size: 1
    .uses_dynamic_stack: false
    .vgpr_count:     25
    .vgpr_spill_count: 0
    .wavefront_size: 32
    .workgroup_processor_mode: 1
  - .args:
      - .address_space:  global
        .offset:         0
        .size:           8
        .value_kind:     global_buffer
      - .address_space:  global
        .offset:         8
        .size:           8
        .value_kind:     global_buffer
      - .offset:         16
        .size:           4
        .value_kind:     hidden_block_count_x
      - .offset:         20
        .size:           4
        .value_kind:     hidden_block_count_y
      - .offset:         24
        .size:           4
        .value_kind:     hidden_block_count_z
      - .offset:         28
        .size:           2
        .value_kind:     hidden_group_size_x
      - .offset:         30
        .size:           2
        .value_kind:     hidden_group_size_y
      - .offset:         32
        .size:           2
        .value_kind:     hidden_group_size_z
      - .offset:         34
        .size:           2
        .value_kind:     hidden_remainder_x
      - .offset:         36
        .size:           2
        .value_kind:     hidden_remainder_y
      - .offset:         38
        .size:           2
        .value_kind:     hidden_remainder_z
      - .offset:         56
        .size:           8
        .value_kind:     hidden_global_offset_x
      - .offset:         64
        .size:           8
        .value_kind:     hidden_global_offset_y
      - .offset:         72
        .size:           8
        .value_kind:     hidden_global_offset_z
      - .offset:         80
        .size:           2
        .value_kind:     hidden_grid_dims
    .group_segment_fixed_size: 10288
    .kernarg_segment_align: 8
    .kernarg_segment_size: 272
    .language:       OpenCL C
    .language_version:
      - 2
      - 0
    .max_flat_workgroup_size: 320
    .name:           _Z17sort_pairs_kernelI22helper_blocked_blockedaLj320ELj1ELj10EEvPKT0_PS1_
    .private_segment_fixed_size: 0
    .sgpr_count:     22
    .sgpr_spill_count: 0
    .symbol:         _Z17sort_pairs_kernelI22helper_blocked_blockedaLj320ELj1ELj10EEvPKT0_PS1_.kd
    .uniform_work_group_size: 1
    .uses_dynamic_stack: false
    .vgpr_count:     26
    .vgpr_spill_count: 0
    .wavefront_size: 32
    .workgroup_processor_mode: 1
  - .args:
      - .address_space:  global
        .offset:         0
        .size:           8
        .value_kind:     global_buffer
      - .address_space:  global
        .offset:         8
        .size:           8
        .value_kind:     global_buffer
      - .offset:         16
        .size:           4
        .value_kind:     hidden_block_count_x
      - .offset:         20
        .size:           4
        .value_kind:     hidden_block_count_y
      - .offset:         24
        .size:           4
        .value_kind:     hidden_block_count_z
      - .offset:         28
        .size:           2
        .value_kind:     hidden_group_size_x
      - .offset:         30
        .size:           2
        .value_kind:     hidden_group_size_y
      - .offset:         32
        .size:           2
        .value_kind:     hidden_group_size_z
      - .offset:         34
        .size:           2
        .value_kind:     hidden_remainder_x
      - .offset:         36
        .size:           2
        .value_kind:     hidden_remainder_y
      - .offset:         38
        .size:           2
        .value_kind:     hidden_remainder_z
      - .offset:         56
        .size:           8
        .value_kind:     hidden_global_offset_x
      - .offset:         64
        .size:           8
        .value_kind:     hidden_global_offset_y
      - .offset:         72
        .size:           8
        .value_kind:     hidden_global_offset_z
      - .offset:         80
        .size:           2
        .value_kind:     hidden_grid_dims
    .group_segment_fixed_size: 10288
    .kernarg_segment_align: 8
    .kernarg_segment_size: 272
    .language:       OpenCL C
    .language_version:
      - 2
      - 0
    .max_flat_workgroup_size: 320
    .name:           _Z16sort_keys_kernelI22helper_blocked_blockedaLj320ELj3ELj10EEvPKT0_PS1_
    .private_segment_fixed_size: 0
    .sgpr_count:     22
    .sgpr_spill_count: 0
    .symbol:         _Z16sort_keys_kernelI22helper_blocked_blockedaLj320ELj3ELj10EEvPKT0_PS1_.kd
    .uniform_work_group_size: 1
    .uses_dynamic_stack: false
    .vgpr_count:     36
    .vgpr_spill_count: 0
    .wavefront_size: 32
    .workgroup_processor_mode: 1
  - .args:
      - .address_space:  global
        .offset:         0
        .size:           8
        .value_kind:     global_buffer
      - .address_space:  global
        .offset:         8
        .size:           8
        .value_kind:     global_buffer
      - .offset:         16
        .size:           4
        .value_kind:     hidden_block_count_x
      - .offset:         20
        .size:           4
        .value_kind:     hidden_block_count_y
      - .offset:         24
        .size:           4
        .value_kind:     hidden_block_count_z
      - .offset:         28
        .size:           2
        .value_kind:     hidden_group_size_x
      - .offset:         30
        .size:           2
        .value_kind:     hidden_group_size_y
      - .offset:         32
        .size:           2
        .value_kind:     hidden_group_size_z
      - .offset:         34
        .size:           2
        .value_kind:     hidden_remainder_x
      - .offset:         36
        .size:           2
        .value_kind:     hidden_remainder_y
      - .offset:         38
        .size:           2
        .value_kind:     hidden_remainder_z
      - .offset:         56
        .size:           8
        .value_kind:     hidden_global_offset_x
      - .offset:         64
        .size:           8
        .value_kind:     hidden_global_offset_y
      - .offset:         72
        .size:           8
        .value_kind:     hidden_global_offset_z
      - .offset:         80
        .size:           2
        .value_kind:     hidden_grid_dims
    .group_segment_fixed_size: 10288
    .kernarg_segment_align: 8
    .kernarg_segment_size: 272
    .language:       OpenCL C
    .language_version:
      - 2
      - 0
    .max_flat_workgroup_size: 320
    .name:           _Z17sort_pairs_kernelI22helper_blocked_blockedaLj320ELj3ELj10EEvPKT0_PS1_
    .private_segment_fixed_size: 0
    .sgpr_count:     22
    .sgpr_spill_count: 0
    .symbol:         _Z17sort_pairs_kernelI22helper_blocked_blockedaLj320ELj3ELj10EEvPKT0_PS1_.kd
    .uniform_work_group_size: 1
    .uses_dynamic_stack: false
    .vgpr_count:     39
    .vgpr_spill_count: 0
    .wavefront_size: 32
    .workgroup_processor_mode: 1
  - .args:
      - .address_space:  global
        .offset:         0
        .size:           8
        .value_kind:     global_buffer
      - .address_space:  global
        .offset:         8
        .size:           8
        .value_kind:     global_buffer
      - .offset:         16
        .size:           4
        .value_kind:     hidden_block_count_x
      - .offset:         20
        .size:           4
        .value_kind:     hidden_block_count_y
      - .offset:         24
        .size:           4
        .value_kind:     hidden_block_count_z
      - .offset:         28
        .size:           2
        .value_kind:     hidden_group_size_x
      - .offset:         30
        .size:           2
        .value_kind:     hidden_group_size_y
      - .offset:         32
        .size:           2
        .value_kind:     hidden_group_size_z
      - .offset:         34
        .size:           2
        .value_kind:     hidden_remainder_x
      - .offset:         36
        .size:           2
        .value_kind:     hidden_remainder_y
      - .offset:         38
        .size:           2
        .value_kind:     hidden_remainder_z
      - .offset:         56
        .size:           8
        .value_kind:     hidden_global_offset_x
      - .offset:         64
        .size:           8
        .value_kind:     hidden_global_offset_y
      - .offset:         72
        .size:           8
        .value_kind:     hidden_global_offset_z
      - .offset:         80
        .size:           2
        .value_kind:     hidden_grid_dims
    .group_segment_fixed_size: 10288
    .kernarg_segment_align: 8
    .kernarg_segment_size: 272
    .language:       OpenCL C
    .language_version:
      - 2
      - 0
    .max_flat_workgroup_size: 320
    .name:           _Z16sort_keys_kernelI22helper_blocked_blockedaLj320ELj4ELj10EEvPKT0_PS1_
    .private_segment_fixed_size: 0
    .sgpr_count:     22
    .sgpr_spill_count: 0
    .symbol:         _Z16sort_keys_kernelI22helper_blocked_blockedaLj320ELj4ELj10EEvPKT0_PS1_.kd
    .uniform_work_group_size: 1
    .uses_dynamic_stack: false
    .vgpr_count:     41
    .vgpr_spill_count: 0
    .wavefront_size: 32
    .workgroup_processor_mode: 1
  - .args:
      - .address_space:  global
        .offset:         0
        .size:           8
        .value_kind:     global_buffer
      - .address_space:  global
        .offset:         8
        .size:           8
        .value_kind:     global_buffer
      - .offset:         16
        .size:           4
        .value_kind:     hidden_block_count_x
      - .offset:         20
        .size:           4
        .value_kind:     hidden_block_count_y
      - .offset:         24
        .size:           4
        .value_kind:     hidden_block_count_z
      - .offset:         28
        .size:           2
        .value_kind:     hidden_group_size_x
      - .offset:         30
        .size:           2
        .value_kind:     hidden_group_size_y
      - .offset:         32
        .size:           2
        .value_kind:     hidden_group_size_z
      - .offset:         34
        .size:           2
        .value_kind:     hidden_remainder_x
      - .offset:         36
        .size:           2
        .value_kind:     hidden_remainder_y
      - .offset:         38
        .size:           2
        .value_kind:     hidden_remainder_z
      - .offset:         56
        .size:           8
        .value_kind:     hidden_global_offset_x
      - .offset:         64
        .size:           8
        .value_kind:     hidden_global_offset_y
      - .offset:         72
        .size:           8
        .value_kind:     hidden_global_offset_z
      - .offset:         80
        .size:           2
        .value_kind:     hidden_grid_dims
    .group_segment_fixed_size: 10288
    .kernarg_segment_align: 8
    .kernarg_segment_size: 272
    .language:       OpenCL C
    .language_version:
      - 2
      - 0
    .max_flat_workgroup_size: 320
    .name:           _Z17sort_pairs_kernelI22helper_blocked_blockedaLj320ELj4ELj10EEvPKT0_PS1_
    .private_segment_fixed_size: 0
    .sgpr_count:     22
    .sgpr_spill_count: 0
    .symbol:         _Z17sort_pairs_kernelI22helper_blocked_blockedaLj320ELj4ELj10EEvPKT0_PS1_.kd
    .uniform_work_group_size: 1
    .uses_dynamic_stack: false
    .vgpr_count:     57
    .vgpr_spill_count: 0
    .wavefront_size: 32
    .workgroup_processor_mode: 1
  - .args:
      - .address_space:  global
        .offset:         0
        .size:           8
        .value_kind:     global_buffer
      - .address_space:  global
        .offset:         8
        .size:           8
        .value_kind:     global_buffer
      - .offset:         16
        .size:           4
        .value_kind:     hidden_block_count_x
      - .offset:         20
        .size:           4
        .value_kind:     hidden_block_count_y
      - .offset:         24
        .size:           4
        .value_kind:     hidden_block_count_z
      - .offset:         28
        .size:           2
        .value_kind:     hidden_group_size_x
      - .offset:         30
        .size:           2
        .value_kind:     hidden_group_size_y
      - .offset:         32
        .size:           2
        .value_kind:     hidden_group_size_z
      - .offset:         34
        .size:           2
        .value_kind:     hidden_remainder_x
      - .offset:         36
        .size:           2
        .value_kind:     hidden_remainder_y
      - .offset:         38
        .size:           2
        .value_kind:     hidden_remainder_z
      - .offset:         56
        .size:           8
        .value_kind:     hidden_global_offset_x
      - .offset:         64
        .size:           8
        .value_kind:     hidden_global_offset_y
      - .offset:         72
        .size:           8
        .value_kind:     hidden_global_offset_z
      - .offset:         80
        .size:           2
        .value_kind:     hidden_grid_dims
    .group_segment_fixed_size: 10288
    .kernarg_segment_align: 8
    .kernarg_segment_size: 272
    .language:       OpenCL C
    .language_version:
      - 2
      - 0
    .max_flat_workgroup_size: 320
    .name:           _Z16sort_keys_kernelI22helper_blocked_blockedaLj320ELj8ELj10EEvPKT0_PS1_
    .private_segment_fixed_size: 0
    .sgpr_count:     22
    .sgpr_spill_count: 0
    .symbol:         _Z16sort_keys_kernelI22helper_blocked_blockedaLj320ELj8ELj10EEvPKT0_PS1_.kd
    .uniform_work_group_size: 1
    .uses_dynamic_stack: false
    .vgpr_count:     56
    .vgpr_spill_count: 0
    .wavefront_size: 32
    .workgroup_processor_mode: 1
  - .args:
      - .address_space:  global
        .offset:         0
        .size:           8
        .value_kind:     global_buffer
      - .address_space:  global
        .offset:         8
        .size:           8
        .value_kind:     global_buffer
      - .offset:         16
        .size:           4
        .value_kind:     hidden_block_count_x
      - .offset:         20
        .size:           4
        .value_kind:     hidden_block_count_y
      - .offset:         24
        .size:           4
        .value_kind:     hidden_block_count_z
      - .offset:         28
        .size:           2
        .value_kind:     hidden_group_size_x
      - .offset:         30
        .size:           2
        .value_kind:     hidden_group_size_y
      - .offset:         32
        .size:           2
        .value_kind:     hidden_group_size_z
      - .offset:         34
        .size:           2
        .value_kind:     hidden_remainder_x
      - .offset:         36
        .size:           2
        .value_kind:     hidden_remainder_y
      - .offset:         38
        .size:           2
        .value_kind:     hidden_remainder_z
      - .offset:         56
        .size:           8
        .value_kind:     hidden_global_offset_x
      - .offset:         64
        .size:           8
        .value_kind:     hidden_global_offset_y
      - .offset:         72
        .size:           8
        .value_kind:     hidden_global_offset_z
      - .offset:         80
        .size:           2
        .value_kind:     hidden_grid_dims
    .group_segment_fixed_size: 10288
    .kernarg_segment_align: 8
    .kernarg_segment_size: 272
    .language:       OpenCL C
    .language_version:
      - 2
      - 0
    .max_flat_workgroup_size: 320
    .name:           _Z17sort_pairs_kernelI22helper_blocked_blockedaLj320ELj8ELj10EEvPKT0_PS1_
    .private_segment_fixed_size: 0
    .sgpr_count:     22
    .sgpr_spill_count: 0
    .symbol:         _Z17sort_pairs_kernelI22helper_blocked_blockedaLj320ELj8ELj10EEvPKT0_PS1_.kd
    .uniform_work_group_size: 1
    .uses_dynamic_stack: false
    .vgpr_count:     64
    .vgpr_spill_count: 0
    .wavefront_size: 32
    .workgroup_processor_mode: 1
  - .args:
      - .address_space:  global
        .offset:         0
        .size:           8
        .value_kind:     global_buffer
      - .address_space:  global
        .offset:         8
        .size:           8
        .value_kind:     global_buffer
      - .offset:         16
        .size:           4
        .value_kind:     hidden_block_count_x
      - .offset:         20
        .size:           4
        .value_kind:     hidden_block_count_y
      - .offset:         24
        .size:           4
        .value_kind:     hidden_block_count_z
      - .offset:         28
        .size:           2
        .value_kind:     hidden_group_size_x
      - .offset:         30
        .size:           2
        .value_kind:     hidden_group_size_y
      - .offset:         32
        .size:           2
        .value_kind:     hidden_group_size_z
      - .offset:         34
        .size:           2
        .value_kind:     hidden_remainder_x
      - .offset:         36
        .size:           2
        .value_kind:     hidden_remainder_y
      - .offset:         38
        .size:           2
        .value_kind:     hidden_remainder_z
      - .offset:         56
        .size:           8
        .value_kind:     hidden_global_offset_x
      - .offset:         64
        .size:           8
        .value_kind:     hidden_global_offset_y
      - .offset:         72
        .size:           8
        .value_kind:     hidden_global_offset_z
      - .offset:         80
        .size:           2
        .value_kind:     hidden_grid_dims
    .group_segment_fixed_size: 16448
    .kernarg_segment_align: 8
    .kernarg_segment_size: 272
    .language:       OpenCL C
    .language_version:
      - 2
      - 0
    .max_flat_workgroup_size: 512
    .name:           _Z16sort_keys_kernelI22helper_blocked_blockedaLj512ELj1ELj10EEvPKT0_PS1_
    .private_segment_fixed_size: 0
    .sgpr_count:     22
    .sgpr_spill_count: 0
    .symbol:         _Z16sort_keys_kernelI22helper_blocked_blockedaLj512ELj1ELj10EEvPKT0_PS1_.kd
    .uniform_work_group_size: 1
    .uses_dynamic_stack: false
    .vgpr_count:     25
    .vgpr_spill_count: 0
    .wavefront_size: 32
    .workgroup_processor_mode: 1
  - .args:
      - .address_space:  global
        .offset:         0
        .size:           8
        .value_kind:     global_buffer
      - .address_space:  global
        .offset:         8
        .size:           8
        .value_kind:     global_buffer
      - .offset:         16
        .size:           4
        .value_kind:     hidden_block_count_x
      - .offset:         20
        .size:           4
        .value_kind:     hidden_block_count_y
      - .offset:         24
        .size:           4
        .value_kind:     hidden_block_count_z
      - .offset:         28
        .size:           2
        .value_kind:     hidden_group_size_x
      - .offset:         30
        .size:           2
        .value_kind:     hidden_group_size_y
      - .offset:         32
        .size:           2
        .value_kind:     hidden_group_size_z
      - .offset:         34
        .size:           2
        .value_kind:     hidden_remainder_x
      - .offset:         36
        .size:           2
        .value_kind:     hidden_remainder_y
      - .offset:         38
        .size:           2
        .value_kind:     hidden_remainder_z
      - .offset:         56
        .size:           8
        .value_kind:     hidden_global_offset_x
      - .offset:         64
        .size:           8
        .value_kind:     hidden_global_offset_y
      - .offset:         72
        .size:           8
        .value_kind:     hidden_global_offset_z
      - .offset:         80
        .size:           2
        .value_kind:     hidden_grid_dims
    .group_segment_fixed_size: 16448
    .kernarg_segment_align: 8
    .kernarg_segment_size: 272
    .language:       OpenCL C
    .language_version:
      - 2
      - 0
    .max_flat_workgroup_size: 512
    .name:           _Z17sort_pairs_kernelI22helper_blocked_blockedaLj512ELj1ELj10EEvPKT0_PS1_
    .private_segment_fixed_size: 0
    .sgpr_count:     22
    .sgpr_spill_count: 0
    .symbol:         _Z17sort_pairs_kernelI22helper_blocked_blockedaLj512ELj1ELj10EEvPKT0_PS1_.kd
    .uniform_work_group_size: 1
    .uses_dynamic_stack: false
    .vgpr_count:     26
    .vgpr_spill_count: 0
    .wavefront_size: 32
    .workgroup_processor_mode: 1
  - .args:
      - .address_space:  global
        .offset:         0
        .size:           8
        .value_kind:     global_buffer
      - .address_space:  global
        .offset:         8
        .size:           8
        .value_kind:     global_buffer
      - .offset:         16
        .size:           4
        .value_kind:     hidden_block_count_x
      - .offset:         20
        .size:           4
        .value_kind:     hidden_block_count_y
      - .offset:         24
        .size:           4
        .value_kind:     hidden_block_count_z
      - .offset:         28
        .size:           2
        .value_kind:     hidden_group_size_x
      - .offset:         30
        .size:           2
        .value_kind:     hidden_group_size_y
      - .offset:         32
        .size:           2
        .value_kind:     hidden_group_size_z
      - .offset:         34
        .size:           2
        .value_kind:     hidden_remainder_x
      - .offset:         36
        .size:           2
        .value_kind:     hidden_remainder_y
      - .offset:         38
        .size:           2
        .value_kind:     hidden_remainder_z
      - .offset:         56
        .size:           8
        .value_kind:     hidden_global_offset_x
      - .offset:         64
        .size:           8
        .value_kind:     hidden_global_offset_y
      - .offset:         72
        .size:           8
        .value_kind:     hidden_global_offset_z
      - .offset:         80
        .size:           2
        .value_kind:     hidden_grid_dims
    .group_segment_fixed_size: 16448
    .kernarg_segment_align: 8
    .kernarg_segment_size: 272
    .language:       OpenCL C
    .language_version:
      - 2
      - 0
    .max_flat_workgroup_size: 512
    .name:           _Z16sort_keys_kernelI22helper_blocked_blockedaLj512ELj3ELj10EEvPKT0_PS1_
    .private_segment_fixed_size: 0
    .sgpr_count:     22
    .sgpr_spill_count: 0
    .symbol:         _Z16sort_keys_kernelI22helper_blocked_blockedaLj512ELj3ELj10EEvPKT0_PS1_.kd
    .uniform_work_group_size: 1
    .uses_dynamic_stack: false
    .vgpr_count:     36
    .vgpr_spill_count: 0
    .wavefront_size: 32
    .workgroup_processor_mode: 1
  - .args:
      - .address_space:  global
        .offset:         0
        .size:           8
        .value_kind:     global_buffer
      - .address_space:  global
        .offset:         8
        .size:           8
        .value_kind:     global_buffer
      - .offset:         16
        .size:           4
        .value_kind:     hidden_block_count_x
      - .offset:         20
        .size:           4
        .value_kind:     hidden_block_count_y
      - .offset:         24
        .size:           4
        .value_kind:     hidden_block_count_z
      - .offset:         28
        .size:           2
        .value_kind:     hidden_group_size_x
      - .offset:         30
        .size:           2
        .value_kind:     hidden_group_size_y
      - .offset:         32
        .size:           2
        .value_kind:     hidden_group_size_z
      - .offset:         34
        .size:           2
        .value_kind:     hidden_remainder_x
      - .offset:         36
        .size:           2
        .value_kind:     hidden_remainder_y
      - .offset:         38
        .size:           2
        .value_kind:     hidden_remainder_z
      - .offset:         56
        .size:           8
        .value_kind:     hidden_global_offset_x
      - .offset:         64
        .size:           8
        .value_kind:     hidden_global_offset_y
      - .offset:         72
        .size:           8
        .value_kind:     hidden_global_offset_z
      - .offset:         80
        .size:           2
        .value_kind:     hidden_grid_dims
    .group_segment_fixed_size: 16448
    .kernarg_segment_align: 8
    .kernarg_segment_size: 272
    .language:       OpenCL C
    .language_version:
      - 2
      - 0
    .max_flat_workgroup_size: 512
    .name:           _Z17sort_pairs_kernelI22helper_blocked_blockedaLj512ELj3ELj10EEvPKT0_PS1_
    .private_segment_fixed_size: 0
    .sgpr_count:     22
    .sgpr_spill_count: 0
    .symbol:         _Z17sort_pairs_kernelI22helper_blocked_blockedaLj512ELj3ELj10EEvPKT0_PS1_.kd
    .uniform_work_group_size: 1
    .uses_dynamic_stack: false
    .vgpr_count:     39
    .vgpr_spill_count: 0
    .wavefront_size: 32
    .workgroup_processor_mode: 1
  - .args:
      - .address_space:  global
        .offset:         0
        .size:           8
        .value_kind:     global_buffer
      - .address_space:  global
        .offset:         8
        .size:           8
        .value_kind:     global_buffer
      - .offset:         16
        .size:           4
        .value_kind:     hidden_block_count_x
      - .offset:         20
        .size:           4
        .value_kind:     hidden_block_count_y
      - .offset:         24
        .size:           4
        .value_kind:     hidden_block_count_z
      - .offset:         28
        .size:           2
        .value_kind:     hidden_group_size_x
      - .offset:         30
        .size:           2
        .value_kind:     hidden_group_size_y
      - .offset:         32
        .size:           2
        .value_kind:     hidden_group_size_z
      - .offset:         34
        .size:           2
        .value_kind:     hidden_remainder_x
      - .offset:         36
        .size:           2
        .value_kind:     hidden_remainder_y
      - .offset:         38
        .size:           2
        .value_kind:     hidden_remainder_z
      - .offset:         56
        .size:           8
        .value_kind:     hidden_global_offset_x
      - .offset:         64
        .size:           8
        .value_kind:     hidden_global_offset_y
      - .offset:         72
        .size:           8
        .value_kind:     hidden_global_offset_z
      - .offset:         80
        .size:           2
        .value_kind:     hidden_grid_dims
    .group_segment_fixed_size: 16448
    .kernarg_segment_align: 8
    .kernarg_segment_size: 272
    .language:       OpenCL C
    .language_version:
      - 2
      - 0
    .max_flat_workgroup_size: 512
    .name:           _Z16sort_keys_kernelI22helper_blocked_blockedaLj512ELj4ELj10EEvPKT0_PS1_
    .private_segment_fixed_size: 0
    .sgpr_count:     22
    .sgpr_spill_count: 0
    .symbol:         _Z16sort_keys_kernelI22helper_blocked_blockedaLj512ELj4ELj10EEvPKT0_PS1_.kd
    .uniform_work_group_size: 1
    .uses_dynamic_stack: false
    .vgpr_count:     41
    .vgpr_spill_count: 0
    .wavefront_size: 32
    .workgroup_processor_mode: 1
  - .args:
      - .address_space:  global
        .offset:         0
        .size:           8
        .value_kind:     global_buffer
      - .address_space:  global
        .offset:         8
        .size:           8
        .value_kind:     global_buffer
      - .offset:         16
        .size:           4
        .value_kind:     hidden_block_count_x
      - .offset:         20
        .size:           4
        .value_kind:     hidden_block_count_y
      - .offset:         24
        .size:           4
        .value_kind:     hidden_block_count_z
      - .offset:         28
        .size:           2
        .value_kind:     hidden_group_size_x
      - .offset:         30
        .size:           2
        .value_kind:     hidden_group_size_y
      - .offset:         32
        .size:           2
        .value_kind:     hidden_group_size_z
      - .offset:         34
        .size:           2
        .value_kind:     hidden_remainder_x
      - .offset:         36
        .size:           2
        .value_kind:     hidden_remainder_y
      - .offset:         38
        .size:           2
        .value_kind:     hidden_remainder_z
      - .offset:         56
        .size:           8
        .value_kind:     hidden_global_offset_x
      - .offset:         64
        .size:           8
        .value_kind:     hidden_global_offset_y
      - .offset:         72
        .size:           8
        .value_kind:     hidden_global_offset_z
      - .offset:         80
        .size:           2
        .value_kind:     hidden_grid_dims
    .group_segment_fixed_size: 16448
    .kernarg_segment_align: 8
    .kernarg_segment_size: 272
    .language:       OpenCL C
    .language_version:
      - 2
      - 0
    .max_flat_workgroup_size: 512
    .name:           _Z17sort_pairs_kernelI22helper_blocked_blockedaLj512ELj4ELj10EEvPKT0_PS1_
    .private_segment_fixed_size: 0
    .sgpr_count:     22
    .sgpr_spill_count: 0
    .symbol:         _Z17sort_pairs_kernelI22helper_blocked_blockedaLj512ELj4ELj10EEvPKT0_PS1_.kd
    .uniform_work_group_size: 1
    .uses_dynamic_stack: false
    .vgpr_count:     57
    .vgpr_spill_count: 0
    .wavefront_size: 32
    .workgroup_processor_mode: 1
  - .args:
      - .address_space:  global
        .offset:         0
        .size:           8
        .value_kind:     global_buffer
      - .address_space:  global
        .offset:         8
        .size:           8
        .value_kind:     global_buffer
      - .offset:         16
        .size:           4
        .value_kind:     hidden_block_count_x
      - .offset:         20
        .size:           4
        .value_kind:     hidden_block_count_y
      - .offset:         24
        .size:           4
        .value_kind:     hidden_block_count_z
      - .offset:         28
        .size:           2
        .value_kind:     hidden_group_size_x
      - .offset:         30
        .size:           2
        .value_kind:     hidden_group_size_y
      - .offset:         32
        .size:           2
        .value_kind:     hidden_group_size_z
      - .offset:         34
        .size:           2
        .value_kind:     hidden_remainder_x
      - .offset:         36
        .size:           2
        .value_kind:     hidden_remainder_y
      - .offset:         38
        .size:           2
        .value_kind:     hidden_remainder_z
      - .offset:         56
        .size:           8
        .value_kind:     hidden_global_offset_x
      - .offset:         64
        .size:           8
        .value_kind:     hidden_global_offset_y
      - .offset:         72
        .size:           8
        .value_kind:     hidden_global_offset_z
      - .offset:         80
        .size:           2
        .value_kind:     hidden_grid_dims
    .group_segment_fixed_size: 16448
    .kernarg_segment_align: 8
    .kernarg_segment_size: 272
    .language:       OpenCL C
    .language_version:
      - 2
      - 0
    .max_flat_workgroup_size: 512
    .name:           _Z16sort_keys_kernelI22helper_blocked_blockedaLj512ELj8ELj10EEvPKT0_PS1_
    .private_segment_fixed_size: 0
    .sgpr_count:     22
    .sgpr_spill_count: 0
    .symbol:         _Z16sort_keys_kernelI22helper_blocked_blockedaLj512ELj8ELj10EEvPKT0_PS1_.kd
    .uniform_work_group_size: 1
    .uses_dynamic_stack: false
    .vgpr_count:     56
    .vgpr_spill_count: 0
    .wavefront_size: 32
    .workgroup_processor_mode: 1
  - .args:
      - .address_space:  global
        .offset:         0
        .size:           8
        .value_kind:     global_buffer
      - .address_space:  global
        .offset:         8
        .size:           8
        .value_kind:     global_buffer
      - .offset:         16
        .size:           4
        .value_kind:     hidden_block_count_x
      - .offset:         20
        .size:           4
        .value_kind:     hidden_block_count_y
      - .offset:         24
        .size:           4
        .value_kind:     hidden_block_count_z
      - .offset:         28
        .size:           2
        .value_kind:     hidden_group_size_x
      - .offset:         30
        .size:           2
        .value_kind:     hidden_group_size_y
      - .offset:         32
        .size:           2
        .value_kind:     hidden_group_size_z
      - .offset:         34
        .size:           2
        .value_kind:     hidden_remainder_x
      - .offset:         36
        .size:           2
        .value_kind:     hidden_remainder_y
      - .offset:         38
        .size:           2
        .value_kind:     hidden_remainder_z
      - .offset:         56
        .size:           8
        .value_kind:     hidden_global_offset_x
      - .offset:         64
        .size:           8
        .value_kind:     hidden_global_offset_y
      - .offset:         72
        .size:           8
        .value_kind:     hidden_global_offset_z
      - .offset:         80
        .size:           2
        .value_kind:     hidden_grid_dims
    .group_segment_fixed_size: 16448
    .kernarg_segment_align: 8
    .kernarg_segment_size: 272
    .language:       OpenCL C
    .language_version:
      - 2
      - 0
    .max_flat_workgroup_size: 512
    .name:           _Z17sort_pairs_kernelI22helper_blocked_blockedaLj512ELj8ELj10EEvPKT0_PS1_
    .private_segment_fixed_size: 0
    .sgpr_count:     22
    .sgpr_spill_count: 0
    .symbol:         _Z17sort_pairs_kernelI22helper_blocked_blockedaLj512ELj8ELj10EEvPKT0_PS1_.kd
    .uniform_work_group_size: 1
    .uses_dynamic_stack: false
    .vgpr_count:     64
    .vgpr_spill_count: 0
    .wavefront_size: 32
    .workgroup_processor_mode: 1
  - .args:
      - .address_space:  global
        .offset:         0
        .size:           8
        .value_kind:     global_buffer
      - .address_space:  global
        .offset:         8
        .size:           8
        .value_kind:     global_buffer
      - .offset:         16
        .size:           4
        .value_kind:     hidden_block_count_x
      - .offset:         20
        .size:           4
        .value_kind:     hidden_block_count_y
      - .offset:         24
        .size:           4
        .value_kind:     hidden_block_count_z
      - .offset:         28
        .size:           2
        .value_kind:     hidden_group_size_x
      - .offset:         30
        .size:           2
        .value_kind:     hidden_group_size_y
      - .offset:         32
        .size:           2
        .value_kind:     hidden_group_size_z
      - .offset:         34
        .size:           2
        .value_kind:     hidden_remainder_x
      - .offset:         36
        .size:           2
        .value_kind:     hidden_remainder_y
      - .offset:         38
        .size:           2
        .value_kind:     hidden_remainder_z
      - .offset:         56
        .size:           8
        .value_kind:     hidden_global_offset_x
      - .offset:         64
        .size:           8
        .value_kind:     hidden_global_offset_y
      - .offset:         72
        .size:           8
        .value_kind:     hidden_global_offset_z
      - .offset:         80
        .size:           2
        .value_kind:     hidden_grid_dims
    .group_segment_fixed_size: 2064
    .kernarg_segment_align: 8
    .kernarg_segment_size: 272
    .language:       OpenCL C
    .language_version:
      - 2
      - 0
    .max_flat_workgroup_size: 64
    .name:           _Z16sort_keys_kernelI22helper_blocked_blockedxLj64ELj1ELj10EEvPKT0_PS1_
    .private_segment_fixed_size: 0
    .sgpr_count:     24
    .sgpr_spill_count: 0
    .symbol:         _Z16sort_keys_kernelI22helper_blocked_blockedxLj64ELj1ELj10EEvPKT0_PS1_.kd
    .uniform_work_group_size: 1
    .uses_dynamic_stack: false
    .vgpr_count:     28
    .vgpr_spill_count: 0
    .wavefront_size: 32
    .workgroup_processor_mode: 1
  - .args:
      - .address_space:  global
        .offset:         0
        .size:           8
        .value_kind:     global_buffer
      - .address_space:  global
        .offset:         8
        .size:           8
        .value_kind:     global_buffer
      - .offset:         16
        .size:           4
        .value_kind:     hidden_block_count_x
      - .offset:         20
        .size:           4
        .value_kind:     hidden_block_count_y
      - .offset:         24
        .size:           4
        .value_kind:     hidden_block_count_z
      - .offset:         28
        .size:           2
        .value_kind:     hidden_group_size_x
      - .offset:         30
        .size:           2
        .value_kind:     hidden_group_size_y
      - .offset:         32
        .size:           2
        .value_kind:     hidden_group_size_z
      - .offset:         34
        .size:           2
        .value_kind:     hidden_remainder_x
      - .offset:         36
        .size:           2
        .value_kind:     hidden_remainder_y
      - .offset:         38
        .size:           2
        .value_kind:     hidden_remainder_z
      - .offset:         56
        .size:           8
        .value_kind:     hidden_global_offset_x
      - .offset:         64
        .size:           8
        .value_kind:     hidden_global_offset_y
      - .offset:         72
        .size:           8
        .value_kind:     hidden_global_offset_z
      - .offset:         80
        .size:           2
        .value_kind:     hidden_grid_dims
    .group_segment_fixed_size: 2064
    .kernarg_segment_align: 8
    .kernarg_segment_size: 272
    .language:       OpenCL C
    .language_version:
      - 2
      - 0
    .max_flat_workgroup_size: 64
    .name:           _Z17sort_pairs_kernelI22helper_blocked_blockedxLj64ELj1ELj10EEvPKT0_PS1_
    .private_segment_fixed_size: 0
    .sgpr_count:     24
    .sgpr_spill_count: 0
    .symbol:         _Z17sort_pairs_kernelI22helper_blocked_blockedxLj64ELj1ELj10EEvPKT0_PS1_.kd
    .uniform_work_group_size: 1
    .uses_dynamic_stack: false
    .vgpr_count:     30
    .vgpr_spill_count: 0
    .wavefront_size: 32
    .workgroup_processor_mode: 1
  - .args:
      - .address_space:  global
        .offset:         0
        .size:           8
        .value_kind:     global_buffer
      - .address_space:  global
        .offset:         8
        .size:           8
        .value_kind:     global_buffer
      - .offset:         16
        .size:           4
        .value_kind:     hidden_block_count_x
      - .offset:         20
        .size:           4
        .value_kind:     hidden_block_count_y
      - .offset:         24
        .size:           4
        .value_kind:     hidden_block_count_z
      - .offset:         28
        .size:           2
        .value_kind:     hidden_group_size_x
      - .offset:         30
        .size:           2
        .value_kind:     hidden_group_size_y
      - .offset:         32
        .size:           2
        .value_kind:     hidden_group_size_z
      - .offset:         34
        .size:           2
        .value_kind:     hidden_remainder_x
      - .offset:         36
        .size:           2
        .value_kind:     hidden_remainder_y
      - .offset:         38
        .size:           2
        .value_kind:     hidden_remainder_z
      - .offset:         56
        .size:           8
        .value_kind:     hidden_global_offset_x
      - .offset:         64
        .size:           8
        .value_kind:     hidden_global_offset_y
      - .offset:         72
        .size:           8
        .value_kind:     hidden_global_offset_z
      - .offset:         80
        .size:           2
        .value_kind:     hidden_grid_dims
    .group_segment_fixed_size: 2064
    .kernarg_segment_align: 8
    .kernarg_segment_size: 272
    .language:       OpenCL C
    .language_version:
      - 2
      - 0
    .max_flat_workgroup_size: 64
    .name:           _Z16sort_keys_kernelI22helper_blocked_blockedxLj64ELj3ELj10EEvPKT0_PS1_
    .private_segment_fixed_size: 0
    .sgpr_count:     24
    .sgpr_spill_count: 0
    .symbol:         _Z16sort_keys_kernelI22helper_blocked_blockedxLj64ELj3ELj10EEvPKT0_PS1_.kd
    .uniform_work_group_size: 1
    .uses_dynamic_stack: false
    .vgpr_count:     40
    .vgpr_spill_count: 0
    .wavefront_size: 32
    .workgroup_processor_mode: 1
  - .args:
      - .address_space:  global
        .offset:         0
        .size:           8
        .value_kind:     global_buffer
      - .address_space:  global
        .offset:         8
        .size:           8
        .value_kind:     global_buffer
      - .offset:         16
        .size:           4
        .value_kind:     hidden_block_count_x
      - .offset:         20
        .size:           4
        .value_kind:     hidden_block_count_y
      - .offset:         24
        .size:           4
        .value_kind:     hidden_block_count_z
      - .offset:         28
        .size:           2
        .value_kind:     hidden_group_size_x
      - .offset:         30
        .size:           2
        .value_kind:     hidden_group_size_y
      - .offset:         32
        .size:           2
        .value_kind:     hidden_group_size_z
      - .offset:         34
        .size:           2
        .value_kind:     hidden_remainder_x
      - .offset:         36
        .size:           2
        .value_kind:     hidden_remainder_y
      - .offset:         38
        .size:           2
        .value_kind:     hidden_remainder_z
      - .offset:         56
        .size:           8
        .value_kind:     hidden_global_offset_x
      - .offset:         64
        .size:           8
        .value_kind:     hidden_global_offset_y
      - .offset:         72
        .size:           8
        .value_kind:     hidden_global_offset_z
      - .offset:         80
        .size:           2
        .value_kind:     hidden_grid_dims
    .group_segment_fixed_size: 2064
    .kernarg_segment_align: 8
    .kernarg_segment_size: 272
    .language:       OpenCL C
    .language_version:
      - 2
      - 0
    .max_flat_workgroup_size: 64
    .name:           _Z17sort_pairs_kernelI22helper_blocked_blockedxLj64ELj3ELj10EEvPKT0_PS1_
    .private_segment_fixed_size: 0
    .sgpr_count:     24
    .sgpr_spill_count: 0
    .symbol:         _Z17sort_pairs_kernelI22helper_blocked_blockedxLj64ELj3ELj10EEvPKT0_PS1_.kd
    .uniform_work_group_size: 1
    .uses_dynamic_stack: false
    .vgpr_count:     46
    .vgpr_spill_count: 0
    .wavefront_size: 32
    .workgroup_processor_mode: 1
  - .args:
      - .address_space:  global
        .offset:         0
        .size:           8
        .value_kind:     global_buffer
      - .address_space:  global
        .offset:         8
        .size:           8
        .value_kind:     global_buffer
      - .offset:         16
        .size:           4
        .value_kind:     hidden_block_count_x
      - .offset:         20
        .size:           4
        .value_kind:     hidden_block_count_y
      - .offset:         24
        .size:           4
        .value_kind:     hidden_block_count_z
      - .offset:         28
        .size:           2
        .value_kind:     hidden_group_size_x
      - .offset:         30
        .size:           2
        .value_kind:     hidden_group_size_y
      - .offset:         32
        .size:           2
        .value_kind:     hidden_group_size_z
      - .offset:         34
        .size:           2
        .value_kind:     hidden_remainder_x
      - .offset:         36
        .size:           2
        .value_kind:     hidden_remainder_y
      - .offset:         38
        .size:           2
        .value_kind:     hidden_remainder_z
      - .offset:         56
        .size:           8
        .value_kind:     hidden_global_offset_x
      - .offset:         64
        .size:           8
        .value_kind:     hidden_global_offset_y
      - .offset:         72
        .size:           8
        .value_kind:     hidden_global_offset_z
      - .offset:         80
        .size:           2
        .value_kind:     hidden_grid_dims
    .group_segment_fixed_size: 2064
    .kernarg_segment_align: 8
    .kernarg_segment_size: 272
    .language:       OpenCL C
    .language_version:
      - 2
      - 0
    .max_flat_workgroup_size: 64
    .name:           _Z16sort_keys_kernelI22helper_blocked_blockedxLj64ELj4ELj10EEvPKT0_PS1_
    .private_segment_fixed_size: 0
    .sgpr_count:     26
    .sgpr_spill_count: 0
    .symbol:         _Z16sort_keys_kernelI22helper_blocked_blockedxLj64ELj4ELj10EEvPKT0_PS1_.kd
    .uniform_work_group_size: 1
    .uses_dynamic_stack: false
    .vgpr_count:     49
    .vgpr_spill_count: 0
    .wavefront_size: 32
    .workgroup_processor_mode: 1
  - .args:
      - .address_space:  global
        .offset:         0
        .size:           8
        .value_kind:     global_buffer
      - .address_space:  global
        .offset:         8
        .size:           8
        .value_kind:     global_buffer
      - .offset:         16
        .size:           4
        .value_kind:     hidden_block_count_x
      - .offset:         20
        .size:           4
        .value_kind:     hidden_block_count_y
      - .offset:         24
        .size:           4
        .value_kind:     hidden_block_count_z
      - .offset:         28
        .size:           2
        .value_kind:     hidden_group_size_x
      - .offset:         30
        .size:           2
        .value_kind:     hidden_group_size_y
      - .offset:         32
        .size:           2
        .value_kind:     hidden_group_size_z
      - .offset:         34
        .size:           2
        .value_kind:     hidden_remainder_x
      - .offset:         36
        .size:           2
        .value_kind:     hidden_remainder_y
      - .offset:         38
        .size:           2
        .value_kind:     hidden_remainder_z
      - .offset:         56
        .size:           8
        .value_kind:     hidden_global_offset_x
      - .offset:         64
        .size:           8
        .value_kind:     hidden_global_offset_y
      - .offset:         72
        .size:           8
        .value_kind:     hidden_global_offset_z
      - .offset:         80
        .size:           2
        .value_kind:     hidden_grid_dims
    .group_segment_fixed_size: 2064
    .kernarg_segment_align: 8
    .kernarg_segment_size: 272
    .language:       OpenCL C
    .language_version:
      - 2
      - 0
    .max_flat_workgroup_size: 64
    .name:           _Z17sort_pairs_kernelI22helper_blocked_blockedxLj64ELj4ELj10EEvPKT0_PS1_
    .private_segment_fixed_size: 0
    .sgpr_count:     26
    .sgpr_spill_count: 0
    .symbol:         _Z17sort_pairs_kernelI22helper_blocked_blockedxLj64ELj4ELj10EEvPKT0_PS1_.kd
    .uniform_work_group_size: 1
    .uses_dynamic_stack: false
    .vgpr_count:     57
    .vgpr_spill_count: 0
    .wavefront_size: 32
    .workgroup_processor_mode: 1
  - .args:
      - .address_space:  global
        .offset:         0
        .size:           8
        .value_kind:     global_buffer
      - .address_space:  global
        .offset:         8
        .size:           8
        .value_kind:     global_buffer
      - .offset:         16
        .size:           4
        .value_kind:     hidden_block_count_x
      - .offset:         20
        .size:           4
        .value_kind:     hidden_block_count_y
      - .offset:         24
        .size:           4
        .value_kind:     hidden_block_count_z
      - .offset:         28
        .size:           2
        .value_kind:     hidden_group_size_x
      - .offset:         30
        .size:           2
        .value_kind:     hidden_group_size_y
      - .offset:         32
        .size:           2
        .value_kind:     hidden_group_size_z
      - .offset:         34
        .size:           2
        .value_kind:     hidden_remainder_x
      - .offset:         36
        .size:           2
        .value_kind:     hidden_remainder_y
      - .offset:         38
        .size:           2
        .value_kind:     hidden_remainder_z
      - .offset:         56
        .size:           8
        .value_kind:     hidden_global_offset_x
      - .offset:         64
        .size:           8
        .value_kind:     hidden_global_offset_y
      - .offset:         72
        .size:           8
        .value_kind:     hidden_global_offset_z
      - .offset:         80
        .size:           2
        .value_kind:     hidden_grid_dims
    .group_segment_fixed_size: 4096
    .kernarg_segment_align: 8
    .kernarg_segment_size: 272
    .language:       OpenCL C
    .language_version:
      - 2
      - 0
    .max_flat_workgroup_size: 64
    .name:           _Z16sort_keys_kernelI22helper_blocked_blockedxLj64ELj8ELj10EEvPKT0_PS1_
    .private_segment_fixed_size: 0
    .sgpr_count:     26
    .sgpr_spill_count: 0
    .symbol:         _Z16sort_keys_kernelI22helper_blocked_blockedxLj64ELj8ELj10EEvPKT0_PS1_.kd
    .uniform_work_group_size: 1
    .uses_dynamic_stack: false
    .vgpr_count:     60
    .vgpr_spill_count: 0
    .wavefront_size: 32
    .workgroup_processor_mode: 1
  - .args:
      - .address_space:  global
        .offset:         0
        .size:           8
        .value_kind:     global_buffer
      - .address_space:  global
        .offset:         8
        .size:           8
        .value_kind:     global_buffer
      - .offset:         16
        .size:           4
        .value_kind:     hidden_block_count_x
      - .offset:         20
        .size:           4
        .value_kind:     hidden_block_count_y
      - .offset:         24
        .size:           4
        .value_kind:     hidden_block_count_z
      - .offset:         28
        .size:           2
        .value_kind:     hidden_group_size_x
      - .offset:         30
        .size:           2
        .value_kind:     hidden_group_size_y
      - .offset:         32
        .size:           2
        .value_kind:     hidden_group_size_z
      - .offset:         34
        .size:           2
        .value_kind:     hidden_remainder_x
      - .offset:         36
        .size:           2
        .value_kind:     hidden_remainder_y
      - .offset:         38
        .size:           2
        .value_kind:     hidden_remainder_z
      - .offset:         56
        .size:           8
        .value_kind:     hidden_global_offset_x
      - .offset:         64
        .size:           8
        .value_kind:     hidden_global_offset_y
      - .offset:         72
        .size:           8
        .value_kind:     hidden_global_offset_z
      - .offset:         80
        .size:           2
        .value_kind:     hidden_grid_dims
    .group_segment_fixed_size: 4096
    .kernarg_segment_align: 8
    .kernarg_segment_size: 272
    .language:       OpenCL C
    .language_version:
      - 2
      - 0
    .max_flat_workgroup_size: 64
    .name:           _Z17sort_pairs_kernelI22helper_blocked_blockedxLj64ELj8ELj10EEvPKT0_PS1_
    .private_segment_fixed_size: 0
    .sgpr_count:     26
    .sgpr_spill_count: 0
    .symbol:         _Z17sort_pairs_kernelI22helper_blocked_blockedxLj64ELj8ELj10EEvPKT0_PS1_.kd
    .uniform_work_group_size: 1
    .uses_dynamic_stack: false
    .vgpr_count:     83
    .vgpr_spill_count: 0
    .wavefront_size: 32
    .workgroup_processor_mode: 1
  - .args:
      - .address_space:  global
        .offset:         0
        .size:           8
        .value_kind:     global_buffer
      - .address_space:  global
        .offset:         8
        .size:           8
        .value_kind:     global_buffer
      - .offset:         16
        .size:           4
        .value_kind:     hidden_block_count_x
      - .offset:         20
        .size:           4
        .value_kind:     hidden_block_count_y
      - .offset:         24
        .size:           4
        .value_kind:     hidden_block_count_z
      - .offset:         28
        .size:           2
        .value_kind:     hidden_group_size_x
      - .offset:         30
        .size:           2
        .value_kind:     hidden_group_size_y
      - .offset:         32
        .size:           2
        .value_kind:     hidden_group_size_z
      - .offset:         34
        .size:           2
        .value_kind:     hidden_remainder_x
      - .offset:         36
        .size:           2
        .value_kind:     hidden_remainder_y
      - .offset:         38
        .size:           2
        .value_kind:     hidden_remainder_z
      - .offset:         56
        .size:           8
        .value_kind:     hidden_global_offset_x
      - .offset:         64
        .size:           8
        .value_kind:     hidden_global_offset_y
      - .offset:         72
        .size:           8
        .value_kind:     hidden_global_offset_z
      - .offset:         80
        .size:           2
        .value_kind:     hidden_grid_dims
    .group_segment_fixed_size: 4112
    .kernarg_segment_align: 8
    .kernarg_segment_size: 272
    .language:       OpenCL C
    .language_version:
      - 2
      - 0
    .max_flat_workgroup_size: 128
    .name:           _Z16sort_keys_kernelI22helper_blocked_blockedxLj128ELj1ELj10EEvPKT0_PS1_
    .private_segment_fixed_size: 0
    .sgpr_count:     23
    .sgpr_spill_count: 0
    .symbol:         _Z16sort_keys_kernelI22helper_blocked_blockedxLj128ELj1ELj10EEvPKT0_PS1_.kd
    .uniform_work_group_size: 1
    .uses_dynamic_stack: false
    .vgpr_count:     28
    .vgpr_spill_count: 0
    .wavefront_size: 32
    .workgroup_processor_mode: 1
  - .args:
      - .address_space:  global
        .offset:         0
        .size:           8
        .value_kind:     global_buffer
      - .address_space:  global
        .offset:         8
        .size:           8
        .value_kind:     global_buffer
      - .offset:         16
        .size:           4
        .value_kind:     hidden_block_count_x
      - .offset:         20
        .size:           4
        .value_kind:     hidden_block_count_y
      - .offset:         24
        .size:           4
        .value_kind:     hidden_block_count_z
      - .offset:         28
        .size:           2
        .value_kind:     hidden_group_size_x
      - .offset:         30
        .size:           2
        .value_kind:     hidden_group_size_y
      - .offset:         32
        .size:           2
        .value_kind:     hidden_group_size_z
      - .offset:         34
        .size:           2
        .value_kind:     hidden_remainder_x
      - .offset:         36
        .size:           2
        .value_kind:     hidden_remainder_y
      - .offset:         38
        .size:           2
        .value_kind:     hidden_remainder_z
      - .offset:         56
        .size:           8
        .value_kind:     hidden_global_offset_x
      - .offset:         64
        .size:           8
        .value_kind:     hidden_global_offset_y
      - .offset:         72
        .size:           8
        .value_kind:     hidden_global_offset_z
      - .offset:         80
        .size:           2
        .value_kind:     hidden_grid_dims
    .group_segment_fixed_size: 4112
    .kernarg_segment_align: 8
    .kernarg_segment_size: 272
    .language:       OpenCL C
    .language_version:
      - 2
      - 0
    .max_flat_workgroup_size: 128
    .name:           _Z17sort_pairs_kernelI22helper_blocked_blockedxLj128ELj1ELj10EEvPKT0_PS1_
    .private_segment_fixed_size: 0
    .sgpr_count:     23
    .sgpr_spill_count: 0
    .symbol:         _Z17sort_pairs_kernelI22helper_blocked_blockedxLj128ELj1ELj10EEvPKT0_PS1_.kd
    .uniform_work_group_size: 1
    .uses_dynamic_stack: false
    .vgpr_count:     30
    .vgpr_spill_count: 0
    .wavefront_size: 32
    .workgroup_processor_mode: 1
  - .args:
      - .address_space:  global
        .offset:         0
        .size:           8
        .value_kind:     global_buffer
      - .address_space:  global
        .offset:         8
        .size:           8
        .value_kind:     global_buffer
      - .offset:         16
        .size:           4
        .value_kind:     hidden_block_count_x
      - .offset:         20
        .size:           4
        .value_kind:     hidden_block_count_y
      - .offset:         24
        .size:           4
        .value_kind:     hidden_block_count_z
      - .offset:         28
        .size:           2
        .value_kind:     hidden_group_size_x
      - .offset:         30
        .size:           2
        .value_kind:     hidden_group_size_y
      - .offset:         32
        .size:           2
        .value_kind:     hidden_group_size_z
      - .offset:         34
        .size:           2
        .value_kind:     hidden_remainder_x
      - .offset:         36
        .size:           2
        .value_kind:     hidden_remainder_y
      - .offset:         38
        .size:           2
        .value_kind:     hidden_remainder_z
      - .offset:         56
        .size:           8
        .value_kind:     hidden_global_offset_x
      - .offset:         64
        .size:           8
        .value_kind:     hidden_global_offset_y
      - .offset:         72
        .size:           8
        .value_kind:     hidden_global_offset_z
      - .offset:         80
        .size:           2
        .value_kind:     hidden_grid_dims
    .group_segment_fixed_size: 4112
    .kernarg_segment_align: 8
    .kernarg_segment_size: 272
    .language:       OpenCL C
    .language_version:
      - 2
      - 0
    .max_flat_workgroup_size: 128
    .name:           _Z16sort_keys_kernelI22helper_blocked_blockedxLj128ELj3ELj10EEvPKT0_PS1_
    .private_segment_fixed_size: 0
    .sgpr_count:     23
    .sgpr_spill_count: 0
    .symbol:         _Z16sort_keys_kernelI22helper_blocked_blockedxLj128ELj3ELj10EEvPKT0_PS1_.kd
    .uniform_work_group_size: 1
    .uses_dynamic_stack: false
    .vgpr_count:     40
    .vgpr_spill_count: 0
    .wavefront_size: 32
    .workgroup_processor_mode: 1
  - .args:
      - .address_space:  global
        .offset:         0
        .size:           8
        .value_kind:     global_buffer
      - .address_space:  global
        .offset:         8
        .size:           8
        .value_kind:     global_buffer
      - .offset:         16
        .size:           4
        .value_kind:     hidden_block_count_x
      - .offset:         20
        .size:           4
        .value_kind:     hidden_block_count_y
      - .offset:         24
        .size:           4
        .value_kind:     hidden_block_count_z
      - .offset:         28
        .size:           2
        .value_kind:     hidden_group_size_x
      - .offset:         30
        .size:           2
        .value_kind:     hidden_group_size_y
      - .offset:         32
        .size:           2
        .value_kind:     hidden_group_size_z
      - .offset:         34
        .size:           2
        .value_kind:     hidden_remainder_x
      - .offset:         36
        .size:           2
        .value_kind:     hidden_remainder_y
      - .offset:         38
        .size:           2
        .value_kind:     hidden_remainder_z
      - .offset:         56
        .size:           8
        .value_kind:     hidden_global_offset_x
      - .offset:         64
        .size:           8
        .value_kind:     hidden_global_offset_y
      - .offset:         72
        .size:           8
        .value_kind:     hidden_global_offset_z
      - .offset:         80
        .size:           2
        .value_kind:     hidden_grid_dims
    .group_segment_fixed_size: 4112
    .kernarg_segment_align: 8
    .kernarg_segment_size: 272
    .language:       OpenCL C
    .language_version:
      - 2
      - 0
    .max_flat_workgroup_size: 128
    .name:           _Z17sort_pairs_kernelI22helper_blocked_blockedxLj128ELj3ELj10EEvPKT0_PS1_
    .private_segment_fixed_size: 0
    .sgpr_count:     23
    .sgpr_spill_count: 0
    .symbol:         _Z17sort_pairs_kernelI22helper_blocked_blockedxLj128ELj3ELj10EEvPKT0_PS1_.kd
    .uniform_work_group_size: 1
    .uses_dynamic_stack: false
    .vgpr_count:     46
    .vgpr_spill_count: 0
    .wavefront_size: 32
    .workgroup_processor_mode: 1
  - .args:
      - .address_space:  global
        .offset:         0
        .size:           8
        .value_kind:     global_buffer
      - .address_space:  global
        .offset:         8
        .size:           8
        .value_kind:     global_buffer
      - .offset:         16
        .size:           4
        .value_kind:     hidden_block_count_x
      - .offset:         20
        .size:           4
        .value_kind:     hidden_block_count_y
      - .offset:         24
        .size:           4
        .value_kind:     hidden_block_count_z
      - .offset:         28
        .size:           2
        .value_kind:     hidden_group_size_x
      - .offset:         30
        .size:           2
        .value_kind:     hidden_group_size_y
      - .offset:         32
        .size:           2
        .value_kind:     hidden_group_size_z
      - .offset:         34
        .size:           2
        .value_kind:     hidden_remainder_x
      - .offset:         36
        .size:           2
        .value_kind:     hidden_remainder_y
      - .offset:         38
        .size:           2
        .value_kind:     hidden_remainder_z
      - .offset:         56
        .size:           8
        .value_kind:     hidden_global_offset_x
      - .offset:         64
        .size:           8
        .value_kind:     hidden_global_offset_y
      - .offset:         72
        .size:           8
        .value_kind:     hidden_global_offset_z
      - .offset:         80
        .size:           2
        .value_kind:     hidden_grid_dims
    .group_segment_fixed_size: 4112
    .kernarg_segment_align: 8
    .kernarg_segment_size: 272
    .language:       OpenCL C
    .language_version:
      - 2
      - 0
    .max_flat_workgroup_size: 128
    .name:           _Z16sort_keys_kernelI22helper_blocked_blockedxLj128ELj4ELj10EEvPKT0_PS1_
    .private_segment_fixed_size: 0
    .sgpr_count:     26
    .sgpr_spill_count: 0
    .symbol:         _Z16sort_keys_kernelI22helper_blocked_blockedxLj128ELj4ELj10EEvPKT0_PS1_.kd
    .uniform_work_group_size: 1
    .uses_dynamic_stack: false
    .vgpr_count:     49
    .vgpr_spill_count: 0
    .wavefront_size: 32
    .workgroup_processor_mode: 1
  - .args:
      - .address_space:  global
        .offset:         0
        .size:           8
        .value_kind:     global_buffer
      - .address_space:  global
        .offset:         8
        .size:           8
        .value_kind:     global_buffer
      - .offset:         16
        .size:           4
        .value_kind:     hidden_block_count_x
      - .offset:         20
        .size:           4
        .value_kind:     hidden_block_count_y
      - .offset:         24
        .size:           4
        .value_kind:     hidden_block_count_z
      - .offset:         28
        .size:           2
        .value_kind:     hidden_group_size_x
      - .offset:         30
        .size:           2
        .value_kind:     hidden_group_size_y
      - .offset:         32
        .size:           2
        .value_kind:     hidden_group_size_z
      - .offset:         34
        .size:           2
        .value_kind:     hidden_remainder_x
      - .offset:         36
        .size:           2
        .value_kind:     hidden_remainder_y
      - .offset:         38
        .size:           2
        .value_kind:     hidden_remainder_z
      - .offset:         56
        .size:           8
        .value_kind:     hidden_global_offset_x
      - .offset:         64
        .size:           8
        .value_kind:     hidden_global_offset_y
      - .offset:         72
        .size:           8
        .value_kind:     hidden_global_offset_z
      - .offset:         80
        .size:           2
        .value_kind:     hidden_grid_dims
    .group_segment_fixed_size: 4112
    .kernarg_segment_align: 8
    .kernarg_segment_size: 272
    .language:       OpenCL C
    .language_version:
      - 2
      - 0
    .max_flat_workgroup_size: 128
    .name:           _Z17sort_pairs_kernelI22helper_blocked_blockedxLj128ELj4ELj10EEvPKT0_PS1_
    .private_segment_fixed_size: 0
    .sgpr_count:     26
    .sgpr_spill_count: 0
    .symbol:         _Z17sort_pairs_kernelI22helper_blocked_blockedxLj128ELj4ELj10EEvPKT0_PS1_.kd
    .uniform_work_group_size: 1
    .uses_dynamic_stack: false
    .vgpr_count:     57
    .vgpr_spill_count: 0
    .wavefront_size: 32
    .workgroup_processor_mode: 1
  - .args:
      - .address_space:  global
        .offset:         0
        .size:           8
        .value_kind:     global_buffer
      - .address_space:  global
        .offset:         8
        .size:           8
        .value_kind:     global_buffer
      - .offset:         16
        .size:           4
        .value_kind:     hidden_block_count_x
      - .offset:         20
        .size:           4
        .value_kind:     hidden_block_count_y
      - .offset:         24
        .size:           4
        .value_kind:     hidden_block_count_z
      - .offset:         28
        .size:           2
        .value_kind:     hidden_group_size_x
      - .offset:         30
        .size:           2
        .value_kind:     hidden_group_size_y
      - .offset:         32
        .size:           2
        .value_kind:     hidden_group_size_z
      - .offset:         34
        .size:           2
        .value_kind:     hidden_remainder_x
      - .offset:         36
        .size:           2
        .value_kind:     hidden_remainder_y
      - .offset:         38
        .size:           2
        .value_kind:     hidden_remainder_z
      - .offset:         56
        .size:           8
        .value_kind:     hidden_global_offset_x
      - .offset:         64
        .size:           8
        .value_kind:     hidden_global_offset_y
      - .offset:         72
        .size:           8
        .value_kind:     hidden_global_offset_z
      - .offset:         80
        .size:           2
        .value_kind:     hidden_grid_dims
    .group_segment_fixed_size: 8192
    .kernarg_segment_align: 8
    .kernarg_segment_size: 272
    .language:       OpenCL C
    .language_version:
      - 2
      - 0
    .max_flat_workgroup_size: 128
    .name:           _Z16sort_keys_kernelI22helper_blocked_blockedxLj128ELj8ELj10EEvPKT0_PS1_
    .private_segment_fixed_size: 0
    .sgpr_count:     27
    .sgpr_spill_count: 0
    .symbol:         _Z16sort_keys_kernelI22helper_blocked_blockedxLj128ELj8ELj10EEvPKT0_PS1_.kd
    .uniform_work_group_size: 1
    .uses_dynamic_stack: false
    .vgpr_count:     60
    .vgpr_spill_count: 0
    .wavefront_size: 32
    .workgroup_processor_mode: 1
  - .args:
      - .address_space:  global
        .offset:         0
        .size:           8
        .value_kind:     global_buffer
      - .address_space:  global
        .offset:         8
        .size:           8
        .value_kind:     global_buffer
      - .offset:         16
        .size:           4
        .value_kind:     hidden_block_count_x
      - .offset:         20
        .size:           4
        .value_kind:     hidden_block_count_y
      - .offset:         24
        .size:           4
        .value_kind:     hidden_block_count_z
      - .offset:         28
        .size:           2
        .value_kind:     hidden_group_size_x
      - .offset:         30
        .size:           2
        .value_kind:     hidden_group_size_y
      - .offset:         32
        .size:           2
        .value_kind:     hidden_group_size_z
      - .offset:         34
        .size:           2
        .value_kind:     hidden_remainder_x
      - .offset:         36
        .size:           2
        .value_kind:     hidden_remainder_y
      - .offset:         38
        .size:           2
        .value_kind:     hidden_remainder_z
      - .offset:         56
        .size:           8
        .value_kind:     hidden_global_offset_x
      - .offset:         64
        .size:           8
        .value_kind:     hidden_global_offset_y
      - .offset:         72
        .size:           8
        .value_kind:     hidden_global_offset_z
      - .offset:         80
        .size:           2
        .value_kind:     hidden_grid_dims
    .group_segment_fixed_size: 8192
    .kernarg_segment_align: 8
    .kernarg_segment_size: 272
    .language:       OpenCL C
    .language_version:
      - 2
      - 0
    .max_flat_workgroup_size: 128
    .name:           _Z17sort_pairs_kernelI22helper_blocked_blockedxLj128ELj8ELj10EEvPKT0_PS1_
    .private_segment_fixed_size: 0
    .sgpr_count:     27
    .sgpr_spill_count: 0
    .symbol:         _Z17sort_pairs_kernelI22helper_blocked_blockedxLj128ELj8ELj10EEvPKT0_PS1_.kd
    .uniform_work_group_size: 1
    .uses_dynamic_stack: false
    .vgpr_count:     83
    .vgpr_spill_count: 0
    .wavefront_size: 32
    .workgroup_processor_mode: 1
  - .args:
      - .address_space:  global
        .offset:         0
        .size:           8
        .value_kind:     global_buffer
      - .address_space:  global
        .offset:         8
        .size:           8
        .value_kind:     global_buffer
      - .offset:         16
        .size:           4
        .value_kind:     hidden_block_count_x
      - .offset:         20
        .size:           4
        .value_kind:     hidden_block_count_y
      - .offset:         24
        .size:           4
        .value_kind:     hidden_block_count_z
      - .offset:         28
        .size:           2
        .value_kind:     hidden_group_size_x
      - .offset:         30
        .size:           2
        .value_kind:     hidden_group_size_y
      - .offset:         32
        .size:           2
        .value_kind:     hidden_group_size_z
      - .offset:         34
        .size:           2
        .value_kind:     hidden_remainder_x
      - .offset:         36
        .size:           2
        .value_kind:     hidden_remainder_y
      - .offset:         38
        .size:           2
        .value_kind:     hidden_remainder_z
      - .offset:         56
        .size:           8
        .value_kind:     hidden_global_offset_x
      - .offset:         64
        .size:           8
        .value_kind:     hidden_global_offset_y
      - .offset:         72
        .size:           8
        .value_kind:     hidden_global_offset_z
      - .offset:         80
        .size:           2
        .value_kind:     hidden_grid_dims
    .group_segment_fixed_size: 6176
    .kernarg_segment_align: 8
    .kernarg_segment_size: 272
    .language:       OpenCL C
    .language_version:
      - 2
      - 0
    .max_flat_workgroup_size: 192
    .name:           _Z16sort_keys_kernelI22helper_blocked_blockedxLj192ELj1ELj10EEvPKT0_PS1_
    .private_segment_fixed_size: 0
    .sgpr_count:     24
    .sgpr_spill_count: 0
    .symbol:         _Z16sort_keys_kernelI22helper_blocked_blockedxLj192ELj1ELj10EEvPKT0_PS1_.kd
    .uniform_work_group_size: 1
    .uses_dynamic_stack: false
    .vgpr_count:     28
    .vgpr_spill_count: 0
    .wavefront_size: 32
    .workgroup_processor_mode: 1
  - .args:
      - .address_space:  global
        .offset:         0
        .size:           8
        .value_kind:     global_buffer
      - .address_space:  global
        .offset:         8
        .size:           8
        .value_kind:     global_buffer
      - .offset:         16
        .size:           4
        .value_kind:     hidden_block_count_x
      - .offset:         20
        .size:           4
        .value_kind:     hidden_block_count_y
      - .offset:         24
        .size:           4
        .value_kind:     hidden_block_count_z
      - .offset:         28
        .size:           2
        .value_kind:     hidden_group_size_x
      - .offset:         30
        .size:           2
        .value_kind:     hidden_group_size_y
      - .offset:         32
        .size:           2
        .value_kind:     hidden_group_size_z
      - .offset:         34
        .size:           2
        .value_kind:     hidden_remainder_x
      - .offset:         36
        .size:           2
        .value_kind:     hidden_remainder_y
      - .offset:         38
        .size:           2
        .value_kind:     hidden_remainder_z
      - .offset:         56
        .size:           8
        .value_kind:     hidden_global_offset_x
      - .offset:         64
        .size:           8
        .value_kind:     hidden_global_offset_y
      - .offset:         72
        .size:           8
        .value_kind:     hidden_global_offset_z
      - .offset:         80
        .size:           2
        .value_kind:     hidden_grid_dims
    .group_segment_fixed_size: 6176
    .kernarg_segment_align: 8
    .kernarg_segment_size: 272
    .language:       OpenCL C
    .language_version:
      - 2
      - 0
    .max_flat_workgroup_size: 192
    .name:           _Z17sort_pairs_kernelI22helper_blocked_blockedxLj192ELj1ELj10EEvPKT0_PS1_
    .private_segment_fixed_size: 0
    .sgpr_count:     24
    .sgpr_spill_count: 0
    .symbol:         _Z17sort_pairs_kernelI22helper_blocked_blockedxLj192ELj1ELj10EEvPKT0_PS1_.kd
    .uniform_work_group_size: 1
    .uses_dynamic_stack: false
    .vgpr_count:     30
    .vgpr_spill_count: 0
    .wavefront_size: 32
    .workgroup_processor_mode: 1
  - .args:
      - .address_space:  global
        .offset:         0
        .size:           8
        .value_kind:     global_buffer
      - .address_space:  global
        .offset:         8
        .size:           8
        .value_kind:     global_buffer
      - .offset:         16
        .size:           4
        .value_kind:     hidden_block_count_x
      - .offset:         20
        .size:           4
        .value_kind:     hidden_block_count_y
      - .offset:         24
        .size:           4
        .value_kind:     hidden_block_count_z
      - .offset:         28
        .size:           2
        .value_kind:     hidden_group_size_x
      - .offset:         30
        .size:           2
        .value_kind:     hidden_group_size_y
      - .offset:         32
        .size:           2
        .value_kind:     hidden_group_size_z
      - .offset:         34
        .size:           2
        .value_kind:     hidden_remainder_x
      - .offset:         36
        .size:           2
        .value_kind:     hidden_remainder_y
      - .offset:         38
        .size:           2
        .value_kind:     hidden_remainder_z
      - .offset:         56
        .size:           8
        .value_kind:     hidden_global_offset_x
      - .offset:         64
        .size:           8
        .value_kind:     hidden_global_offset_y
      - .offset:         72
        .size:           8
        .value_kind:     hidden_global_offset_z
      - .offset:         80
        .size:           2
        .value_kind:     hidden_grid_dims
    .group_segment_fixed_size: 6176
    .kernarg_segment_align: 8
    .kernarg_segment_size: 272
    .language:       OpenCL C
    .language_version:
      - 2
      - 0
    .max_flat_workgroup_size: 192
    .name:           _Z16sort_keys_kernelI22helper_blocked_blockedxLj192ELj3ELj10EEvPKT0_PS1_
    .private_segment_fixed_size: 0
    .sgpr_count:     24
    .sgpr_spill_count: 0
    .symbol:         _Z16sort_keys_kernelI22helper_blocked_blockedxLj192ELj3ELj10EEvPKT0_PS1_.kd
    .uniform_work_group_size: 1
    .uses_dynamic_stack: false
    .vgpr_count:     40
    .vgpr_spill_count: 0
    .wavefront_size: 32
    .workgroup_processor_mode: 1
  - .args:
      - .address_space:  global
        .offset:         0
        .size:           8
        .value_kind:     global_buffer
      - .address_space:  global
        .offset:         8
        .size:           8
        .value_kind:     global_buffer
      - .offset:         16
        .size:           4
        .value_kind:     hidden_block_count_x
      - .offset:         20
        .size:           4
        .value_kind:     hidden_block_count_y
      - .offset:         24
        .size:           4
        .value_kind:     hidden_block_count_z
      - .offset:         28
        .size:           2
        .value_kind:     hidden_group_size_x
      - .offset:         30
        .size:           2
        .value_kind:     hidden_group_size_y
      - .offset:         32
        .size:           2
        .value_kind:     hidden_group_size_z
      - .offset:         34
        .size:           2
        .value_kind:     hidden_remainder_x
      - .offset:         36
        .size:           2
        .value_kind:     hidden_remainder_y
      - .offset:         38
        .size:           2
        .value_kind:     hidden_remainder_z
      - .offset:         56
        .size:           8
        .value_kind:     hidden_global_offset_x
      - .offset:         64
        .size:           8
        .value_kind:     hidden_global_offset_y
      - .offset:         72
        .size:           8
        .value_kind:     hidden_global_offset_z
      - .offset:         80
        .size:           2
        .value_kind:     hidden_grid_dims
    .group_segment_fixed_size: 6176
    .kernarg_segment_align: 8
    .kernarg_segment_size: 272
    .language:       OpenCL C
    .language_version:
      - 2
      - 0
    .max_flat_workgroup_size: 192
    .name:           _Z17sort_pairs_kernelI22helper_blocked_blockedxLj192ELj3ELj10EEvPKT0_PS1_
    .private_segment_fixed_size: 0
    .sgpr_count:     24
    .sgpr_spill_count: 0
    .symbol:         _Z17sort_pairs_kernelI22helper_blocked_blockedxLj192ELj3ELj10EEvPKT0_PS1_.kd
    .uniform_work_group_size: 1
    .uses_dynamic_stack: false
    .vgpr_count:     46
    .vgpr_spill_count: 0
    .wavefront_size: 32
    .workgroup_processor_mode: 1
  - .args:
      - .address_space:  global
        .offset:         0
        .size:           8
        .value_kind:     global_buffer
      - .address_space:  global
        .offset:         8
        .size:           8
        .value_kind:     global_buffer
      - .offset:         16
        .size:           4
        .value_kind:     hidden_block_count_x
      - .offset:         20
        .size:           4
        .value_kind:     hidden_block_count_y
      - .offset:         24
        .size:           4
        .value_kind:     hidden_block_count_z
      - .offset:         28
        .size:           2
        .value_kind:     hidden_group_size_x
      - .offset:         30
        .size:           2
        .value_kind:     hidden_group_size_y
      - .offset:         32
        .size:           2
        .value_kind:     hidden_group_size_z
      - .offset:         34
        .size:           2
        .value_kind:     hidden_remainder_x
      - .offset:         36
        .size:           2
        .value_kind:     hidden_remainder_y
      - .offset:         38
        .size:           2
        .value_kind:     hidden_remainder_z
      - .offset:         56
        .size:           8
        .value_kind:     hidden_global_offset_x
      - .offset:         64
        .size:           8
        .value_kind:     hidden_global_offset_y
      - .offset:         72
        .size:           8
        .value_kind:     hidden_global_offset_z
      - .offset:         80
        .size:           2
        .value_kind:     hidden_grid_dims
    .group_segment_fixed_size: 6176
    .kernarg_segment_align: 8
    .kernarg_segment_size: 272
    .language:       OpenCL C
    .language_version:
      - 2
      - 0
    .max_flat_workgroup_size: 192
    .name:           _Z16sort_keys_kernelI22helper_blocked_blockedxLj192ELj4ELj10EEvPKT0_PS1_
    .private_segment_fixed_size: 0
    .sgpr_count:     28
    .sgpr_spill_count: 0
    .symbol:         _Z16sort_keys_kernelI22helper_blocked_blockedxLj192ELj4ELj10EEvPKT0_PS1_.kd
    .uniform_work_group_size: 1
    .uses_dynamic_stack: false
    .vgpr_count:     49
    .vgpr_spill_count: 0
    .wavefront_size: 32
    .workgroup_processor_mode: 1
  - .args:
      - .address_space:  global
        .offset:         0
        .size:           8
        .value_kind:     global_buffer
      - .address_space:  global
        .offset:         8
        .size:           8
        .value_kind:     global_buffer
      - .offset:         16
        .size:           4
        .value_kind:     hidden_block_count_x
      - .offset:         20
        .size:           4
        .value_kind:     hidden_block_count_y
      - .offset:         24
        .size:           4
        .value_kind:     hidden_block_count_z
      - .offset:         28
        .size:           2
        .value_kind:     hidden_group_size_x
      - .offset:         30
        .size:           2
        .value_kind:     hidden_group_size_y
      - .offset:         32
        .size:           2
        .value_kind:     hidden_group_size_z
      - .offset:         34
        .size:           2
        .value_kind:     hidden_remainder_x
      - .offset:         36
        .size:           2
        .value_kind:     hidden_remainder_y
      - .offset:         38
        .size:           2
        .value_kind:     hidden_remainder_z
      - .offset:         56
        .size:           8
        .value_kind:     hidden_global_offset_x
      - .offset:         64
        .size:           8
        .value_kind:     hidden_global_offset_y
      - .offset:         72
        .size:           8
        .value_kind:     hidden_global_offset_z
      - .offset:         80
        .size:           2
        .value_kind:     hidden_grid_dims
    .group_segment_fixed_size: 6176
    .kernarg_segment_align: 8
    .kernarg_segment_size: 272
    .language:       OpenCL C
    .language_version:
      - 2
      - 0
    .max_flat_workgroup_size: 192
    .name:           _Z17sort_pairs_kernelI22helper_blocked_blockedxLj192ELj4ELj10EEvPKT0_PS1_
    .private_segment_fixed_size: 0
    .sgpr_count:     28
    .sgpr_spill_count: 0
    .symbol:         _Z17sort_pairs_kernelI22helper_blocked_blockedxLj192ELj4ELj10EEvPKT0_PS1_.kd
    .uniform_work_group_size: 1
    .uses_dynamic_stack: false
    .vgpr_count:     57
    .vgpr_spill_count: 0
    .wavefront_size: 32
    .workgroup_processor_mode: 1
  - .args:
      - .address_space:  global
        .offset:         0
        .size:           8
        .value_kind:     global_buffer
      - .address_space:  global
        .offset:         8
        .size:           8
        .value_kind:     global_buffer
      - .offset:         16
        .size:           4
        .value_kind:     hidden_block_count_x
      - .offset:         20
        .size:           4
        .value_kind:     hidden_block_count_y
      - .offset:         24
        .size:           4
        .value_kind:     hidden_block_count_z
      - .offset:         28
        .size:           2
        .value_kind:     hidden_group_size_x
      - .offset:         30
        .size:           2
        .value_kind:     hidden_group_size_y
      - .offset:         32
        .size:           2
        .value_kind:     hidden_group_size_z
      - .offset:         34
        .size:           2
        .value_kind:     hidden_remainder_x
      - .offset:         36
        .size:           2
        .value_kind:     hidden_remainder_y
      - .offset:         38
        .size:           2
        .value_kind:     hidden_remainder_z
      - .offset:         56
        .size:           8
        .value_kind:     hidden_global_offset_x
      - .offset:         64
        .size:           8
        .value_kind:     hidden_global_offset_y
      - .offset:         72
        .size:           8
        .value_kind:     hidden_global_offset_z
      - .offset:         80
        .size:           2
        .value_kind:     hidden_grid_dims
    .group_segment_fixed_size: 12672
    .kernarg_segment_align: 8
    .kernarg_segment_size: 272
    .language:       OpenCL C
    .language_version:
      - 2
      - 0
    .max_flat_workgroup_size: 192
    .name:           _Z16sort_keys_kernelI22helper_blocked_blockedxLj192ELj8ELj10EEvPKT0_PS1_
    .private_segment_fixed_size: 0
    .sgpr_count:     28
    .sgpr_spill_count: 0
    .symbol:         _Z16sort_keys_kernelI22helper_blocked_blockedxLj192ELj8ELj10EEvPKT0_PS1_.kd
    .uniform_work_group_size: 1
    .uses_dynamic_stack: false
    .vgpr_count:     67
    .vgpr_spill_count: 0
    .wavefront_size: 32
    .workgroup_processor_mode: 1
  - .args:
      - .address_space:  global
        .offset:         0
        .size:           8
        .value_kind:     global_buffer
      - .address_space:  global
        .offset:         8
        .size:           8
        .value_kind:     global_buffer
      - .offset:         16
        .size:           4
        .value_kind:     hidden_block_count_x
      - .offset:         20
        .size:           4
        .value_kind:     hidden_block_count_y
      - .offset:         24
        .size:           4
        .value_kind:     hidden_block_count_z
      - .offset:         28
        .size:           2
        .value_kind:     hidden_group_size_x
      - .offset:         30
        .size:           2
        .value_kind:     hidden_group_size_y
      - .offset:         32
        .size:           2
        .value_kind:     hidden_group_size_z
      - .offset:         34
        .size:           2
        .value_kind:     hidden_remainder_x
      - .offset:         36
        .size:           2
        .value_kind:     hidden_remainder_y
      - .offset:         38
        .size:           2
        .value_kind:     hidden_remainder_z
      - .offset:         56
        .size:           8
        .value_kind:     hidden_global_offset_x
      - .offset:         64
        .size:           8
        .value_kind:     hidden_global_offset_y
      - .offset:         72
        .size:           8
        .value_kind:     hidden_global_offset_z
      - .offset:         80
        .size:           2
        .value_kind:     hidden_grid_dims
    .group_segment_fixed_size: 12672
    .kernarg_segment_align: 8
    .kernarg_segment_size: 272
    .language:       OpenCL C
    .language_version:
      - 2
      - 0
    .max_flat_workgroup_size: 192
    .name:           _Z17sort_pairs_kernelI22helper_blocked_blockedxLj192ELj8ELj10EEvPKT0_PS1_
    .private_segment_fixed_size: 0
    .sgpr_count:     28
    .sgpr_spill_count: 0
    .symbol:         _Z17sort_pairs_kernelI22helper_blocked_blockedxLj192ELj8ELj10EEvPKT0_PS1_.kd
    .uniform_work_group_size: 1
    .uses_dynamic_stack: false
    .vgpr_count:     90
    .vgpr_spill_count: 0
    .wavefront_size: 32
    .workgroup_processor_mode: 1
  - .args:
      - .address_space:  global
        .offset:         0
        .size:           8
        .value_kind:     global_buffer
      - .address_space:  global
        .offset:         8
        .size:           8
        .value_kind:     global_buffer
      - .offset:         16
        .size:           4
        .value_kind:     hidden_block_count_x
      - .offset:         20
        .size:           4
        .value_kind:     hidden_block_count_y
      - .offset:         24
        .size:           4
        .value_kind:     hidden_block_count_z
      - .offset:         28
        .size:           2
        .value_kind:     hidden_group_size_x
      - .offset:         30
        .size:           2
        .value_kind:     hidden_group_size_y
      - .offset:         32
        .size:           2
        .value_kind:     hidden_group_size_z
      - .offset:         34
        .size:           2
        .value_kind:     hidden_remainder_x
      - .offset:         36
        .size:           2
        .value_kind:     hidden_remainder_y
      - .offset:         38
        .size:           2
        .value_kind:     hidden_remainder_z
      - .offset:         56
        .size:           8
        .value_kind:     hidden_global_offset_x
      - .offset:         64
        .size:           8
        .value_kind:     hidden_global_offset_y
      - .offset:         72
        .size:           8
        .value_kind:     hidden_global_offset_z
      - .offset:         80
        .size:           2
        .value_kind:     hidden_grid_dims
    .group_segment_fixed_size: 8224
    .kernarg_segment_align: 8
    .kernarg_segment_size: 272
    .language:       OpenCL C
    .language_version:
      - 2
      - 0
    .max_flat_workgroup_size: 256
    .name:           _Z16sort_keys_kernelI22helper_blocked_blockedxLj256ELj1ELj10EEvPKT0_PS1_
    .private_segment_fixed_size: 0
    .sgpr_count:     24
    .sgpr_spill_count: 0
    .symbol:         _Z16sort_keys_kernelI22helper_blocked_blockedxLj256ELj1ELj10EEvPKT0_PS1_.kd
    .uniform_work_group_size: 1
    .uses_dynamic_stack: false
    .vgpr_count:     28
    .vgpr_spill_count: 0
    .wavefront_size: 32
    .workgroup_processor_mode: 1
  - .args:
      - .address_space:  global
        .offset:         0
        .size:           8
        .value_kind:     global_buffer
      - .address_space:  global
        .offset:         8
        .size:           8
        .value_kind:     global_buffer
      - .offset:         16
        .size:           4
        .value_kind:     hidden_block_count_x
      - .offset:         20
        .size:           4
        .value_kind:     hidden_block_count_y
      - .offset:         24
        .size:           4
        .value_kind:     hidden_block_count_z
      - .offset:         28
        .size:           2
        .value_kind:     hidden_group_size_x
      - .offset:         30
        .size:           2
        .value_kind:     hidden_group_size_y
      - .offset:         32
        .size:           2
        .value_kind:     hidden_group_size_z
      - .offset:         34
        .size:           2
        .value_kind:     hidden_remainder_x
      - .offset:         36
        .size:           2
        .value_kind:     hidden_remainder_y
      - .offset:         38
        .size:           2
        .value_kind:     hidden_remainder_z
      - .offset:         56
        .size:           8
        .value_kind:     hidden_global_offset_x
      - .offset:         64
        .size:           8
        .value_kind:     hidden_global_offset_y
      - .offset:         72
        .size:           8
        .value_kind:     hidden_global_offset_z
      - .offset:         80
        .size:           2
        .value_kind:     hidden_grid_dims
    .group_segment_fixed_size: 8224
    .kernarg_segment_align: 8
    .kernarg_segment_size: 272
    .language:       OpenCL C
    .language_version:
      - 2
      - 0
    .max_flat_workgroup_size: 256
    .name:           _Z17sort_pairs_kernelI22helper_blocked_blockedxLj256ELj1ELj10EEvPKT0_PS1_
    .private_segment_fixed_size: 0
    .sgpr_count:     24
    .sgpr_spill_count: 0
    .symbol:         _Z17sort_pairs_kernelI22helper_blocked_blockedxLj256ELj1ELj10EEvPKT0_PS1_.kd
    .uniform_work_group_size: 1
    .uses_dynamic_stack: false
    .vgpr_count:     30
    .vgpr_spill_count: 0
    .wavefront_size: 32
    .workgroup_processor_mode: 1
  - .args:
      - .address_space:  global
        .offset:         0
        .size:           8
        .value_kind:     global_buffer
      - .address_space:  global
        .offset:         8
        .size:           8
        .value_kind:     global_buffer
      - .offset:         16
        .size:           4
        .value_kind:     hidden_block_count_x
      - .offset:         20
        .size:           4
        .value_kind:     hidden_block_count_y
      - .offset:         24
        .size:           4
        .value_kind:     hidden_block_count_z
      - .offset:         28
        .size:           2
        .value_kind:     hidden_group_size_x
      - .offset:         30
        .size:           2
        .value_kind:     hidden_group_size_y
      - .offset:         32
        .size:           2
        .value_kind:     hidden_group_size_z
      - .offset:         34
        .size:           2
        .value_kind:     hidden_remainder_x
      - .offset:         36
        .size:           2
        .value_kind:     hidden_remainder_y
      - .offset:         38
        .size:           2
        .value_kind:     hidden_remainder_z
      - .offset:         56
        .size:           8
        .value_kind:     hidden_global_offset_x
      - .offset:         64
        .size:           8
        .value_kind:     hidden_global_offset_y
      - .offset:         72
        .size:           8
        .value_kind:     hidden_global_offset_z
      - .offset:         80
        .size:           2
        .value_kind:     hidden_grid_dims
    .group_segment_fixed_size: 8224
    .kernarg_segment_align: 8
    .kernarg_segment_size: 272
    .language:       OpenCL C
    .language_version:
      - 2
      - 0
    .max_flat_workgroup_size: 256
    .name:           _Z16sort_keys_kernelI22helper_blocked_blockedxLj256ELj3ELj10EEvPKT0_PS1_
    .private_segment_fixed_size: 0
    .sgpr_count:     24
    .sgpr_spill_count: 0
    .symbol:         _Z16sort_keys_kernelI22helper_blocked_blockedxLj256ELj3ELj10EEvPKT0_PS1_.kd
    .uniform_work_group_size: 1
    .uses_dynamic_stack: false
    .vgpr_count:     40
    .vgpr_spill_count: 0
    .wavefront_size: 32
    .workgroup_processor_mode: 1
  - .args:
      - .address_space:  global
        .offset:         0
        .size:           8
        .value_kind:     global_buffer
      - .address_space:  global
        .offset:         8
        .size:           8
        .value_kind:     global_buffer
      - .offset:         16
        .size:           4
        .value_kind:     hidden_block_count_x
      - .offset:         20
        .size:           4
        .value_kind:     hidden_block_count_y
      - .offset:         24
        .size:           4
        .value_kind:     hidden_block_count_z
      - .offset:         28
        .size:           2
        .value_kind:     hidden_group_size_x
      - .offset:         30
        .size:           2
        .value_kind:     hidden_group_size_y
      - .offset:         32
        .size:           2
        .value_kind:     hidden_group_size_z
      - .offset:         34
        .size:           2
        .value_kind:     hidden_remainder_x
      - .offset:         36
        .size:           2
        .value_kind:     hidden_remainder_y
      - .offset:         38
        .size:           2
        .value_kind:     hidden_remainder_z
      - .offset:         56
        .size:           8
        .value_kind:     hidden_global_offset_x
      - .offset:         64
        .size:           8
        .value_kind:     hidden_global_offset_y
      - .offset:         72
        .size:           8
        .value_kind:     hidden_global_offset_z
      - .offset:         80
        .size:           2
        .value_kind:     hidden_grid_dims
    .group_segment_fixed_size: 8224
    .kernarg_segment_align: 8
    .kernarg_segment_size: 272
    .language:       OpenCL C
    .language_version:
      - 2
      - 0
    .max_flat_workgroup_size: 256
    .name:           _Z17sort_pairs_kernelI22helper_blocked_blockedxLj256ELj3ELj10EEvPKT0_PS1_
    .private_segment_fixed_size: 0
    .sgpr_count:     24
    .sgpr_spill_count: 0
    .symbol:         _Z17sort_pairs_kernelI22helper_blocked_blockedxLj256ELj3ELj10EEvPKT0_PS1_.kd
    .uniform_work_group_size: 1
    .uses_dynamic_stack: false
    .vgpr_count:     46
    .vgpr_spill_count: 0
    .wavefront_size: 32
    .workgroup_processor_mode: 1
  - .args:
      - .address_space:  global
        .offset:         0
        .size:           8
        .value_kind:     global_buffer
      - .address_space:  global
        .offset:         8
        .size:           8
        .value_kind:     global_buffer
      - .offset:         16
        .size:           4
        .value_kind:     hidden_block_count_x
      - .offset:         20
        .size:           4
        .value_kind:     hidden_block_count_y
      - .offset:         24
        .size:           4
        .value_kind:     hidden_block_count_z
      - .offset:         28
        .size:           2
        .value_kind:     hidden_group_size_x
      - .offset:         30
        .size:           2
        .value_kind:     hidden_group_size_y
      - .offset:         32
        .size:           2
        .value_kind:     hidden_group_size_z
      - .offset:         34
        .size:           2
        .value_kind:     hidden_remainder_x
      - .offset:         36
        .size:           2
        .value_kind:     hidden_remainder_y
      - .offset:         38
        .size:           2
        .value_kind:     hidden_remainder_z
      - .offset:         56
        .size:           8
        .value_kind:     hidden_global_offset_x
      - .offset:         64
        .size:           8
        .value_kind:     hidden_global_offset_y
      - .offset:         72
        .size:           8
        .value_kind:     hidden_global_offset_z
      - .offset:         80
        .size:           2
        .value_kind:     hidden_grid_dims
    .group_segment_fixed_size: 8224
    .kernarg_segment_align: 8
    .kernarg_segment_size: 272
    .language:       OpenCL C
    .language_version:
      - 2
      - 0
    .max_flat_workgroup_size: 256
    .name:           _Z16sort_keys_kernelI22helper_blocked_blockedxLj256ELj4ELj10EEvPKT0_PS1_
    .private_segment_fixed_size: 0
    .sgpr_count:     28
    .sgpr_spill_count: 0
    .symbol:         _Z16sort_keys_kernelI22helper_blocked_blockedxLj256ELj4ELj10EEvPKT0_PS1_.kd
    .uniform_work_group_size: 1
    .uses_dynamic_stack: false
    .vgpr_count:     49
    .vgpr_spill_count: 0
    .wavefront_size: 32
    .workgroup_processor_mode: 1
  - .args:
      - .address_space:  global
        .offset:         0
        .size:           8
        .value_kind:     global_buffer
      - .address_space:  global
        .offset:         8
        .size:           8
        .value_kind:     global_buffer
      - .offset:         16
        .size:           4
        .value_kind:     hidden_block_count_x
      - .offset:         20
        .size:           4
        .value_kind:     hidden_block_count_y
      - .offset:         24
        .size:           4
        .value_kind:     hidden_block_count_z
      - .offset:         28
        .size:           2
        .value_kind:     hidden_group_size_x
      - .offset:         30
        .size:           2
        .value_kind:     hidden_group_size_y
      - .offset:         32
        .size:           2
        .value_kind:     hidden_group_size_z
      - .offset:         34
        .size:           2
        .value_kind:     hidden_remainder_x
      - .offset:         36
        .size:           2
        .value_kind:     hidden_remainder_y
      - .offset:         38
        .size:           2
        .value_kind:     hidden_remainder_z
      - .offset:         56
        .size:           8
        .value_kind:     hidden_global_offset_x
      - .offset:         64
        .size:           8
        .value_kind:     hidden_global_offset_y
      - .offset:         72
        .size:           8
        .value_kind:     hidden_global_offset_z
      - .offset:         80
        .size:           2
        .value_kind:     hidden_grid_dims
    .group_segment_fixed_size: 8224
    .kernarg_segment_align: 8
    .kernarg_segment_size: 272
    .language:       OpenCL C
    .language_version:
      - 2
      - 0
    .max_flat_workgroup_size: 256
    .name:           _Z17sort_pairs_kernelI22helper_blocked_blockedxLj256ELj4ELj10EEvPKT0_PS1_
    .private_segment_fixed_size: 0
    .sgpr_count:     30
    .sgpr_spill_count: 0
    .symbol:         _Z17sort_pairs_kernelI22helper_blocked_blockedxLj256ELj4ELj10EEvPKT0_PS1_.kd
    .uniform_work_group_size: 1
    .uses_dynamic_stack: false
    .vgpr_count:     55
    .vgpr_spill_count: 0
    .wavefront_size: 32
    .workgroup_processor_mode: 1
  - .args:
      - .address_space:  global
        .offset:         0
        .size:           8
        .value_kind:     global_buffer
      - .address_space:  global
        .offset:         8
        .size:           8
        .value_kind:     global_buffer
      - .offset:         16
        .size:           4
        .value_kind:     hidden_block_count_x
      - .offset:         20
        .size:           4
        .value_kind:     hidden_block_count_y
      - .offset:         24
        .size:           4
        .value_kind:     hidden_block_count_z
      - .offset:         28
        .size:           2
        .value_kind:     hidden_group_size_x
      - .offset:         30
        .size:           2
        .value_kind:     hidden_group_size_y
      - .offset:         32
        .size:           2
        .value_kind:     hidden_group_size_z
      - .offset:         34
        .size:           2
        .value_kind:     hidden_remainder_x
      - .offset:         36
        .size:           2
        .value_kind:     hidden_remainder_y
      - .offset:         38
        .size:           2
        .value_kind:     hidden_remainder_z
      - .offset:         56
        .size:           8
        .value_kind:     hidden_global_offset_x
      - .offset:         64
        .size:           8
        .value_kind:     hidden_global_offset_y
      - .offset:         72
        .size:           8
        .value_kind:     hidden_global_offset_z
      - .offset:         80
        .size:           2
        .value_kind:     hidden_grid_dims
    .group_segment_fixed_size: 16384
    .kernarg_segment_align: 8
    .kernarg_segment_size: 272
    .language:       OpenCL C
    .language_version:
      - 2
      - 0
    .max_flat_workgroup_size: 256
    .name:           _Z16sort_keys_kernelI22helper_blocked_blockedxLj256ELj8ELj10EEvPKT0_PS1_
    .private_segment_fixed_size: 0
    .sgpr_count:     28
    .sgpr_spill_count: 0
    .symbol:         _Z16sort_keys_kernelI22helper_blocked_blockedxLj256ELj8ELj10EEvPKT0_PS1_.kd
    .uniform_work_group_size: 1
    .uses_dynamic_stack: false
    .vgpr_count:     60
    .vgpr_spill_count: 0
    .wavefront_size: 32
    .workgroup_processor_mode: 1
  - .args:
      - .address_space:  global
        .offset:         0
        .size:           8
        .value_kind:     global_buffer
      - .address_space:  global
        .offset:         8
        .size:           8
        .value_kind:     global_buffer
      - .offset:         16
        .size:           4
        .value_kind:     hidden_block_count_x
      - .offset:         20
        .size:           4
        .value_kind:     hidden_block_count_y
      - .offset:         24
        .size:           4
        .value_kind:     hidden_block_count_z
      - .offset:         28
        .size:           2
        .value_kind:     hidden_group_size_x
      - .offset:         30
        .size:           2
        .value_kind:     hidden_group_size_y
      - .offset:         32
        .size:           2
        .value_kind:     hidden_group_size_z
      - .offset:         34
        .size:           2
        .value_kind:     hidden_remainder_x
      - .offset:         36
        .size:           2
        .value_kind:     hidden_remainder_y
      - .offset:         38
        .size:           2
        .value_kind:     hidden_remainder_z
      - .offset:         56
        .size:           8
        .value_kind:     hidden_global_offset_x
      - .offset:         64
        .size:           8
        .value_kind:     hidden_global_offset_y
      - .offset:         72
        .size:           8
        .value_kind:     hidden_global_offset_z
      - .offset:         80
        .size:           2
        .value_kind:     hidden_grid_dims
    .group_segment_fixed_size: 16384
    .kernarg_segment_align: 8
    .kernarg_segment_size: 272
    .language:       OpenCL C
    .language_version:
      - 2
      - 0
    .max_flat_workgroup_size: 256
    .name:           _Z17sort_pairs_kernelI22helper_blocked_blockedxLj256ELj8ELj10EEvPKT0_PS1_
    .private_segment_fixed_size: 0
    .sgpr_count:     28
    .sgpr_spill_count: 0
    .symbol:         _Z17sort_pairs_kernelI22helper_blocked_blockedxLj256ELj8ELj10EEvPKT0_PS1_.kd
    .uniform_work_group_size: 1
    .uses_dynamic_stack: false
    .vgpr_count:     83
    .vgpr_spill_count: 0
    .wavefront_size: 32
    .workgroup_processor_mode: 1
  - .args:
      - .address_space:  global
        .offset:         0
        .size:           8
        .value_kind:     global_buffer
      - .address_space:  global
        .offset:         8
        .size:           8
        .value_kind:     global_buffer
      - .offset:         16
        .size:           4
        .value_kind:     hidden_block_count_x
      - .offset:         20
        .size:           4
        .value_kind:     hidden_block_count_y
      - .offset:         24
        .size:           4
        .value_kind:     hidden_block_count_z
      - .offset:         28
        .size:           2
        .value_kind:     hidden_group_size_x
      - .offset:         30
        .size:           2
        .value_kind:     hidden_group_size_y
      - .offset:         32
        .size:           2
        .value_kind:     hidden_group_size_z
      - .offset:         34
        .size:           2
        .value_kind:     hidden_remainder_x
      - .offset:         36
        .size:           2
        .value_kind:     hidden_remainder_y
      - .offset:         38
        .size:           2
        .value_kind:     hidden_remainder_z
      - .offset:         56
        .size:           8
        .value_kind:     hidden_global_offset_x
      - .offset:         64
        .size:           8
        .value_kind:     hidden_global_offset_y
      - .offset:         72
        .size:           8
        .value_kind:     hidden_global_offset_z
      - .offset:         80
        .size:           2
        .value_kind:     hidden_grid_dims
    .group_segment_fixed_size: 10288
    .kernarg_segment_align: 8
    .kernarg_segment_size: 272
    .language:       OpenCL C
    .language_version:
      - 2
      - 0
    .max_flat_workgroup_size: 320
    .name:           _Z16sort_keys_kernelI22helper_blocked_blockedxLj320ELj1ELj10EEvPKT0_PS1_
    .private_segment_fixed_size: 0
    .sgpr_count:     22
    .sgpr_spill_count: 0
    .symbol:         _Z16sort_keys_kernelI22helper_blocked_blockedxLj320ELj1ELj10EEvPKT0_PS1_.kd
    .uniform_work_group_size: 1
    .uses_dynamic_stack: false
    .vgpr_count:     28
    .vgpr_spill_count: 0
    .wavefront_size: 32
    .workgroup_processor_mode: 1
  - .args:
      - .address_space:  global
        .offset:         0
        .size:           8
        .value_kind:     global_buffer
      - .address_space:  global
        .offset:         8
        .size:           8
        .value_kind:     global_buffer
      - .offset:         16
        .size:           4
        .value_kind:     hidden_block_count_x
      - .offset:         20
        .size:           4
        .value_kind:     hidden_block_count_y
      - .offset:         24
        .size:           4
        .value_kind:     hidden_block_count_z
      - .offset:         28
        .size:           2
        .value_kind:     hidden_group_size_x
      - .offset:         30
        .size:           2
        .value_kind:     hidden_group_size_y
      - .offset:         32
        .size:           2
        .value_kind:     hidden_group_size_z
      - .offset:         34
        .size:           2
        .value_kind:     hidden_remainder_x
      - .offset:         36
        .size:           2
        .value_kind:     hidden_remainder_y
      - .offset:         38
        .size:           2
        .value_kind:     hidden_remainder_z
      - .offset:         56
        .size:           8
        .value_kind:     hidden_global_offset_x
      - .offset:         64
        .size:           8
        .value_kind:     hidden_global_offset_y
      - .offset:         72
        .size:           8
        .value_kind:     hidden_global_offset_z
      - .offset:         80
        .size:           2
        .value_kind:     hidden_grid_dims
    .group_segment_fixed_size: 10288
    .kernarg_segment_align: 8
    .kernarg_segment_size: 272
    .language:       OpenCL C
    .language_version:
      - 2
      - 0
    .max_flat_workgroup_size: 320
    .name:           _Z17sort_pairs_kernelI22helper_blocked_blockedxLj320ELj1ELj10EEvPKT0_PS1_
    .private_segment_fixed_size: 0
    .sgpr_count:     22
    .sgpr_spill_count: 0
    .symbol:         _Z17sort_pairs_kernelI22helper_blocked_blockedxLj320ELj1ELj10EEvPKT0_PS1_.kd
    .uniform_work_group_size: 1
    .uses_dynamic_stack: false
    .vgpr_count:     30
    .vgpr_spill_count: 0
    .wavefront_size: 32
    .workgroup_processor_mode: 1
  - .args:
      - .address_space:  global
        .offset:         0
        .size:           8
        .value_kind:     global_buffer
      - .address_space:  global
        .offset:         8
        .size:           8
        .value_kind:     global_buffer
      - .offset:         16
        .size:           4
        .value_kind:     hidden_block_count_x
      - .offset:         20
        .size:           4
        .value_kind:     hidden_block_count_y
      - .offset:         24
        .size:           4
        .value_kind:     hidden_block_count_z
      - .offset:         28
        .size:           2
        .value_kind:     hidden_group_size_x
      - .offset:         30
        .size:           2
        .value_kind:     hidden_group_size_y
      - .offset:         32
        .size:           2
        .value_kind:     hidden_group_size_z
      - .offset:         34
        .size:           2
        .value_kind:     hidden_remainder_x
      - .offset:         36
        .size:           2
        .value_kind:     hidden_remainder_y
      - .offset:         38
        .size:           2
        .value_kind:     hidden_remainder_z
      - .offset:         56
        .size:           8
        .value_kind:     hidden_global_offset_x
      - .offset:         64
        .size:           8
        .value_kind:     hidden_global_offset_y
      - .offset:         72
        .size:           8
        .value_kind:     hidden_global_offset_z
      - .offset:         80
        .size:           2
        .value_kind:     hidden_grid_dims
    .group_segment_fixed_size: 10288
    .kernarg_segment_align: 8
    .kernarg_segment_size: 272
    .language:       OpenCL C
    .language_version:
      - 2
      - 0
    .max_flat_workgroup_size: 320
    .name:           _Z16sort_keys_kernelI22helper_blocked_blockedxLj320ELj3ELj10EEvPKT0_PS1_
    .private_segment_fixed_size: 0
    .sgpr_count:     22
    .sgpr_spill_count: 0
    .symbol:         _Z16sort_keys_kernelI22helper_blocked_blockedxLj320ELj3ELj10EEvPKT0_PS1_.kd
    .uniform_work_group_size: 1
    .uses_dynamic_stack: false
    .vgpr_count:     40
    .vgpr_spill_count: 0
    .wavefront_size: 32
    .workgroup_processor_mode: 1
  - .args:
      - .address_space:  global
        .offset:         0
        .size:           8
        .value_kind:     global_buffer
      - .address_space:  global
        .offset:         8
        .size:           8
        .value_kind:     global_buffer
      - .offset:         16
        .size:           4
        .value_kind:     hidden_block_count_x
      - .offset:         20
        .size:           4
        .value_kind:     hidden_block_count_y
      - .offset:         24
        .size:           4
        .value_kind:     hidden_block_count_z
      - .offset:         28
        .size:           2
        .value_kind:     hidden_group_size_x
      - .offset:         30
        .size:           2
        .value_kind:     hidden_group_size_y
      - .offset:         32
        .size:           2
        .value_kind:     hidden_group_size_z
      - .offset:         34
        .size:           2
        .value_kind:     hidden_remainder_x
      - .offset:         36
        .size:           2
        .value_kind:     hidden_remainder_y
      - .offset:         38
        .size:           2
        .value_kind:     hidden_remainder_z
      - .offset:         56
        .size:           8
        .value_kind:     hidden_global_offset_x
      - .offset:         64
        .size:           8
        .value_kind:     hidden_global_offset_y
      - .offset:         72
        .size:           8
        .value_kind:     hidden_global_offset_z
      - .offset:         80
        .size:           2
        .value_kind:     hidden_grid_dims
    .group_segment_fixed_size: 10288
    .kernarg_segment_align: 8
    .kernarg_segment_size: 272
    .language:       OpenCL C
    .language_version:
      - 2
      - 0
    .max_flat_workgroup_size: 320
    .name:           _Z17sort_pairs_kernelI22helper_blocked_blockedxLj320ELj3ELj10EEvPKT0_PS1_
    .private_segment_fixed_size: 0
    .sgpr_count:     22
    .sgpr_spill_count: 0
    .symbol:         _Z17sort_pairs_kernelI22helper_blocked_blockedxLj320ELj3ELj10EEvPKT0_PS1_.kd
    .uniform_work_group_size: 1
    .uses_dynamic_stack: false
    .vgpr_count:     46
    .vgpr_spill_count: 0
    .wavefront_size: 32
    .workgroup_processor_mode: 1
  - .args:
      - .address_space:  global
        .offset:         0
        .size:           8
        .value_kind:     global_buffer
      - .address_space:  global
        .offset:         8
        .size:           8
        .value_kind:     global_buffer
      - .offset:         16
        .size:           4
        .value_kind:     hidden_block_count_x
      - .offset:         20
        .size:           4
        .value_kind:     hidden_block_count_y
      - .offset:         24
        .size:           4
        .value_kind:     hidden_block_count_z
      - .offset:         28
        .size:           2
        .value_kind:     hidden_group_size_x
      - .offset:         30
        .size:           2
        .value_kind:     hidden_group_size_y
      - .offset:         32
        .size:           2
        .value_kind:     hidden_group_size_z
      - .offset:         34
        .size:           2
        .value_kind:     hidden_remainder_x
      - .offset:         36
        .size:           2
        .value_kind:     hidden_remainder_y
      - .offset:         38
        .size:           2
        .value_kind:     hidden_remainder_z
      - .offset:         56
        .size:           8
        .value_kind:     hidden_global_offset_x
      - .offset:         64
        .size:           8
        .value_kind:     hidden_global_offset_y
      - .offset:         72
        .size:           8
        .value_kind:     hidden_global_offset_z
      - .offset:         80
        .size:           2
        .value_kind:     hidden_grid_dims
    .group_segment_fixed_size: 10560
    .kernarg_segment_align: 8
    .kernarg_segment_size: 272
    .language:       OpenCL C
    .language_version:
      - 2
      - 0
    .max_flat_workgroup_size: 320
    .name:           _Z16sort_keys_kernelI22helper_blocked_blockedxLj320ELj4ELj10EEvPKT0_PS1_
    .private_segment_fixed_size: 0
    .sgpr_count:     24
    .sgpr_spill_count: 0
    .symbol:         _Z16sort_keys_kernelI22helper_blocked_blockedxLj320ELj4ELj10EEvPKT0_PS1_.kd
    .uniform_work_group_size: 1
    .uses_dynamic_stack: false
    .vgpr_count:     50
    .vgpr_spill_count: 0
    .wavefront_size: 32
    .workgroup_processor_mode: 1
  - .args:
      - .address_space:  global
        .offset:         0
        .size:           8
        .value_kind:     global_buffer
      - .address_space:  global
        .offset:         8
        .size:           8
        .value_kind:     global_buffer
      - .offset:         16
        .size:           4
        .value_kind:     hidden_block_count_x
      - .offset:         20
        .size:           4
        .value_kind:     hidden_block_count_y
      - .offset:         24
        .size:           4
        .value_kind:     hidden_block_count_z
      - .offset:         28
        .size:           2
        .value_kind:     hidden_group_size_x
      - .offset:         30
        .size:           2
        .value_kind:     hidden_group_size_y
      - .offset:         32
        .size:           2
        .value_kind:     hidden_group_size_z
      - .offset:         34
        .size:           2
        .value_kind:     hidden_remainder_x
      - .offset:         36
        .size:           2
        .value_kind:     hidden_remainder_y
      - .offset:         38
        .size:           2
        .value_kind:     hidden_remainder_z
      - .offset:         56
        .size:           8
        .value_kind:     hidden_global_offset_x
      - .offset:         64
        .size:           8
        .value_kind:     hidden_global_offset_y
      - .offset:         72
        .size:           8
        .value_kind:     hidden_global_offset_z
      - .offset:         80
        .size:           2
        .value_kind:     hidden_grid_dims
    .group_segment_fixed_size: 10560
    .kernarg_segment_align: 8
    .kernarg_segment_size: 272
    .language:       OpenCL C
    .language_version:
      - 2
      - 0
    .max_flat_workgroup_size: 320
    .name:           _Z17sort_pairs_kernelI22helper_blocked_blockedxLj320ELj4ELj10EEvPKT0_PS1_
    .private_segment_fixed_size: 0
    .sgpr_count:     28
    .sgpr_spill_count: 0
    .symbol:         _Z17sort_pairs_kernelI22helper_blocked_blockedxLj320ELj4ELj10EEvPKT0_PS1_.kd
    .uniform_work_group_size: 1
    .uses_dynamic_stack: false
    .vgpr_count:     56
    .vgpr_spill_count: 0
    .wavefront_size: 32
    .workgroup_processor_mode: 1
  - .args:
      - .address_space:  global
        .offset:         0
        .size:           8
        .value_kind:     global_buffer
      - .address_space:  global
        .offset:         8
        .size:           8
        .value_kind:     global_buffer
      - .offset:         16
        .size:           4
        .value_kind:     hidden_block_count_x
      - .offset:         20
        .size:           4
        .value_kind:     hidden_block_count_y
      - .offset:         24
        .size:           4
        .value_kind:     hidden_block_count_z
      - .offset:         28
        .size:           2
        .value_kind:     hidden_group_size_x
      - .offset:         30
        .size:           2
        .value_kind:     hidden_group_size_y
      - .offset:         32
        .size:           2
        .value_kind:     hidden_group_size_z
      - .offset:         34
        .size:           2
        .value_kind:     hidden_remainder_x
      - .offset:         36
        .size:           2
        .value_kind:     hidden_remainder_y
      - .offset:         38
        .size:           2
        .value_kind:     hidden_remainder_z
      - .offset:         56
        .size:           8
        .value_kind:     hidden_global_offset_x
      - .offset:         64
        .size:           8
        .value_kind:     hidden_global_offset_y
      - .offset:         72
        .size:           8
        .value_kind:     hidden_global_offset_z
      - .offset:         80
        .size:           2
        .value_kind:     hidden_grid_dims
    .group_segment_fixed_size: 21120
    .kernarg_segment_align: 8
    .kernarg_segment_size: 272
    .language:       OpenCL C
    .language_version:
      - 2
      - 0
    .max_flat_workgroup_size: 320
    .name:           _Z16sort_keys_kernelI22helper_blocked_blockedxLj320ELj8ELj10EEvPKT0_PS1_
    .private_segment_fixed_size: 0
    .sgpr_count:     25
    .sgpr_spill_count: 0
    .symbol:         _Z16sort_keys_kernelI22helper_blocked_blockedxLj320ELj8ELj10EEvPKT0_PS1_.kd
    .uniform_work_group_size: 1
    .uses_dynamic_stack: false
    .vgpr_count:     67
    .vgpr_spill_count: 0
    .wavefront_size: 32
    .workgroup_processor_mode: 1
  - .args:
      - .address_space:  global
        .offset:         0
        .size:           8
        .value_kind:     global_buffer
      - .address_space:  global
        .offset:         8
        .size:           8
        .value_kind:     global_buffer
      - .offset:         16
        .size:           4
        .value_kind:     hidden_block_count_x
      - .offset:         20
        .size:           4
        .value_kind:     hidden_block_count_y
      - .offset:         24
        .size:           4
        .value_kind:     hidden_block_count_z
      - .offset:         28
        .size:           2
        .value_kind:     hidden_group_size_x
      - .offset:         30
        .size:           2
        .value_kind:     hidden_group_size_y
      - .offset:         32
        .size:           2
        .value_kind:     hidden_group_size_z
      - .offset:         34
        .size:           2
        .value_kind:     hidden_remainder_x
      - .offset:         36
        .size:           2
        .value_kind:     hidden_remainder_y
      - .offset:         38
        .size:           2
        .value_kind:     hidden_remainder_z
      - .offset:         56
        .size:           8
        .value_kind:     hidden_global_offset_x
      - .offset:         64
        .size:           8
        .value_kind:     hidden_global_offset_y
      - .offset:         72
        .size:           8
        .value_kind:     hidden_global_offset_z
      - .offset:         80
        .size:           2
        .value_kind:     hidden_grid_dims
    .group_segment_fixed_size: 21120
    .kernarg_segment_align: 8
    .kernarg_segment_size: 272
    .language:       OpenCL C
    .language_version:
      - 2
      - 0
    .max_flat_workgroup_size: 320
    .name:           _Z17sort_pairs_kernelI22helper_blocked_blockedxLj320ELj8ELj10EEvPKT0_PS1_
    .private_segment_fixed_size: 0
    .sgpr_count:     25
    .sgpr_spill_count: 0
    .symbol:         _Z17sort_pairs_kernelI22helper_blocked_blockedxLj320ELj8ELj10EEvPKT0_PS1_.kd
    .uniform_work_group_size: 1
    .uses_dynamic_stack: false
    .vgpr_count:     90
    .vgpr_spill_count: 0
    .wavefront_size: 32
    .workgroup_processor_mode: 1
  - .args:
      - .address_space:  global
        .offset:         0
        .size:           8
        .value_kind:     global_buffer
      - .address_space:  global
        .offset:         8
        .size:           8
        .value_kind:     global_buffer
      - .offset:         16
        .size:           4
        .value_kind:     hidden_block_count_x
      - .offset:         20
        .size:           4
        .value_kind:     hidden_block_count_y
      - .offset:         24
        .size:           4
        .value_kind:     hidden_block_count_z
      - .offset:         28
        .size:           2
        .value_kind:     hidden_group_size_x
      - .offset:         30
        .size:           2
        .value_kind:     hidden_group_size_y
      - .offset:         32
        .size:           2
        .value_kind:     hidden_group_size_z
      - .offset:         34
        .size:           2
        .value_kind:     hidden_remainder_x
      - .offset:         36
        .size:           2
        .value_kind:     hidden_remainder_y
      - .offset:         38
        .size:           2
        .value_kind:     hidden_remainder_z
      - .offset:         56
        .size:           8
        .value_kind:     hidden_global_offset_x
      - .offset:         64
        .size:           8
        .value_kind:     hidden_global_offset_y
      - .offset:         72
        .size:           8
        .value_kind:     hidden_global_offset_z
      - .offset:         80
        .size:           2
        .value_kind:     hidden_grid_dims
    .group_segment_fixed_size: 16448
    .kernarg_segment_align: 8
    .kernarg_segment_size: 272
    .language:       OpenCL C
    .language_version:
      - 2
      - 0
    .max_flat_workgroup_size: 512
    .name:           _Z16sort_keys_kernelI22helper_blocked_blockedxLj512ELj1ELj10EEvPKT0_PS1_
    .private_segment_fixed_size: 0
    .sgpr_count:     22
    .sgpr_spill_count: 0
    .symbol:         _Z16sort_keys_kernelI22helper_blocked_blockedxLj512ELj1ELj10EEvPKT0_PS1_.kd
    .uniform_work_group_size: 1
    .uses_dynamic_stack: false
    .vgpr_count:     28
    .vgpr_spill_count: 0
    .wavefront_size: 32
    .workgroup_processor_mode: 1
  - .args:
      - .address_space:  global
        .offset:         0
        .size:           8
        .value_kind:     global_buffer
      - .address_space:  global
        .offset:         8
        .size:           8
        .value_kind:     global_buffer
      - .offset:         16
        .size:           4
        .value_kind:     hidden_block_count_x
      - .offset:         20
        .size:           4
        .value_kind:     hidden_block_count_y
      - .offset:         24
        .size:           4
        .value_kind:     hidden_block_count_z
      - .offset:         28
        .size:           2
        .value_kind:     hidden_group_size_x
      - .offset:         30
        .size:           2
        .value_kind:     hidden_group_size_y
      - .offset:         32
        .size:           2
        .value_kind:     hidden_group_size_z
      - .offset:         34
        .size:           2
        .value_kind:     hidden_remainder_x
      - .offset:         36
        .size:           2
        .value_kind:     hidden_remainder_y
      - .offset:         38
        .size:           2
        .value_kind:     hidden_remainder_z
      - .offset:         56
        .size:           8
        .value_kind:     hidden_global_offset_x
      - .offset:         64
        .size:           8
        .value_kind:     hidden_global_offset_y
      - .offset:         72
        .size:           8
        .value_kind:     hidden_global_offset_z
      - .offset:         80
        .size:           2
        .value_kind:     hidden_grid_dims
    .group_segment_fixed_size: 16448
    .kernarg_segment_align: 8
    .kernarg_segment_size: 272
    .language:       OpenCL C
    .language_version:
      - 2
      - 0
    .max_flat_workgroup_size: 512
    .name:           _Z17sort_pairs_kernelI22helper_blocked_blockedxLj512ELj1ELj10EEvPKT0_PS1_
    .private_segment_fixed_size: 0
    .sgpr_count:     22
    .sgpr_spill_count: 0
    .symbol:         _Z17sort_pairs_kernelI22helper_blocked_blockedxLj512ELj1ELj10EEvPKT0_PS1_.kd
    .uniform_work_group_size: 1
    .uses_dynamic_stack: false
    .vgpr_count:     30
    .vgpr_spill_count: 0
    .wavefront_size: 32
    .workgroup_processor_mode: 1
  - .args:
      - .address_space:  global
        .offset:         0
        .size:           8
        .value_kind:     global_buffer
      - .address_space:  global
        .offset:         8
        .size:           8
        .value_kind:     global_buffer
      - .offset:         16
        .size:           4
        .value_kind:     hidden_block_count_x
      - .offset:         20
        .size:           4
        .value_kind:     hidden_block_count_y
      - .offset:         24
        .size:           4
        .value_kind:     hidden_block_count_z
      - .offset:         28
        .size:           2
        .value_kind:     hidden_group_size_x
      - .offset:         30
        .size:           2
        .value_kind:     hidden_group_size_y
      - .offset:         32
        .size:           2
        .value_kind:     hidden_group_size_z
      - .offset:         34
        .size:           2
        .value_kind:     hidden_remainder_x
      - .offset:         36
        .size:           2
        .value_kind:     hidden_remainder_y
      - .offset:         38
        .size:           2
        .value_kind:     hidden_remainder_z
      - .offset:         56
        .size:           8
        .value_kind:     hidden_global_offset_x
      - .offset:         64
        .size:           8
        .value_kind:     hidden_global_offset_y
      - .offset:         72
        .size:           8
        .value_kind:     hidden_global_offset_z
      - .offset:         80
        .size:           2
        .value_kind:     hidden_grid_dims
    .group_segment_fixed_size: 16448
    .kernarg_segment_align: 8
    .kernarg_segment_size: 272
    .language:       OpenCL C
    .language_version:
      - 2
      - 0
    .max_flat_workgroup_size: 512
    .name:           _Z16sort_keys_kernelI22helper_blocked_blockedxLj512ELj3ELj10EEvPKT0_PS1_
    .private_segment_fixed_size: 0
    .sgpr_count:     22
    .sgpr_spill_count: 0
    .symbol:         _Z16sort_keys_kernelI22helper_blocked_blockedxLj512ELj3ELj10EEvPKT0_PS1_.kd
    .uniform_work_group_size: 1
    .uses_dynamic_stack: false
    .vgpr_count:     40
    .vgpr_spill_count: 0
    .wavefront_size: 32
    .workgroup_processor_mode: 1
  - .args:
      - .address_space:  global
        .offset:         0
        .size:           8
        .value_kind:     global_buffer
      - .address_space:  global
        .offset:         8
        .size:           8
        .value_kind:     global_buffer
      - .offset:         16
        .size:           4
        .value_kind:     hidden_block_count_x
      - .offset:         20
        .size:           4
        .value_kind:     hidden_block_count_y
      - .offset:         24
        .size:           4
        .value_kind:     hidden_block_count_z
      - .offset:         28
        .size:           2
        .value_kind:     hidden_group_size_x
      - .offset:         30
        .size:           2
        .value_kind:     hidden_group_size_y
      - .offset:         32
        .size:           2
        .value_kind:     hidden_group_size_z
      - .offset:         34
        .size:           2
        .value_kind:     hidden_remainder_x
      - .offset:         36
        .size:           2
        .value_kind:     hidden_remainder_y
      - .offset:         38
        .size:           2
        .value_kind:     hidden_remainder_z
      - .offset:         56
        .size:           8
        .value_kind:     hidden_global_offset_x
      - .offset:         64
        .size:           8
        .value_kind:     hidden_global_offset_y
      - .offset:         72
        .size:           8
        .value_kind:     hidden_global_offset_z
      - .offset:         80
        .size:           2
        .value_kind:     hidden_grid_dims
    .group_segment_fixed_size: 16448
    .kernarg_segment_align: 8
    .kernarg_segment_size: 272
    .language:       OpenCL C
    .language_version:
      - 2
      - 0
    .max_flat_workgroup_size: 512
    .name:           _Z17sort_pairs_kernelI22helper_blocked_blockedxLj512ELj3ELj10EEvPKT0_PS1_
    .private_segment_fixed_size: 0
    .sgpr_count:     22
    .sgpr_spill_count: 0
    .symbol:         _Z17sort_pairs_kernelI22helper_blocked_blockedxLj512ELj3ELj10EEvPKT0_PS1_.kd
    .uniform_work_group_size: 1
    .uses_dynamic_stack: false
    .vgpr_count:     46
    .vgpr_spill_count: 0
    .wavefront_size: 32
    .workgroup_processor_mode: 1
  - .args:
      - .address_space:  global
        .offset:         0
        .size:           8
        .value_kind:     global_buffer
      - .address_space:  global
        .offset:         8
        .size:           8
        .value_kind:     global_buffer
      - .offset:         16
        .size:           4
        .value_kind:     hidden_block_count_x
      - .offset:         20
        .size:           4
        .value_kind:     hidden_block_count_y
      - .offset:         24
        .size:           4
        .value_kind:     hidden_block_count_z
      - .offset:         28
        .size:           2
        .value_kind:     hidden_group_size_x
      - .offset:         30
        .size:           2
        .value_kind:     hidden_group_size_y
      - .offset:         32
        .size:           2
        .value_kind:     hidden_group_size_z
      - .offset:         34
        .size:           2
        .value_kind:     hidden_remainder_x
      - .offset:         36
        .size:           2
        .value_kind:     hidden_remainder_y
      - .offset:         38
        .size:           2
        .value_kind:     hidden_remainder_z
      - .offset:         56
        .size:           8
        .value_kind:     hidden_global_offset_x
      - .offset:         64
        .size:           8
        .value_kind:     hidden_global_offset_y
      - .offset:         72
        .size:           8
        .value_kind:     hidden_global_offset_z
      - .offset:         80
        .size:           2
        .value_kind:     hidden_grid_dims
    .group_segment_fixed_size: 16448
    .kernarg_segment_align: 8
    .kernarg_segment_size: 272
    .language:       OpenCL C
    .language_version:
      - 2
      - 0
    .max_flat_workgroup_size: 512
    .name:           _Z16sort_keys_kernelI22helper_blocked_blockedxLj512ELj4ELj10EEvPKT0_PS1_
    .private_segment_fixed_size: 0
    .sgpr_count:     24
    .sgpr_spill_count: 0
    .symbol:         _Z16sort_keys_kernelI22helper_blocked_blockedxLj512ELj4ELj10EEvPKT0_PS1_.kd
    .uniform_work_group_size: 1
    .uses_dynamic_stack: false
    .vgpr_count:     49
    .vgpr_spill_count: 0
    .wavefront_size: 32
    .workgroup_processor_mode: 1
  - .args:
      - .address_space:  global
        .offset:         0
        .size:           8
        .value_kind:     global_buffer
      - .address_space:  global
        .offset:         8
        .size:           8
        .value_kind:     global_buffer
      - .offset:         16
        .size:           4
        .value_kind:     hidden_block_count_x
      - .offset:         20
        .size:           4
        .value_kind:     hidden_block_count_y
      - .offset:         24
        .size:           4
        .value_kind:     hidden_block_count_z
      - .offset:         28
        .size:           2
        .value_kind:     hidden_group_size_x
      - .offset:         30
        .size:           2
        .value_kind:     hidden_group_size_y
      - .offset:         32
        .size:           2
        .value_kind:     hidden_group_size_z
      - .offset:         34
        .size:           2
        .value_kind:     hidden_remainder_x
      - .offset:         36
        .size:           2
        .value_kind:     hidden_remainder_y
      - .offset:         38
        .size:           2
        .value_kind:     hidden_remainder_z
      - .offset:         56
        .size:           8
        .value_kind:     hidden_global_offset_x
      - .offset:         64
        .size:           8
        .value_kind:     hidden_global_offset_y
      - .offset:         72
        .size:           8
        .value_kind:     hidden_global_offset_z
      - .offset:         80
        .size:           2
        .value_kind:     hidden_grid_dims
    .group_segment_fixed_size: 16448
    .kernarg_segment_align: 8
    .kernarg_segment_size: 272
    .language:       OpenCL C
    .language_version:
      - 2
      - 0
    .max_flat_workgroup_size: 512
    .name:           _Z17sort_pairs_kernelI22helper_blocked_blockedxLj512ELj4ELj10EEvPKT0_PS1_
    .private_segment_fixed_size: 0
    .sgpr_count:     28
    .sgpr_spill_count: 0
    .symbol:         _Z17sort_pairs_kernelI22helper_blocked_blockedxLj512ELj4ELj10EEvPKT0_PS1_.kd
    .uniform_work_group_size: 1
    .uses_dynamic_stack: false
    .vgpr_count:     53
    .vgpr_spill_count: 0
    .wavefront_size: 32
    .workgroup_processor_mode: 1
  - .args:
      - .address_space:  global
        .offset:         0
        .size:           8
        .value_kind:     global_buffer
      - .address_space:  global
        .offset:         8
        .size:           8
        .value_kind:     global_buffer
      - .offset:         16
        .size:           4
        .value_kind:     hidden_block_count_x
      - .offset:         20
        .size:           4
        .value_kind:     hidden_block_count_y
      - .offset:         24
        .size:           4
        .value_kind:     hidden_block_count_z
      - .offset:         28
        .size:           2
        .value_kind:     hidden_group_size_x
      - .offset:         30
        .size:           2
        .value_kind:     hidden_group_size_y
      - .offset:         32
        .size:           2
        .value_kind:     hidden_group_size_z
      - .offset:         34
        .size:           2
        .value_kind:     hidden_remainder_x
      - .offset:         36
        .size:           2
        .value_kind:     hidden_remainder_y
      - .offset:         38
        .size:           2
        .value_kind:     hidden_remainder_z
      - .offset:         56
        .size:           8
        .value_kind:     hidden_global_offset_x
      - .offset:         64
        .size:           8
        .value_kind:     hidden_global_offset_y
      - .offset:         72
        .size:           8
        .value_kind:     hidden_global_offset_z
      - .offset:         80
        .size:           2
        .value_kind:     hidden_grid_dims
    .group_segment_fixed_size: 32768
    .kernarg_segment_align: 8
    .kernarg_segment_size: 272
    .language:       OpenCL C
    .language_version:
      - 2
      - 0
    .max_flat_workgroup_size: 512
    .name:           _Z16sort_keys_kernelI22helper_blocked_blockedxLj512ELj8ELj10EEvPKT0_PS1_
    .private_segment_fixed_size: 0
    .sgpr_count:     25
    .sgpr_spill_count: 0
    .symbol:         _Z16sort_keys_kernelI22helper_blocked_blockedxLj512ELj8ELj10EEvPKT0_PS1_.kd
    .uniform_work_group_size: 1
    .uses_dynamic_stack: false
    .vgpr_count:     60
    .vgpr_spill_count: 0
    .wavefront_size: 32
    .workgroup_processor_mode: 1
  - .args:
      - .address_space:  global
        .offset:         0
        .size:           8
        .value_kind:     global_buffer
      - .address_space:  global
        .offset:         8
        .size:           8
        .value_kind:     global_buffer
      - .offset:         16
        .size:           4
        .value_kind:     hidden_block_count_x
      - .offset:         20
        .size:           4
        .value_kind:     hidden_block_count_y
      - .offset:         24
        .size:           4
        .value_kind:     hidden_block_count_z
      - .offset:         28
        .size:           2
        .value_kind:     hidden_group_size_x
      - .offset:         30
        .size:           2
        .value_kind:     hidden_group_size_y
      - .offset:         32
        .size:           2
        .value_kind:     hidden_group_size_z
      - .offset:         34
        .size:           2
        .value_kind:     hidden_remainder_x
      - .offset:         36
        .size:           2
        .value_kind:     hidden_remainder_y
      - .offset:         38
        .size:           2
        .value_kind:     hidden_remainder_z
      - .offset:         56
        .size:           8
        .value_kind:     hidden_global_offset_x
      - .offset:         64
        .size:           8
        .value_kind:     hidden_global_offset_y
      - .offset:         72
        .size:           8
        .value_kind:     hidden_global_offset_z
      - .offset:         80
        .size:           2
        .value_kind:     hidden_grid_dims
    .group_segment_fixed_size: 32768
    .kernarg_segment_align: 8
    .kernarg_segment_size: 272
    .language:       OpenCL C
    .language_version:
      - 2
      - 0
    .max_flat_workgroup_size: 512
    .name:           _Z17sort_pairs_kernelI22helper_blocked_blockedxLj512ELj8ELj10EEvPKT0_PS1_
    .private_segment_fixed_size: 0
    .sgpr_count:     25
    .sgpr_spill_count: 0
    .symbol:         _Z17sort_pairs_kernelI22helper_blocked_blockedxLj512ELj8ELj10EEvPKT0_PS1_.kd
    .uniform_work_group_size: 1
    .uses_dynamic_stack: false
    .vgpr_count:     83
    .vgpr_spill_count: 0
    .wavefront_size: 32
    .workgroup_processor_mode: 1
  - .args:
      - .address_space:  global
        .offset:         0
        .size:           8
        .value_kind:     global_buffer
      - .address_space:  global
        .offset:         8
        .size:           8
        .value_kind:     global_buffer
      - .offset:         16
        .size:           4
        .value_kind:     hidden_block_count_x
      - .offset:         20
        .size:           4
        .value_kind:     hidden_block_count_y
      - .offset:         24
        .size:           4
        .value_kind:     hidden_block_count_z
      - .offset:         28
        .size:           2
        .value_kind:     hidden_group_size_x
      - .offset:         30
        .size:           2
        .value_kind:     hidden_group_size_y
      - .offset:         32
        .size:           2
        .value_kind:     hidden_group_size_z
      - .offset:         34
        .size:           2
        .value_kind:     hidden_remainder_x
      - .offset:         36
        .size:           2
        .value_kind:     hidden_remainder_y
      - .offset:         38
        .size:           2
        .value_kind:     hidden_remainder_z
      - .offset:         56
        .size:           8
        .value_kind:     hidden_global_offset_x
      - .offset:         64
        .size:           8
        .value_kind:     hidden_global_offset_y
      - .offset:         72
        .size:           8
        .value_kind:     hidden_global_offset_z
      - .offset:         80
        .size:           2
        .value_kind:     hidden_grid_dims
    .group_segment_fixed_size: 2064
    .kernarg_segment_align: 8
    .kernarg_segment_size: 272
    .language:       OpenCL C
    .language_version:
      - 2
      - 0
    .max_flat_workgroup_size: 64
    .name:           _Z16sort_keys_kernelI22helper_blocked_blockedN15benchmark_utils11custom_typeIiiEELj64ELj1ELj10EEvPKT0_PS4_
    .private_segment_fixed_size: 0
    .sgpr_count:     24
    .sgpr_spill_count: 0
    .symbol:         _Z16sort_keys_kernelI22helper_blocked_blockedN15benchmark_utils11custom_typeIiiEELj64ELj1ELj10EEvPKT0_PS4_.kd
    .uniform_work_group_size: 1
    .uses_dynamic_stack: false
    .vgpr_count:     28
    .vgpr_spill_count: 0
    .wavefront_size: 32
    .workgroup_processor_mode: 1
  - .args:
      - .address_space:  global
        .offset:         0
        .size:           8
        .value_kind:     global_buffer
      - .address_space:  global
        .offset:         8
        .size:           8
        .value_kind:     global_buffer
      - .offset:         16
        .size:           4
        .value_kind:     hidden_block_count_x
      - .offset:         20
        .size:           4
        .value_kind:     hidden_block_count_y
      - .offset:         24
        .size:           4
        .value_kind:     hidden_block_count_z
      - .offset:         28
        .size:           2
        .value_kind:     hidden_group_size_x
      - .offset:         30
        .size:           2
        .value_kind:     hidden_group_size_y
      - .offset:         32
        .size:           2
        .value_kind:     hidden_group_size_z
      - .offset:         34
        .size:           2
        .value_kind:     hidden_remainder_x
      - .offset:         36
        .size:           2
        .value_kind:     hidden_remainder_y
      - .offset:         38
        .size:           2
        .value_kind:     hidden_remainder_z
      - .offset:         56
        .size:           8
        .value_kind:     hidden_global_offset_x
      - .offset:         64
        .size:           8
        .value_kind:     hidden_global_offset_y
      - .offset:         72
        .size:           8
        .value_kind:     hidden_global_offset_z
      - .offset:         80
        .size:           2
        .value_kind:     hidden_grid_dims
    .group_segment_fixed_size: 2064
    .kernarg_segment_align: 8
    .kernarg_segment_size: 272
    .language:       OpenCL C
    .language_version:
      - 2
      - 0
    .max_flat_workgroup_size: 64
    .name:           _Z17sort_pairs_kernelI22helper_blocked_blockedN15benchmark_utils11custom_typeIiiEELj64ELj1ELj10EEvPKT0_PS4_
    .private_segment_fixed_size: 0
    .sgpr_count:     24
    .sgpr_spill_count: 0
    .symbol:         _Z17sort_pairs_kernelI22helper_blocked_blockedN15benchmark_utils11custom_typeIiiEELj64ELj1ELj10EEvPKT0_PS4_.kd
    .uniform_work_group_size: 1
    .uses_dynamic_stack: false
    .vgpr_count:     30
    .vgpr_spill_count: 0
    .wavefront_size: 32
    .workgroup_processor_mode: 1
  - .args:
      - .address_space:  global
        .offset:         0
        .size:           8
        .value_kind:     global_buffer
      - .address_space:  global
        .offset:         8
        .size:           8
        .value_kind:     global_buffer
      - .offset:         16
        .size:           4
        .value_kind:     hidden_block_count_x
      - .offset:         20
        .size:           4
        .value_kind:     hidden_block_count_y
      - .offset:         24
        .size:           4
        .value_kind:     hidden_block_count_z
      - .offset:         28
        .size:           2
        .value_kind:     hidden_group_size_x
      - .offset:         30
        .size:           2
        .value_kind:     hidden_group_size_y
      - .offset:         32
        .size:           2
        .value_kind:     hidden_group_size_z
      - .offset:         34
        .size:           2
        .value_kind:     hidden_remainder_x
      - .offset:         36
        .size:           2
        .value_kind:     hidden_remainder_y
      - .offset:         38
        .size:           2
        .value_kind:     hidden_remainder_z
      - .offset:         56
        .size:           8
        .value_kind:     hidden_global_offset_x
      - .offset:         64
        .size:           8
        .value_kind:     hidden_global_offset_y
      - .offset:         72
        .size:           8
        .value_kind:     hidden_global_offset_z
      - .offset:         80
        .size:           2
        .value_kind:     hidden_grid_dims
    .group_segment_fixed_size: 2064
    .kernarg_segment_align: 8
    .kernarg_segment_size: 272
    .language:       OpenCL C
    .language_version:
      - 2
      - 0
    .max_flat_workgroup_size: 64
    .name:           _Z16sort_keys_kernelI22helper_blocked_blockedN15benchmark_utils11custom_typeIiiEELj64ELj3ELj10EEvPKT0_PS4_
    .private_segment_fixed_size: 0
    .sgpr_count:     28
    .sgpr_spill_count: 0
    .symbol:         _Z16sort_keys_kernelI22helper_blocked_blockedN15benchmark_utils11custom_typeIiiEELj64ELj3ELj10EEvPKT0_PS4_.kd
    .uniform_work_group_size: 1
    .uses_dynamic_stack: false
    .vgpr_count:     40
    .vgpr_spill_count: 0
    .wavefront_size: 32
    .workgroup_processor_mode: 1
  - .args:
      - .address_space:  global
        .offset:         0
        .size:           8
        .value_kind:     global_buffer
      - .address_space:  global
        .offset:         8
        .size:           8
        .value_kind:     global_buffer
      - .offset:         16
        .size:           4
        .value_kind:     hidden_block_count_x
      - .offset:         20
        .size:           4
        .value_kind:     hidden_block_count_y
      - .offset:         24
        .size:           4
        .value_kind:     hidden_block_count_z
      - .offset:         28
        .size:           2
        .value_kind:     hidden_group_size_x
      - .offset:         30
        .size:           2
        .value_kind:     hidden_group_size_y
      - .offset:         32
        .size:           2
        .value_kind:     hidden_group_size_z
      - .offset:         34
        .size:           2
        .value_kind:     hidden_remainder_x
      - .offset:         36
        .size:           2
        .value_kind:     hidden_remainder_y
      - .offset:         38
        .size:           2
        .value_kind:     hidden_remainder_z
      - .offset:         56
        .size:           8
        .value_kind:     hidden_global_offset_x
      - .offset:         64
        .size:           8
        .value_kind:     hidden_global_offset_y
      - .offset:         72
        .size:           8
        .value_kind:     hidden_global_offset_z
      - .offset:         80
        .size:           2
        .value_kind:     hidden_grid_dims
    .group_segment_fixed_size: 2064
    .kernarg_segment_align: 8
    .kernarg_segment_size: 272
    .language:       OpenCL C
    .language_version:
      - 2
      - 0
    .max_flat_workgroup_size: 64
    .name:           _Z17sort_pairs_kernelI22helper_blocked_blockedN15benchmark_utils11custom_typeIiiEELj64ELj3ELj10EEvPKT0_PS4_
    .private_segment_fixed_size: 0
    .sgpr_count:     28
    .sgpr_spill_count: 0
    .symbol:         _Z17sort_pairs_kernelI22helper_blocked_blockedN15benchmark_utils11custom_typeIiiEELj64ELj3ELj10EEvPKT0_PS4_.kd
    .uniform_work_group_size: 1
    .uses_dynamic_stack: false
    .vgpr_count:     46
    .vgpr_spill_count: 0
    .wavefront_size: 32
    .workgroup_processor_mode: 1
  - .args:
      - .address_space:  global
        .offset:         0
        .size:           8
        .value_kind:     global_buffer
      - .address_space:  global
        .offset:         8
        .size:           8
        .value_kind:     global_buffer
      - .offset:         16
        .size:           4
        .value_kind:     hidden_block_count_x
      - .offset:         20
        .size:           4
        .value_kind:     hidden_block_count_y
      - .offset:         24
        .size:           4
        .value_kind:     hidden_block_count_z
      - .offset:         28
        .size:           2
        .value_kind:     hidden_group_size_x
      - .offset:         30
        .size:           2
        .value_kind:     hidden_group_size_y
      - .offset:         32
        .size:           2
        .value_kind:     hidden_group_size_z
      - .offset:         34
        .size:           2
        .value_kind:     hidden_remainder_x
      - .offset:         36
        .size:           2
        .value_kind:     hidden_remainder_y
      - .offset:         38
        .size:           2
        .value_kind:     hidden_remainder_z
      - .offset:         56
        .size:           8
        .value_kind:     hidden_global_offset_x
      - .offset:         64
        .size:           8
        .value_kind:     hidden_global_offset_y
      - .offset:         72
        .size:           8
        .value_kind:     hidden_global_offset_z
      - .offset:         80
        .size:           2
        .value_kind:     hidden_grid_dims
    .group_segment_fixed_size: 2064
    .kernarg_segment_align: 8
    .kernarg_segment_size: 272
    .language:       OpenCL C
    .language_version:
      - 2
      - 0
    .max_flat_workgroup_size: 64
    .name:           _Z16sort_keys_kernelI22helper_blocked_blockedN15benchmark_utils11custom_typeIiiEELj64ELj4ELj10EEvPKT0_PS4_
    .private_segment_fixed_size: 0
    .sgpr_count:     32
    .sgpr_spill_count: 0
    .symbol:         _Z16sort_keys_kernelI22helper_blocked_blockedN15benchmark_utils11custom_typeIiiEELj64ELj4ELj10EEvPKT0_PS4_.kd
    .uniform_work_group_size: 1
    .uses_dynamic_stack: false
    .vgpr_count:     47
    .vgpr_spill_count: 0
    .wavefront_size: 32
    .workgroup_processor_mode: 1
  - .args:
      - .address_space:  global
        .offset:         0
        .size:           8
        .value_kind:     global_buffer
      - .address_space:  global
        .offset:         8
        .size:           8
        .value_kind:     global_buffer
      - .offset:         16
        .size:           4
        .value_kind:     hidden_block_count_x
      - .offset:         20
        .size:           4
        .value_kind:     hidden_block_count_y
      - .offset:         24
        .size:           4
        .value_kind:     hidden_block_count_z
      - .offset:         28
        .size:           2
        .value_kind:     hidden_group_size_x
      - .offset:         30
        .size:           2
        .value_kind:     hidden_group_size_y
      - .offset:         32
        .size:           2
        .value_kind:     hidden_group_size_z
      - .offset:         34
        .size:           2
        .value_kind:     hidden_remainder_x
      - .offset:         36
        .size:           2
        .value_kind:     hidden_remainder_y
      - .offset:         38
        .size:           2
        .value_kind:     hidden_remainder_z
      - .offset:         56
        .size:           8
        .value_kind:     hidden_global_offset_x
      - .offset:         64
        .size:           8
        .value_kind:     hidden_global_offset_y
      - .offset:         72
        .size:           8
        .value_kind:     hidden_global_offset_z
      - .offset:         80
        .size:           2
        .value_kind:     hidden_grid_dims
    .group_segment_fixed_size: 2064
    .kernarg_segment_align: 8
    .kernarg_segment_size: 272
    .language:       OpenCL C
    .language_version:
      - 2
      - 0
    .max_flat_workgroup_size: 64
    .name:           _Z17sort_pairs_kernelI22helper_blocked_blockedN15benchmark_utils11custom_typeIiiEELj64ELj4ELj10EEvPKT0_PS4_
    .private_segment_fixed_size: 0
    .sgpr_count:     37
    .sgpr_spill_count: 0
    .symbol:         _Z17sort_pairs_kernelI22helper_blocked_blockedN15benchmark_utils11custom_typeIiiEELj64ELj4ELj10EEvPKT0_PS4_.kd
    .uniform_work_group_size: 1
    .uses_dynamic_stack: false
    .vgpr_count:     52
    .vgpr_spill_count: 0
    .wavefront_size: 32
    .workgroup_processor_mode: 1
  - .args:
      - .address_space:  global
        .offset:         0
        .size:           8
        .value_kind:     global_buffer
      - .address_space:  global
        .offset:         8
        .size:           8
        .value_kind:     global_buffer
      - .offset:         16
        .size:           4
        .value_kind:     hidden_block_count_x
      - .offset:         20
        .size:           4
        .value_kind:     hidden_block_count_y
      - .offset:         24
        .size:           4
        .value_kind:     hidden_block_count_z
      - .offset:         28
        .size:           2
        .value_kind:     hidden_group_size_x
      - .offset:         30
        .size:           2
        .value_kind:     hidden_group_size_y
      - .offset:         32
        .size:           2
        .value_kind:     hidden_group_size_z
      - .offset:         34
        .size:           2
        .value_kind:     hidden_remainder_x
      - .offset:         36
        .size:           2
        .value_kind:     hidden_remainder_y
      - .offset:         38
        .size:           2
        .value_kind:     hidden_remainder_z
      - .offset:         56
        .size:           8
        .value_kind:     hidden_global_offset_x
      - .offset:         64
        .size:           8
        .value_kind:     hidden_global_offset_y
      - .offset:         72
        .size:           8
        .value_kind:     hidden_global_offset_z
      - .offset:         80
        .size:           2
        .value_kind:     hidden_grid_dims
    .group_segment_fixed_size: 4096
    .kernarg_segment_align: 8
    .kernarg_segment_size: 272
    .language:       OpenCL C
    .language_version:
      - 2
      - 0
    .max_flat_workgroup_size: 64
    .name:           _Z16sort_keys_kernelI22helper_blocked_blockedN15benchmark_utils11custom_typeIiiEELj64ELj8ELj10EEvPKT0_PS4_
    .private_segment_fixed_size: 0
    .sgpr_count:     32
    .sgpr_spill_count: 0
    .symbol:         _Z16sort_keys_kernelI22helper_blocked_blockedN15benchmark_utils11custom_typeIiiEELj64ELj8ELj10EEvPKT0_PS4_.kd
    .uniform_work_group_size: 1
    .uses_dynamic_stack: false
    .vgpr_count:     60
    .vgpr_spill_count: 0
    .wavefront_size: 32
    .workgroup_processor_mode: 1
  - .args:
      - .address_space:  global
        .offset:         0
        .size:           8
        .value_kind:     global_buffer
      - .address_space:  global
        .offset:         8
        .size:           8
        .value_kind:     global_buffer
      - .offset:         16
        .size:           4
        .value_kind:     hidden_block_count_x
      - .offset:         20
        .size:           4
        .value_kind:     hidden_block_count_y
      - .offset:         24
        .size:           4
        .value_kind:     hidden_block_count_z
      - .offset:         28
        .size:           2
        .value_kind:     hidden_group_size_x
      - .offset:         30
        .size:           2
        .value_kind:     hidden_group_size_y
      - .offset:         32
        .size:           2
        .value_kind:     hidden_group_size_z
      - .offset:         34
        .size:           2
        .value_kind:     hidden_remainder_x
      - .offset:         36
        .size:           2
        .value_kind:     hidden_remainder_y
      - .offset:         38
        .size:           2
        .value_kind:     hidden_remainder_z
      - .offset:         56
        .size:           8
        .value_kind:     hidden_global_offset_x
      - .offset:         64
        .size:           8
        .value_kind:     hidden_global_offset_y
      - .offset:         72
        .size:           8
        .value_kind:     hidden_global_offset_z
      - .offset:         80
        .size:           2
        .value_kind:     hidden_grid_dims
    .group_segment_fixed_size: 4096
    .kernarg_segment_align: 8
    .kernarg_segment_size: 272
    .language:       OpenCL C
    .language_version:
      - 2
      - 0
    .max_flat_workgroup_size: 64
    .name:           _Z17sort_pairs_kernelI22helper_blocked_blockedN15benchmark_utils11custom_typeIiiEELj64ELj8ELj10EEvPKT0_PS4_
    .private_segment_fixed_size: 0
    .sgpr_count:     32
    .sgpr_spill_count: 0
    .symbol:         _Z17sort_pairs_kernelI22helper_blocked_blockedN15benchmark_utils11custom_typeIiiEELj64ELj8ELj10EEvPKT0_PS4_.kd
    .uniform_work_group_size: 1
    .uses_dynamic_stack: false
    .vgpr_count:     83
    .vgpr_spill_count: 0
    .wavefront_size: 32
    .workgroup_processor_mode: 1
  - .args:
      - .address_space:  global
        .offset:         0
        .size:           8
        .value_kind:     global_buffer
      - .address_space:  global
        .offset:         8
        .size:           8
        .value_kind:     global_buffer
      - .offset:         16
        .size:           4
        .value_kind:     hidden_block_count_x
      - .offset:         20
        .size:           4
        .value_kind:     hidden_block_count_y
      - .offset:         24
        .size:           4
        .value_kind:     hidden_block_count_z
      - .offset:         28
        .size:           2
        .value_kind:     hidden_group_size_x
      - .offset:         30
        .size:           2
        .value_kind:     hidden_group_size_y
      - .offset:         32
        .size:           2
        .value_kind:     hidden_group_size_z
      - .offset:         34
        .size:           2
        .value_kind:     hidden_remainder_x
      - .offset:         36
        .size:           2
        .value_kind:     hidden_remainder_y
      - .offset:         38
        .size:           2
        .value_kind:     hidden_remainder_z
      - .offset:         56
        .size:           8
        .value_kind:     hidden_global_offset_x
      - .offset:         64
        .size:           8
        .value_kind:     hidden_global_offset_y
      - .offset:         72
        .size:           8
        .value_kind:     hidden_global_offset_z
      - .offset:         80
        .size:           2
        .value_kind:     hidden_grid_dims
    .group_segment_fixed_size: 4112
    .kernarg_segment_align: 8
    .kernarg_segment_size: 272
    .language:       OpenCL C
    .language_version:
      - 2
      - 0
    .max_flat_workgroup_size: 128
    .name:           _Z16sort_keys_kernelI22helper_blocked_blockedN15benchmark_utils11custom_typeIiiEELj128ELj1ELj10EEvPKT0_PS4_
    .private_segment_fixed_size: 0
    .sgpr_count:     25
    .sgpr_spill_count: 0
    .symbol:         _Z16sort_keys_kernelI22helper_blocked_blockedN15benchmark_utils11custom_typeIiiEELj128ELj1ELj10EEvPKT0_PS4_.kd
    .uniform_work_group_size: 1
    .uses_dynamic_stack: false
    .vgpr_count:     28
    .vgpr_spill_count: 0
    .wavefront_size: 32
    .workgroup_processor_mode: 1
  - .args:
      - .address_space:  global
        .offset:         0
        .size:           8
        .value_kind:     global_buffer
      - .address_space:  global
        .offset:         8
        .size:           8
        .value_kind:     global_buffer
      - .offset:         16
        .size:           4
        .value_kind:     hidden_block_count_x
      - .offset:         20
        .size:           4
        .value_kind:     hidden_block_count_y
      - .offset:         24
        .size:           4
        .value_kind:     hidden_block_count_z
      - .offset:         28
        .size:           2
        .value_kind:     hidden_group_size_x
      - .offset:         30
        .size:           2
        .value_kind:     hidden_group_size_y
      - .offset:         32
        .size:           2
        .value_kind:     hidden_group_size_z
      - .offset:         34
        .size:           2
        .value_kind:     hidden_remainder_x
      - .offset:         36
        .size:           2
        .value_kind:     hidden_remainder_y
      - .offset:         38
        .size:           2
        .value_kind:     hidden_remainder_z
      - .offset:         56
        .size:           8
        .value_kind:     hidden_global_offset_x
      - .offset:         64
        .size:           8
        .value_kind:     hidden_global_offset_y
      - .offset:         72
        .size:           8
        .value_kind:     hidden_global_offset_z
      - .offset:         80
        .size:           2
        .value_kind:     hidden_grid_dims
    .group_segment_fixed_size: 4112
    .kernarg_segment_align: 8
    .kernarg_segment_size: 272
    .language:       OpenCL C
    .language_version:
      - 2
      - 0
    .max_flat_workgroup_size: 128
    .name:           _Z17sort_pairs_kernelI22helper_blocked_blockedN15benchmark_utils11custom_typeIiiEELj128ELj1ELj10EEvPKT0_PS4_
    .private_segment_fixed_size: 0
    .sgpr_count:     25
    .sgpr_spill_count: 0
    .symbol:         _Z17sort_pairs_kernelI22helper_blocked_blockedN15benchmark_utils11custom_typeIiiEELj128ELj1ELj10EEvPKT0_PS4_.kd
    .uniform_work_group_size: 1
    .uses_dynamic_stack: false
    .vgpr_count:     30
    .vgpr_spill_count: 0
    .wavefront_size: 32
    .workgroup_processor_mode: 1
  - .args:
      - .address_space:  global
        .offset:         0
        .size:           8
        .value_kind:     global_buffer
      - .address_space:  global
        .offset:         8
        .size:           8
        .value_kind:     global_buffer
      - .offset:         16
        .size:           4
        .value_kind:     hidden_block_count_x
      - .offset:         20
        .size:           4
        .value_kind:     hidden_block_count_y
      - .offset:         24
        .size:           4
        .value_kind:     hidden_block_count_z
      - .offset:         28
        .size:           2
        .value_kind:     hidden_group_size_x
      - .offset:         30
        .size:           2
        .value_kind:     hidden_group_size_y
      - .offset:         32
        .size:           2
        .value_kind:     hidden_group_size_z
      - .offset:         34
        .size:           2
        .value_kind:     hidden_remainder_x
      - .offset:         36
        .size:           2
        .value_kind:     hidden_remainder_y
      - .offset:         38
        .size:           2
        .value_kind:     hidden_remainder_z
      - .offset:         56
        .size:           8
        .value_kind:     hidden_global_offset_x
      - .offset:         64
        .size:           8
        .value_kind:     hidden_global_offset_y
      - .offset:         72
        .size:           8
        .value_kind:     hidden_global_offset_z
      - .offset:         80
        .size:           2
        .value_kind:     hidden_grid_dims
    .group_segment_fixed_size: 4112
    .kernarg_segment_align: 8
    .kernarg_segment_size: 272
    .language:       OpenCL C
    .language_version:
      - 2
      - 0
    .max_flat_workgroup_size: 128
    .name:           _Z16sort_keys_kernelI22helper_blocked_blockedN15benchmark_utils11custom_typeIiiEELj128ELj3ELj10EEvPKT0_PS4_
    .private_segment_fixed_size: 0
    .sgpr_count:     29
    .sgpr_spill_count: 0
    .symbol:         _Z16sort_keys_kernelI22helper_blocked_blockedN15benchmark_utils11custom_typeIiiEELj128ELj3ELj10EEvPKT0_PS4_.kd
    .uniform_work_group_size: 1
    .uses_dynamic_stack: false
    .vgpr_count:     40
    .vgpr_spill_count: 0
    .wavefront_size: 32
    .workgroup_processor_mode: 1
  - .args:
      - .address_space:  global
        .offset:         0
        .size:           8
        .value_kind:     global_buffer
      - .address_space:  global
        .offset:         8
        .size:           8
        .value_kind:     global_buffer
      - .offset:         16
        .size:           4
        .value_kind:     hidden_block_count_x
      - .offset:         20
        .size:           4
        .value_kind:     hidden_block_count_y
      - .offset:         24
        .size:           4
        .value_kind:     hidden_block_count_z
      - .offset:         28
        .size:           2
        .value_kind:     hidden_group_size_x
      - .offset:         30
        .size:           2
        .value_kind:     hidden_group_size_y
      - .offset:         32
        .size:           2
        .value_kind:     hidden_group_size_z
      - .offset:         34
        .size:           2
        .value_kind:     hidden_remainder_x
      - .offset:         36
        .size:           2
        .value_kind:     hidden_remainder_y
      - .offset:         38
        .size:           2
        .value_kind:     hidden_remainder_z
      - .offset:         56
        .size:           8
        .value_kind:     hidden_global_offset_x
      - .offset:         64
        .size:           8
        .value_kind:     hidden_global_offset_y
      - .offset:         72
        .size:           8
        .value_kind:     hidden_global_offset_z
      - .offset:         80
        .size:           2
        .value_kind:     hidden_grid_dims
    .group_segment_fixed_size: 4112
    .kernarg_segment_align: 8
    .kernarg_segment_size: 272
    .language:       OpenCL C
    .language_version:
      - 2
      - 0
    .max_flat_workgroup_size: 128
    .name:           _Z17sort_pairs_kernelI22helper_blocked_blockedN15benchmark_utils11custom_typeIiiEELj128ELj3ELj10EEvPKT0_PS4_
    .private_segment_fixed_size: 0
    .sgpr_count:     29
    .sgpr_spill_count: 0
    .symbol:         _Z17sort_pairs_kernelI22helper_blocked_blockedN15benchmark_utils11custom_typeIiiEELj128ELj3ELj10EEvPKT0_PS4_.kd
    .uniform_work_group_size: 1
    .uses_dynamic_stack: false
    .vgpr_count:     46
    .vgpr_spill_count: 0
    .wavefront_size: 32
    .workgroup_processor_mode: 1
  - .args:
      - .address_space:  global
        .offset:         0
        .size:           8
        .value_kind:     global_buffer
      - .address_space:  global
        .offset:         8
        .size:           8
        .value_kind:     global_buffer
      - .offset:         16
        .size:           4
        .value_kind:     hidden_block_count_x
      - .offset:         20
        .size:           4
        .value_kind:     hidden_block_count_y
      - .offset:         24
        .size:           4
        .value_kind:     hidden_block_count_z
      - .offset:         28
        .size:           2
        .value_kind:     hidden_group_size_x
      - .offset:         30
        .size:           2
        .value_kind:     hidden_group_size_y
      - .offset:         32
        .size:           2
        .value_kind:     hidden_group_size_z
      - .offset:         34
        .size:           2
        .value_kind:     hidden_remainder_x
      - .offset:         36
        .size:           2
        .value_kind:     hidden_remainder_y
      - .offset:         38
        .size:           2
        .value_kind:     hidden_remainder_z
      - .offset:         56
        .size:           8
        .value_kind:     hidden_global_offset_x
      - .offset:         64
        .size:           8
        .value_kind:     hidden_global_offset_y
      - .offset:         72
        .size:           8
        .value_kind:     hidden_global_offset_z
      - .offset:         80
        .size:           2
        .value_kind:     hidden_grid_dims
    .group_segment_fixed_size: 4112
    .kernarg_segment_align: 8
    .kernarg_segment_size: 272
    .language:       OpenCL C
    .language_version:
      - 2
      - 0
    .max_flat_workgroup_size: 128
    .name:           _Z16sort_keys_kernelI22helper_blocked_blockedN15benchmark_utils11custom_typeIiiEELj128ELj4ELj10EEvPKT0_PS4_
    .private_segment_fixed_size: 0
    .sgpr_count:     32
    .sgpr_spill_count: 0
    .symbol:         _Z16sort_keys_kernelI22helper_blocked_blockedN15benchmark_utils11custom_typeIiiEELj128ELj4ELj10EEvPKT0_PS4_.kd
    .uniform_work_group_size: 1
    .uses_dynamic_stack: false
    .vgpr_count:     47
    .vgpr_spill_count: 0
    .wavefront_size: 32
    .workgroup_processor_mode: 1
  - .args:
      - .address_space:  global
        .offset:         0
        .size:           8
        .value_kind:     global_buffer
      - .address_space:  global
        .offset:         8
        .size:           8
        .value_kind:     global_buffer
      - .offset:         16
        .size:           4
        .value_kind:     hidden_block_count_x
      - .offset:         20
        .size:           4
        .value_kind:     hidden_block_count_y
      - .offset:         24
        .size:           4
        .value_kind:     hidden_block_count_z
      - .offset:         28
        .size:           2
        .value_kind:     hidden_group_size_x
      - .offset:         30
        .size:           2
        .value_kind:     hidden_group_size_y
      - .offset:         32
        .size:           2
        .value_kind:     hidden_group_size_z
      - .offset:         34
        .size:           2
        .value_kind:     hidden_remainder_x
      - .offset:         36
        .size:           2
        .value_kind:     hidden_remainder_y
      - .offset:         38
        .size:           2
        .value_kind:     hidden_remainder_z
      - .offset:         56
        .size:           8
        .value_kind:     hidden_global_offset_x
      - .offset:         64
        .size:           8
        .value_kind:     hidden_global_offset_y
      - .offset:         72
        .size:           8
        .value_kind:     hidden_global_offset_z
      - .offset:         80
        .size:           2
        .value_kind:     hidden_grid_dims
    .group_segment_fixed_size: 4112
    .kernarg_segment_align: 8
    .kernarg_segment_size: 272
    .language:       OpenCL C
    .language_version:
      - 2
      - 0
    .max_flat_workgroup_size: 128
    .name:           _Z17sort_pairs_kernelI22helper_blocked_blockedN15benchmark_utils11custom_typeIiiEELj128ELj4ELj10EEvPKT0_PS4_
    .private_segment_fixed_size: 0
    .sgpr_count:     37
    .sgpr_spill_count: 0
    .symbol:         _Z17sort_pairs_kernelI22helper_blocked_blockedN15benchmark_utils11custom_typeIiiEELj128ELj4ELj10EEvPKT0_PS4_.kd
    .uniform_work_group_size: 1
    .uses_dynamic_stack: false
    .vgpr_count:     52
    .vgpr_spill_count: 0
    .wavefront_size: 32
    .workgroup_processor_mode: 1
  - .args:
      - .address_space:  global
        .offset:         0
        .size:           8
        .value_kind:     global_buffer
      - .address_space:  global
        .offset:         8
        .size:           8
        .value_kind:     global_buffer
      - .offset:         16
        .size:           4
        .value_kind:     hidden_block_count_x
      - .offset:         20
        .size:           4
        .value_kind:     hidden_block_count_y
      - .offset:         24
        .size:           4
        .value_kind:     hidden_block_count_z
      - .offset:         28
        .size:           2
        .value_kind:     hidden_group_size_x
      - .offset:         30
        .size:           2
        .value_kind:     hidden_group_size_y
      - .offset:         32
        .size:           2
        .value_kind:     hidden_group_size_z
      - .offset:         34
        .size:           2
        .value_kind:     hidden_remainder_x
      - .offset:         36
        .size:           2
        .value_kind:     hidden_remainder_y
      - .offset:         38
        .size:           2
        .value_kind:     hidden_remainder_z
      - .offset:         56
        .size:           8
        .value_kind:     hidden_global_offset_x
      - .offset:         64
        .size:           8
        .value_kind:     hidden_global_offset_y
      - .offset:         72
        .size:           8
        .value_kind:     hidden_global_offset_z
      - .offset:         80
        .size:           2
        .value_kind:     hidden_grid_dims
    .group_segment_fixed_size: 8192
    .kernarg_segment_align: 8
    .kernarg_segment_size: 272
    .language:       OpenCL C
    .language_version:
      - 2
      - 0
    .max_flat_workgroup_size: 128
    .name:           _Z16sort_keys_kernelI22helper_blocked_blockedN15benchmark_utils11custom_typeIiiEELj128ELj8ELj10EEvPKT0_PS4_
    .private_segment_fixed_size: 0
    .sgpr_count:     33
    .sgpr_spill_count: 0
    .symbol:         _Z16sort_keys_kernelI22helper_blocked_blockedN15benchmark_utils11custom_typeIiiEELj128ELj8ELj10EEvPKT0_PS4_.kd
    .uniform_work_group_size: 1
    .uses_dynamic_stack: false
    .vgpr_count:     60
    .vgpr_spill_count: 0
    .wavefront_size: 32
    .workgroup_processor_mode: 1
  - .args:
      - .address_space:  global
        .offset:         0
        .size:           8
        .value_kind:     global_buffer
      - .address_space:  global
        .offset:         8
        .size:           8
        .value_kind:     global_buffer
      - .offset:         16
        .size:           4
        .value_kind:     hidden_block_count_x
      - .offset:         20
        .size:           4
        .value_kind:     hidden_block_count_y
      - .offset:         24
        .size:           4
        .value_kind:     hidden_block_count_z
      - .offset:         28
        .size:           2
        .value_kind:     hidden_group_size_x
      - .offset:         30
        .size:           2
        .value_kind:     hidden_group_size_y
      - .offset:         32
        .size:           2
        .value_kind:     hidden_group_size_z
      - .offset:         34
        .size:           2
        .value_kind:     hidden_remainder_x
      - .offset:         36
        .size:           2
        .value_kind:     hidden_remainder_y
      - .offset:         38
        .size:           2
        .value_kind:     hidden_remainder_z
      - .offset:         56
        .size:           8
        .value_kind:     hidden_global_offset_x
      - .offset:         64
        .size:           8
        .value_kind:     hidden_global_offset_y
      - .offset:         72
        .size:           8
        .value_kind:     hidden_global_offset_z
      - .offset:         80
        .size:           2
        .value_kind:     hidden_grid_dims
    .group_segment_fixed_size: 8192
    .kernarg_segment_align: 8
    .kernarg_segment_size: 272
    .language:       OpenCL C
    .language_version:
      - 2
      - 0
    .max_flat_workgroup_size: 128
    .name:           _Z17sort_pairs_kernelI22helper_blocked_blockedN15benchmark_utils11custom_typeIiiEELj128ELj8ELj10EEvPKT0_PS4_
    .private_segment_fixed_size: 0
    .sgpr_count:     33
    .sgpr_spill_count: 0
    .symbol:         _Z17sort_pairs_kernelI22helper_blocked_blockedN15benchmark_utils11custom_typeIiiEELj128ELj8ELj10EEvPKT0_PS4_.kd
    .uniform_work_group_size: 1
    .uses_dynamic_stack: false
    .vgpr_count:     83
    .vgpr_spill_count: 0
    .wavefront_size: 32
    .workgroup_processor_mode: 1
  - .args:
      - .address_space:  global
        .offset:         0
        .size:           8
        .value_kind:     global_buffer
      - .address_space:  global
        .offset:         8
        .size:           8
        .value_kind:     global_buffer
      - .offset:         16
        .size:           4
        .value_kind:     hidden_block_count_x
      - .offset:         20
        .size:           4
        .value_kind:     hidden_block_count_y
      - .offset:         24
        .size:           4
        .value_kind:     hidden_block_count_z
      - .offset:         28
        .size:           2
        .value_kind:     hidden_group_size_x
      - .offset:         30
        .size:           2
        .value_kind:     hidden_group_size_y
      - .offset:         32
        .size:           2
        .value_kind:     hidden_group_size_z
      - .offset:         34
        .size:           2
        .value_kind:     hidden_remainder_x
      - .offset:         36
        .size:           2
        .value_kind:     hidden_remainder_y
      - .offset:         38
        .size:           2
        .value_kind:     hidden_remainder_z
      - .offset:         56
        .size:           8
        .value_kind:     hidden_global_offset_x
      - .offset:         64
        .size:           8
        .value_kind:     hidden_global_offset_y
      - .offset:         72
        .size:           8
        .value_kind:     hidden_global_offset_z
      - .offset:         80
        .size:           2
        .value_kind:     hidden_grid_dims
    .group_segment_fixed_size: 6176
    .kernarg_segment_align: 8
    .kernarg_segment_size: 272
    .language:       OpenCL C
    .language_version:
      - 2
      - 0
    .max_flat_workgroup_size: 192
    .name:           _Z16sort_keys_kernelI22helper_blocked_blockedN15benchmark_utils11custom_typeIiiEELj192ELj1ELj10EEvPKT0_PS4_
    .private_segment_fixed_size: 0
    .sgpr_count:     26
    .sgpr_spill_count: 0
    .symbol:         _Z16sort_keys_kernelI22helper_blocked_blockedN15benchmark_utils11custom_typeIiiEELj192ELj1ELj10EEvPKT0_PS4_.kd
    .uniform_work_group_size: 1
    .uses_dynamic_stack: false
    .vgpr_count:     28
    .vgpr_spill_count: 0
    .wavefront_size: 32
    .workgroup_processor_mode: 1
  - .args:
      - .address_space:  global
        .offset:         0
        .size:           8
        .value_kind:     global_buffer
      - .address_space:  global
        .offset:         8
        .size:           8
        .value_kind:     global_buffer
      - .offset:         16
        .size:           4
        .value_kind:     hidden_block_count_x
      - .offset:         20
        .size:           4
        .value_kind:     hidden_block_count_y
      - .offset:         24
        .size:           4
        .value_kind:     hidden_block_count_z
      - .offset:         28
        .size:           2
        .value_kind:     hidden_group_size_x
      - .offset:         30
        .size:           2
        .value_kind:     hidden_group_size_y
      - .offset:         32
        .size:           2
        .value_kind:     hidden_group_size_z
      - .offset:         34
        .size:           2
        .value_kind:     hidden_remainder_x
      - .offset:         36
        .size:           2
        .value_kind:     hidden_remainder_y
      - .offset:         38
        .size:           2
        .value_kind:     hidden_remainder_z
      - .offset:         56
        .size:           8
        .value_kind:     hidden_global_offset_x
      - .offset:         64
        .size:           8
        .value_kind:     hidden_global_offset_y
      - .offset:         72
        .size:           8
        .value_kind:     hidden_global_offset_z
      - .offset:         80
        .size:           2
        .value_kind:     hidden_grid_dims
    .group_segment_fixed_size: 6176
    .kernarg_segment_align: 8
    .kernarg_segment_size: 272
    .language:       OpenCL C
    .language_version:
      - 2
      - 0
    .max_flat_workgroup_size: 192
    .name:           _Z17sort_pairs_kernelI22helper_blocked_blockedN15benchmark_utils11custom_typeIiiEELj192ELj1ELj10EEvPKT0_PS4_
    .private_segment_fixed_size: 0
    .sgpr_count:     26
    .sgpr_spill_count: 0
    .symbol:         _Z17sort_pairs_kernelI22helper_blocked_blockedN15benchmark_utils11custom_typeIiiEELj192ELj1ELj10EEvPKT0_PS4_.kd
    .uniform_work_group_size: 1
    .uses_dynamic_stack: false
    .vgpr_count:     30
    .vgpr_spill_count: 0
    .wavefront_size: 32
    .workgroup_processor_mode: 1
  - .args:
      - .address_space:  global
        .offset:         0
        .size:           8
        .value_kind:     global_buffer
      - .address_space:  global
        .offset:         8
        .size:           8
        .value_kind:     global_buffer
      - .offset:         16
        .size:           4
        .value_kind:     hidden_block_count_x
      - .offset:         20
        .size:           4
        .value_kind:     hidden_block_count_y
      - .offset:         24
        .size:           4
        .value_kind:     hidden_block_count_z
      - .offset:         28
        .size:           2
        .value_kind:     hidden_group_size_x
      - .offset:         30
        .size:           2
        .value_kind:     hidden_group_size_y
      - .offset:         32
        .size:           2
        .value_kind:     hidden_group_size_z
      - .offset:         34
        .size:           2
        .value_kind:     hidden_remainder_x
      - .offset:         36
        .size:           2
        .value_kind:     hidden_remainder_y
      - .offset:         38
        .size:           2
        .value_kind:     hidden_remainder_z
      - .offset:         56
        .size:           8
        .value_kind:     hidden_global_offset_x
      - .offset:         64
        .size:           8
        .value_kind:     hidden_global_offset_y
      - .offset:         72
        .size:           8
        .value_kind:     hidden_global_offset_z
      - .offset:         80
        .size:           2
        .value_kind:     hidden_grid_dims
    .group_segment_fixed_size: 6176
    .kernarg_segment_align: 8
    .kernarg_segment_size: 272
    .language:       OpenCL C
    .language_version:
      - 2
      - 0
    .max_flat_workgroup_size: 192
    .name:           _Z16sort_keys_kernelI22helper_blocked_blockedN15benchmark_utils11custom_typeIiiEELj192ELj3ELj10EEvPKT0_PS4_
    .private_segment_fixed_size: 0
    .sgpr_count:     30
    .sgpr_spill_count: 0
    .symbol:         _Z16sort_keys_kernelI22helper_blocked_blockedN15benchmark_utils11custom_typeIiiEELj192ELj3ELj10EEvPKT0_PS4_.kd
    .uniform_work_group_size: 1
    .uses_dynamic_stack: false
    .vgpr_count:     40
    .vgpr_spill_count: 0
    .wavefront_size: 32
    .workgroup_processor_mode: 1
  - .args:
      - .address_space:  global
        .offset:         0
        .size:           8
        .value_kind:     global_buffer
      - .address_space:  global
        .offset:         8
        .size:           8
        .value_kind:     global_buffer
      - .offset:         16
        .size:           4
        .value_kind:     hidden_block_count_x
      - .offset:         20
        .size:           4
        .value_kind:     hidden_block_count_y
      - .offset:         24
        .size:           4
        .value_kind:     hidden_block_count_z
      - .offset:         28
        .size:           2
        .value_kind:     hidden_group_size_x
      - .offset:         30
        .size:           2
        .value_kind:     hidden_group_size_y
      - .offset:         32
        .size:           2
        .value_kind:     hidden_group_size_z
      - .offset:         34
        .size:           2
        .value_kind:     hidden_remainder_x
      - .offset:         36
        .size:           2
        .value_kind:     hidden_remainder_y
      - .offset:         38
        .size:           2
        .value_kind:     hidden_remainder_z
      - .offset:         56
        .size:           8
        .value_kind:     hidden_global_offset_x
      - .offset:         64
        .size:           8
        .value_kind:     hidden_global_offset_y
      - .offset:         72
        .size:           8
        .value_kind:     hidden_global_offset_z
      - .offset:         80
        .size:           2
        .value_kind:     hidden_grid_dims
    .group_segment_fixed_size: 6176
    .kernarg_segment_align: 8
    .kernarg_segment_size: 272
    .language:       OpenCL C
    .language_version:
      - 2
      - 0
    .max_flat_workgroup_size: 192
    .name:           _Z17sort_pairs_kernelI22helper_blocked_blockedN15benchmark_utils11custom_typeIiiEELj192ELj3ELj10EEvPKT0_PS4_
    .private_segment_fixed_size: 0
    .sgpr_count:     30
    .sgpr_spill_count: 0
    .symbol:         _Z17sort_pairs_kernelI22helper_blocked_blockedN15benchmark_utils11custom_typeIiiEELj192ELj3ELj10EEvPKT0_PS4_.kd
    .uniform_work_group_size: 1
    .uses_dynamic_stack: false
    .vgpr_count:     46
    .vgpr_spill_count: 0
    .wavefront_size: 32
    .workgroup_processor_mode: 1
  - .args:
      - .address_space:  global
        .offset:         0
        .size:           8
        .value_kind:     global_buffer
      - .address_space:  global
        .offset:         8
        .size:           8
        .value_kind:     global_buffer
      - .offset:         16
        .size:           4
        .value_kind:     hidden_block_count_x
      - .offset:         20
        .size:           4
        .value_kind:     hidden_block_count_y
      - .offset:         24
        .size:           4
        .value_kind:     hidden_block_count_z
      - .offset:         28
        .size:           2
        .value_kind:     hidden_group_size_x
      - .offset:         30
        .size:           2
        .value_kind:     hidden_group_size_y
      - .offset:         32
        .size:           2
        .value_kind:     hidden_group_size_z
      - .offset:         34
        .size:           2
        .value_kind:     hidden_remainder_x
      - .offset:         36
        .size:           2
        .value_kind:     hidden_remainder_y
      - .offset:         38
        .size:           2
        .value_kind:     hidden_remainder_z
      - .offset:         56
        .size:           8
        .value_kind:     hidden_global_offset_x
      - .offset:         64
        .size:           8
        .value_kind:     hidden_global_offset_y
      - .offset:         72
        .size:           8
        .value_kind:     hidden_global_offset_z
      - .offset:         80
        .size:           2
        .value_kind:     hidden_grid_dims
    .group_segment_fixed_size: 6176
    .kernarg_segment_align: 8
    .kernarg_segment_size: 272
    .language:       OpenCL C
    .language_version:
      - 2
      - 0
    .max_flat_workgroup_size: 192
    .name:           _Z16sort_keys_kernelI22helper_blocked_blockedN15benchmark_utils11custom_typeIiiEELj192ELj4ELj10EEvPKT0_PS4_
    .private_segment_fixed_size: 0
    .sgpr_count:     34
    .sgpr_spill_count: 0
    .symbol:         _Z16sort_keys_kernelI22helper_blocked_blockedN15benchmark_utils11custom_typeIiiEELj192ELj4ELj10EEvPKT0_PS4_.kd
    .uniform_work_group_size: 1
    .uses_dynamic_stack: false
    .vgpr_count:     47
    .vgpr_spill_count: 0
    .wavefront_size: 32
    .workgroup_processor_mode: 1
  - .args:
      - .address_space:  global
        .offset:         0
        .size:           8
        .value_kind:     global_buffer
      - .address_space:  global
        .offset:         8
        .size:           8
        .value_kind:     global_buffer
      - .offset:         16
        .size:           4
        .value_kind:     hidden_block_count_x
      - .offset:         20
        .size:           4
        .value_kind:     hidden_block_count_y
      - .offset:         24
        .size:           4
        .value_kind:     hidden_block_count_z
      - .offset:         28
        .size:           2
        .value_kind:     hidden_group_size_x
      - .offset:         30
        .size:           2
        .value_kind:     hidden_group_size_y
      - .offset:         32
        .size:           2
        .value_kind:     hidden_group_size_z
      - .offset:         34
        .size:           2
        .value_kind:     hidden_remainder_x
      - .offset:         36
        .size:           2
        .value_kind:     hidden_remainder_y
      - .offset:         38
        .size:           2
        .value_kind:     hidden_remainder_z
      - .offset:         56
        .size:           8
        .value_kind:     hidden_global_offset_x
      - .offset:         64
        .size:           8
        .value_kind:     hidden_global_offset_y
      - .offset:         72
        .size:           8
        .value_kind:     hidden_global_offset_z
      - .offset:         80
        .size:           2
        .value_kind:     hidden_grid_dims
    .group_segment_fixed_size: 6176
    .kernarg_segment_align: 8
    .kernarg_segment_size: 272
    .language:       OpenCL C
    .language_version:
      - 2
      - 0
    .max_flat_workgroup_size: 192
    .name:           _Z17sort_pairs_kernelI22helper_blocked_blockedN15benchmark_utils11custom_typeIiiEELj192ELj4ELj10EEvPKT0_PS4_
    .private_segment_fixed_size: 0
    .sgpr_count:     39
    .sgpr_spill_count: 0
    .symbol:         _Z17sort_pairs_kernelI22helper_blocked_blockedN15benchmark_utils11custom_typeIiiEELj192ELj4ELj10EEvPKT0_PS4_.kd
    .uniform_work_group_size: 1
    .uses_dynamic_stack: false
    .vgpr_count:     52
    .vgpr_spill_count: 0
    .wavefront_size: 32
    .workgroup_processor_mode: 1
  - .args:
      - .address_space:  global
        .offset:         0
        .size:           8
        .value_kind:     global_buffer
      - .address_space:  global
        .offset:         8
        .size:           8
        .value_kind:     global_buffer
      - .offset:         16
        .size:           4
        .value_kind:     hidden_block_count_x
      - .offset:         20
        .size:           4
        .value_kind:     hidden_block_count_y
      - .offset:         24
        .size:           4
        .value_kind:     hidden_block_count_z
      - .offset:         28
        .size:           2
        .value_kind:     hidden_group_size_x
      - .offset:         30
        .size:           2
        .value_kind:     hidden_group_size_y
      - .offset:         32
        .size:           2
        .value_kind:     hidden_group_size_z
      - .offset:         34
        .size:           2
        .value_kind:     hidden_remainder_x
      - .offset:         36
        .size:           2
        .value_kind:     hidden_remainder_y
      - .offset:         38
        .size:           2
        .value_kind:     hidden_remainder_z
      - .offset:         56
        .size:           8
        .value_kind:     hidden_global_offset_x
      - .offset:         64
        .size:           8
        .value_kind:     hidden_global_offset_y
      - .offset:         72
        .size:           8
        .value_kind:     hidden_global_offset_z
      - .offset:         80
        .size:           2
        .value_kind:     hidden_grid_dims
    .group_segment_fixed_size: 12672
    .kernarg_segment_align: 8
    .kernarg_segment_size: 272
    .language:       OpenCL C
    .language_version:
      - 2
      - 0
    .max_flat_workgroup_size: 192
    .name:           _Z16sort_keys_kernelI22helper_blocked_blockedN15benchmark_utils11custom_typeIiiEELj192ELj8ELj10EEvPKT0_PS4_
    .private_segment_fixed_size: 0
    .sgpr_count:     34
    .sgpr_spill_count: 0
    .symbol:         _Z16sort_keys_kernelI22helper_blocked_blockedN15benchmark_utils11custom_typeIiiEELj192ELj8ELj10EEvPKT0_PS4_.kd
    .uniform_work_group_size: 1
    .uses_dynamic_stack: false
    .vgpr_count:     67
    .vgpr_spill_count: 0
    .wavefront_size: 32
    .workgroup_processor_mode: 1
  - .args:
      - .address_space:  global
        .offset:         0
        .size:           8
        .value_kind:     global_buffer
      - .address_space:  global
        .offset:         8
        .size:           8
        .value_kind:     global_buffer
      - .offset:         16
        .size:           4
        .value_kind:     hidden_block_count_x
      - .offset:         20
        .size:           4
        .value_kind:     hidden_block_count_y
      - .offset:         24
        .size:           4
        .value_kind:     hidden_block_count_z
      - .offset:         28
        .size:           2
        .value_kind:     hidden_group_size_x
      - .offset:         30
        .size:           2
        .value_kind:     hidden_group_size_y
      - .offset:         32
        .size:           2
        .value_kind:     hidden_group_size_z
      - .offset:         34
        .size:           2
        .value_kind:     hidden_remainder_x
      - .offset:         36
        .size:           2
        .value_kind:     hidden_remainder_y
      - .offset:         38
        .size:           2
        .value_kind:     hidden_remainder_z
      - .offset:         56
        .size:           8
        .value_kind:     hidden_global_offset_x
      - .offset:         64
        .size:           8
        .value_kind:     hidden_global_offset_y
      - .offset:         72
        .size:           8
        .value_kind:     hidden_global_offset_z
      - .offset:         80
        .size:           2
        .value_kind:     hidden_grid_dims
    .group_segment_fixed_size: 12672
    .kernarg_segment_align: 8
    .kernarg_segment_size: 272
    .language:       OpenCL C
    .language_version:
      - 2
      - 0
    .max_flat_workgroup_size: 192
    .name:           _Z17sort_pairs_kernelI22helper_blocked_blockedN15benchmark_utils11custom_typeIiiEELj192ELj8ELj10EEvPKT0_PS4_
    .private_segment_fixed_size: 0
    .sgpr_count:     34
    .sgpr_spill_count: 0
    .symbol:         _Z17sort_pairs_kernelI22helper_blocked_blockedN15benchmark_utils11custom_typeIiiEELj192ELj8ELj10EEvPKT0_PS4_.kd
    .uniform_work_group_size: 1
    .uses_dynamic_stack: false
    .vgpr_count:     90
    .vgpr_spill_count: 0
    .wavefront_size: 32
    .workgroup_processor_mode: 1
  - .args:
      - .address_space:  global
        .offset:         0
        .size:           8
        .value_kind:     global_buffer
      - .address_space:  global
        .offset:         8
        .size:           8
        .value_kind:     global_buffer
      - .offset:         16
        .size:           4
        .value_kind:     hidden_block_count_x
      - .offset:         20
        .size:           4
        .value_kind:     hidden_block_count_y
      - .offset:         24
        .size:           4
        .value_kind:     hidden_block_count_z
      - .offset:         28
        .size:           2
        .value_kind:     hidden_group_size_x
      - .offset:         30
        .size:           2
        .value_kind:     hidden_group_size_y
      - .offset:         32
        .size:           2
        .value_kind:     hidden_group_size_z
      - .offset:         34
        .size:           2
        .value_kind:     hidden_remainder_x
      - .offset:         36
        .size:           2
        .value_kind:     hidden_remainder_y
      - .offset:         38
        .size:           2
        .value_kind:     hidden_remainder_z
      - .offset:         56
        .size:           8
        .value_kind:     hidden_global_offset_x
      - .offset:         64
        .size:           8
        .value_kind:     hidden_global_offset_y
      - .offset:         72
        .size:           8
        .value_kind:     hidden_global_offset_z
      - .offset:         80
        .size:           2
        .value_kind:     hidden_grid_dims
    .group_segment_fixed_size: 8224
    .kernarg_segment_align: 8
    .kernarg_segment_size: 272
    .language:       OpenCL C
    .language_version:
      - 2
      - 0
    .max_flat_workgroup_size: 256
    .name:           _Z16sort_keys_kernelI22helper_blocked_blockedN15benchmark_utils11custom_typeIiiEELj256ELj1ELj10EEvPKT0_PS4_
    .private_segment_fixed_size: 0
    .sgpr_count:     26
    .sgpr_spill_count: 0
    .symbol:         _Z16sort_keys_kernelI22helper_blocked_blockedN15benchmark_utils11custom_typeIiiEELj256ELj1ELj10EEvPKT0_PS4_.kd
    .uniform_work_group_size: 1
    .uses_dynamic_stack: false
    .vgpr_count:     28
    .vgpr_spill_count: 0
    .wavefront_size: 32
    .workgroup_processor_mode: 1
  - .args:
      - .address_space:  global
        .offset:         0
        .size:           8
        .value_kind:     global_buffer
      - .address_space:  global
        .offset:         8
        .size:           8
        .value_kind:     global_buffer
      - .offset:         16
        .size:           4
        .value_kind:     hidden_block_count_x
      - .offset:         20
        .size:           4
        .value_kind:     hidden_block_count_y
      - .offset:         24
        .size:           4
        .value_kind:     hidden_block_count_z
      - .offset:         28
        .size:           2
        .value_kind:     hidden_group_size_x
      - .offset:         30
        .size:           2
        .value_kind:     hidden_group_size_y
      - .offset:         32
        .size:           2
        .value_kind:     hidden_group_size_z
      - .offset:         34
        .size:           2
        .value_kind:     hidden_remainder_x
      - .offset:         36
        .size:           2
        .value_kind:     hidden_remainder_y
      - .offset:         38
        .size:           2
        .value_kind:     hidden_remainder_z
      - .offset:         56
        .size:           8
        .value_kind:     hidden_global_offset_x
      - .offset:         64
        .size:           8
        .value_kind:     hidden_global_offset_y
      - .offset:         72
        .size:           8
        .value_kind:     hidden_global_offset_z
      - .offset:         80
        .size:           2
        .value_kind:     hidden_grid_dims
    .group_segment_fixed_size: 8224
    .kernarg_segment_align: 8
    .kernarg_segment_size: 272
    .language:       OpenCL C
    .language_version:
      - 2
      - 0
    .max_flat_workgroup_size: 256
    .name:           _Z17sort_pairs_kernelI22helper_blocked_blockedN15benchmark_utils11custom_typeIiiEELj256ELj1ELj10EEvPKT0_PS4_
    .private_segment_fixed_size: 0
    .sgpr_count:     26
    .sgpr_spill_count: 0
    .symbol:         _Z17sort_pairs_kernelI22helper_blocked_blockedN15benchmark_utils11custom_typeIiiEELj256ELj1ELj10EEvPKT0_PS4_.kd
    .uniform_work_group_size: 1
    .uses_dynamic_stack: false
    .vgpr_count:     30
    .vgpr_spill_count: 0
    .wavefront_size: 32
    .workgroup_processor_mode: 1
  - .args:
      - .address_space:  global
        .offset:         0
        .size:           8
        .value_kind:     global_buffer
      - .address_space:  global
        .offset:         8
        .size:           8
        .value_kind:     global_buffer
      - .offset:         16
        .size:           4
        .value_kind:     hidden_block_count_x
      - .offset:         20
        .size:           4
        .value_kind:     hidden_block_count_y
      - .offset:         24
        .size:           4
        .value_kind:     hidden_block_count_z
      - .offset:         28
        .size:           2
        .value_kind:     hidden_group_size_x
      - .offset:         30
        .size:           2
        .value_kind:     hidden_group_size_y
      - .offset:         32
        .size:           2
        .value_kind:     hidden_group_size_z
      - .offset:         34
        .size:           2
        .value_kind:     hidden_remainder_x
      - .offset:         36
        .size:           2
        .value_kind:     hidden_remainder_y
      - .offset:         38
        .size:           2
        .value_kind:     hidden_remainder_z
      - .offset:         56
        .size:           8
        .value_kind:     hidden_global_offset_x
      - .offset:         64
        .size:           8
        .value_kind:     hidden_global_offset_y
      - .offset:         72
        .size:           8
        .value_kind:     hidden_global_offset_z
      - .offset:         80
        .size:           2
        .value_kind:     hidden_grid_dims
    .group_segment_fixed_size: 8224
    .kernarg_segment_align: 8
    .kernarg_segment_size: 272
    .language:       OpenCL C
    .language_version:
      - 2
      - 0
    .max_flat_workgroup_size: 256
    .name:           _Z16sort_keys_kernelI22helper_blocked_blockedN15benchmark_utils11custom_typeIiiEELj256ELj3ELj10EEvPKT0_PS4_
    .private_segment_fixed_size: 0
    .sgpr_count:     30
    .sgpr_spill_count: 0
    .symbol:         _Z16sort_keys_kernelI22helper_blocked_blockedN15benchmark_utils11custom_typeIiiEELj256ELj3ELj10EEvPKT0_PS4_.kd
    .uniform_work_group_size: 1
    .uses_dynamic_stack: false
    .vgpr_count:     40
    .vgpr_spill_count: 0
    .wavefront_size: 32
    .workgroup_processor_mode: 1
  - .args:
      - .address_space:  global
        .offset:         0
        .size:           8
        .value_kind:     global_buffer
      - .address_space:  global
        .offset:         8
        .size:           8
        .value_kind:     global_buffer
      - .offset:         16
        .size:           4
        .value_kind:     hidden_block_count_x
      - .offset:         20
        .size:           4
        .value_kind:     hidden_block_count_y
      - .offset:         24
        .size:           4
        .value_kind:     hidden_block_count_z
      - .offset:         28
        .size:           2
        .value_kind:     hidden_group_size_x
      - .offset:         30
        .size:           2
        .value_kind:     hidden_group_size_y
      - .offset:         32
        .size:           2
        .value_kind:     hidden_group_size_z
      - .offset:         34
        .size:           2
        .value_kind:     hidden_remainder_x
      - .offset:         36
        .size:           2
        .value_kind:     hidden_remainder_y
      - .offset:         38
        .size:           2
        .value_kind:     hidden_remainder_z
      - .offset:         56
        .size:           8
        .value_kind:     hidden_global_offset_x
      - .offset:         64
        .size:           8
        .value_kind:     hidden_global_offset_y
      - .offset:         72
        .size:           8
        .value_kind:     hidden_global_offset_z
      - .offset:         80
        .size:           2
        .value_kind:     hidden_grid_dims
    .group_segment_fixed_size: 8224
    .kernarg_segment_align: 8
    .kernarg_segment_size: 272
    .language:       OpenCL C
    .language_version:
      - 2
      - 0
    .max_flat_workgroup_size: 256
    .name:           _Z17sort_pairs_kernelI22helper_blocked_blockedN15benchmark_utils11custom_typeIiiEELj256ELj3ELj10EEvPKT0_PS4_
    .private_segment_fixed_size: 0
    .sgpr_count:     30
    .sgpr_spill_count: 0
    .symbol:         _Z17sort_pairs_kernelI22helper_blocked_blockedN15benchmark_utils11custom_typeIiiEELj256ELj3ELj10EEvPKT0_PS4_.kd
    .uniform_work_group_size: 1
    .uses_dynamic_stack: false
    .vgpr_count:     46
    .vgpr_spill_count: 0
    .wavefront_size: 32
    .workgroup_processor_mode: 1
  - .args:
      - .address_space:  global
        .offset:         0
        .size:           8
        .value_kind:     global_buffer
      - .address_space:  global
        .offset:         8
        .size:           8
        .value_kind:     global_buffer
      - .offset:         16
        .size:           4
        .value_kind:     hidden_block_count_x
      - .offset:         20
        .size:           4
        .value_kind:     hidden_block_count_y
      - .offset:         24
        .size:           4
        .value_kind:     hidden_block_count_z
      - .offset:         28
        .size:           2
        .value_kind:     hidden_group_size_x
      - .offset:         30
        .size:           2
        .value_kind:     hidden_group_size_y
      - .offset:         32
        .size:           2
        .value_kind:     hidden_group_size_z
      - .offset:         34
        .size:           2
        .value_kind:     hidden_remainder_x
      - .offset:         36
        .size:           2
        .value_kind:     hidden_remainder_y
      - .offset:         38
        .size:           2
        .value_kind:     hidden_remainder_z
      - .offset:         56
        .size:           8
        .value_kind:     hidden_global_offset_x
      - .offset:         64
        .size:           8
        .value_kind:     hidden_global_offset_y
      - .offset:         72
        .size:           8
        .value_kind:     hidden_global_offset_z
      - .offset:         80
        .size:           2
        .value_kind:     hidden_grid_dims
    .group_segment_fixed_size: 8224
    .kernarg_segment_align: 8
    .kernarg_segment_size: 272
    .language:       OpenCL C
    .language_version:
      - 2
      - 0
    .max_flat_workgroup_size: 256
    .name:           _Z16sort_keys_kernelI22helper_blocked_blockedN15benchmark_utils11custom_typeIiiEELj256ELj4ELj10EEvPKT0_PS4_
    .private_segment_fixed_size: 0
    .sgpr_count:     34
    .sgpr_spill_count: 0
    .symbol:         _Z16sort_keys_kernelI22helper_blocked_blockedN15benchmark_utils11custom_typeIiiEELj256ELj4ELj10EEvPKT0_PS4_.kd
    .uniform_work_group_size: 1
    .uses_dynamic_stack: false
    .vgpr_count:     47
    .vgpr_spill_count: 0
    .wavefront_size: 32
    .workgroup_processor_mode: 1
  - .args:
      - .address_space:  global
        .offset:         0
        .size:           8
        .value_kind:     global_buffer
      - .address_space:  global
        .offset:         8
        .size:           8
        .value_kind:     global_buffer
      - .offset:         16
        .size:           4
        .value_kind:     hidden_block_count_x
      - .offset:         20
        .size:           4
        .value_kind:     hidden_block_count_y
      - .offset:         24
        .size:           4
        .value_kind:     hidden_block_count_z
      - .offset:         28
        .size:           2
        .value_kind:     hidden_group_size_x
      - .offset:         30
        .size:           2
        .value_kind:     hidden_group_size_y
      - .offset:         32
        .size:           2
        .value_kind:     hidden_group_size_z
      - .offset:         34
        .size:           2
        .value_kind:     hidden_remainder_x
      - .offset:         36
        .size:           2
        .value_kind:     hidden_remainder_y
      - .offset:         38
        .size:           2
        .value_kind:     hidden_remainder_z
      - .offset:         56
        .size:           8
        .value_kind:     hidden_global_offset_x
      - .offset:         64
        .size:           8
        .value_kind:     hidden_global_offset_y
      - .offset:         72
        .size:           8
        .value_kind:     hidden_global_offset_z
      - .offset:         80
        .size:           2
        .value_kind:     hidden_grid_dims
    .group_segment_fixed_size: 8224
    .kernarg_segment_align: 8
    .kernarg_segment_size: 272
    .language:       OpenCL C
    .language_version:
      - 2
      - 0
    .max_flat_workgroup_size: 256
    .name:           _Z17sort_pairs_kernelI22helper_blocked_blockedN15benchmark_utils11custom_typeIiiEELj256ELj4ELj10EEvPKT0_PS4_
    .private_segment_fixed_size: 0
    .sgpr_count:     39
    .sgpr_spill_count: 0
    .symbol:         _Z17sort_pairs_kernelI22helper_blocked_blockedN15benchmark_utils11custom_typeIiiEELj256ELj4ELj10EEvPKT0_PS4_.kd
    .uniform_work_group_size: 1
    .uses_dynamic_stack: false
    .vgpr_count:     52
    .vgpr_spill_count: 0
    .wavefront_size: 32
    .workgroup_processor_mode: 1
  - .args:
      - .address_space:  global
        .offset:         0
        .size:           8
        .value_kind:     global_buffer
      - .address_space:  global
        .offset:         8
        .size:           8
        .value_kind:     global_buffer
      - .offset:         16
        .size:           4
        .value_kind:     hidden_block_count_x
      - .offset:         20
        .size:           4
        .value_kind:     hidden_block_count_y
      - .offset:         24
        .size:           4
        .value_kind:     hidden_block_count_z
      - .offset:         28
        .size:           2
        .value_kind:     hidden_group_size_x
      - .offset:         30
        .size:           2
        .value_kind:     hidden_group_size_y
      - .offset:         32
        .size:           2
        .value_kind:     hidden_group_size_z
      - .offset:         34
        .size:           2
        .value_kind:     hidden_remainder_x
      - .offset:         36
        .size:           2
        .value_kind:     hidden_remainder_y
      - .offset:         38
        .size:           2
        .value_kind:     hidden_remainder_z
      - .offset:         56
        .size:           8
        .value_kind:     hidden_global_offset_x
      - .offset:         64
        .size:           8
        .value_kind:     hidden_global_offset_y
      - .offset:         72
        .size:           8
        .value_kind:     hidden_global_offset_z
      - .offset:         80
        .size:           2
        .value_kind:     hidden_grid_dims
    .group_segment_fixed_size: 16384
    .kernarg_segment_align: 8
    .kernarg_segment_size: 272
    .language:       OpenCL C
    .language_version:
      - 2
      - 0
    .max_flat_workgroup_size: 256
    .name:           _Z16sort_keys_kernelI22helper_blocked_blockedN15benchmark_utils11custom_typeIiiEELj256ELj8ELj10EEvPKT0_PS4_
    .private_segment_fixed_size: 0
    .sgpr_count:     34
    .sgpr_spill_count: 0
    .symbol:         _Z16sort_keys_kernelI22helper_blocked_blockedN15benchmark_utils11custom_typeIiiEELj256ELj8ELj10EEvPKT0_PS4_.kd
    .uniform_work_group_size: 1
    .uses_dynamic_stack: false
    .vgpr_count:     60
    .vgpr_spill_count: 0
    .wavefront_size: 32
    .workgroup_processor_mode: 1
  - .args:
      - .address_space:  global
        .offset:         0
        .size:           8
        .value_kind:     global_buffer
      - .address_space:  global
        .offset:         8
        .size:           8
        .value_kind:     global_buffer
      - .offset:         16
        .size:           4
        .value_kind:     hidden_block_count_x
      - .offset:         20
        .size:           4
        .value_kind:     hidden_block_count_y
      - .offset:         24
        .size:           4
        .value_kind:     hidden_block_count_z
      - .offset:         28
        .size:           2
        .value_kind:     hidden_group_size_x
      - .offset:         30
        .size:           2
        .value_kind:     hidden_group_size_y
      - .offset:         32
        .size:           2
        .value_kind:     hidden_group_size_z
      - .offset:         34
        .size:           2
        .value_kind:     hidden_remainder_x
      - .offset:         36
        .size:           2
        .value_kind:     hidden_remainder_y
      - .offset:         38
        .size:           2
        .value_kind:     hidden_remainder_z
      - .offset:         56
        .size:           8
        .value_kind:     hidden_global_offset_x
      - .offset:         64
        .size:           8
        .value_kind:     hidden_global_offset_y
      - .offset:         72
        .size:           8
        .value_kind:     hidden_global_offset_z
      - .offset:         80
        .size:           2
        .value_kind:     hidden_grid_dims
    .group_segment_fixed_size: 16384
    .kernarg_segment_align: 8
    .kernarg_segment_size: 272
    .language:       OpenCL C
    .language_version:
      - 2
      - 0
    .max_flat_workgroup_size: 256
    .name:           _Z17sort_pairs_kernelI22helper_blocked_blockedN15benchmark_utils11custom_typeIiiEELj256ELj8ELj10EEvPKT0_PS4_
    .private_segment_fixed_size: 0
    .sgpr_count:     34
    .sgpr_spill_count: 0
    .symbol:         _Z17sort_pairs_kernelI22helper_blocked_blockedN15benchmark_utils11custom_typeIiiEELj256ELj8ELj10EEvPKT0_PS4_.kd
    .uniform_work_group_size: 1
    .uses_dynamic_stack: false
    .vgpr_count:     83
    .vgpr_spill_count: 0
    .wavefront_size: 32
    .workgroup_processor_mode: 1
  - .args:
      - .address_space:  global
        .offset:         0
        .size:           8
        .value_kind:     global_buffer
      - .address_space:  global
        .offset:         8
        .size:           8
        .value_kind:     global_buffer
      - .offset:         16
        .size:           4
        .value_kind:     hidden_block_count_x
      - .offset:         20
        .size:           4
        .value_kind:     hidden_block_count_y
      - .offset:         24
        .size:           4
        .value_kind:     hidden_block_count_z
      - .offset:         28
        .size:           2
        .value_kind:     hidden_group_size_x
      - .offset:         30
        .size:           2
        .value_kind:     hidden_group_size_y
      - .offset:         32
        .size:           2
        .value_kind:     hidden_group_size_z
      - .offset:         34
        .size:           2
        .value_kind:     hidden_remainder_x
      - .offset:         36
        .size:           2
        .value_kind:     hidden_remainder_y
      - .offset:         38
        .size:           2
        .value_kind:     hidden_remainder_z
      - .offset:         56
        .size:           8
        .value_kind:     hidden_global_offset_x
      - .offset:         64
        .size:           8
        .value_kind:     hidden_global_offset_y
      - .offset:         72
        .size:           8
        .value_kind:     hidden_global_offset_z
      - .offset:         80
        .size:           2
        .value_kind:     hidden_grid_dims
    .group_segment_fixed_size: 10288
    .kernarg_segment_align: 8
    .kernarg_segment_size: 272
    .language:       OpenCL C
    .language_version:
      - 2
      - 0
    .max_flat_workgroup_size: 320
    .name:           _Z16sort_keys_kernelI22helper_blocked_blockedN15benchmark_utils11custom_typeIiiEELj320ELj1ELj10EEvPKT0_PS4_
    .private_segment_fixed_size: 0
    .sgpr_count:     24
    .sgpr_spill_count: 0
    .symbol:         _Z16sort_keys_kernelI22helper_blocked_blockedN15benchmark_utils11custom_typeIiiEELj320ELj1ELj10EEvPKT0_PS4_.kd
    .uniform_work_group_size: 1
    .uses_dynamic_stack: false
    .vgpr_count:     28
    .vgpr_spill_count: 0
    .wavefront_size: 32
    .workgroup_processor_mode: 1
  - .args:
      - .address_space:  global
        .offset:         0
        .size:           8
        .value_kind:     global_buffer
      - .address_space:  global
        .offset:         8
        .size:           8
        .value_kind:     global_buffer
      - .offset:         16
        .size:           4
        .value_kind:     hidden_block_count_x
      - .offset:         20
        .size:           4
        .value_kind:     hidden_block_count_y
      - .offset:         24
        .size:           4
        .value_kind:     hidden_block_count_z
      - .offset:         28
        .size:           2
        .value_kind:     hidden_group_size_x
      - .offset:         30
        .size:           2
        .value_kind:     hidden_group_size_y
      - .offset:         32
        .size:           2
        .value_kind:     hidden_group_size_z
      - .offset:         34
        .size:           2
        .value_kind:     hidden_remainder_x
      - .offset:         36
        .size:           2
        .value_kind:     hidden_remainder_y
      - .offset:         38
        .size:           2
        .value_kind:     hidden_remainder_z
      - .offset:         56
        .size:           8
        .value_kind:     hidden_global_offset_x
      - .offset:         64
        .size:           8
        .value_kind:     hidden_global_offset_y
      - .offset:         72
        .size:           8
        .value_kind:     hidden_global_offset_z
      - .offset:         80
        .size:           2
        .value_kind:     hidden_grid_dims
    .group_segment_fixed_size: 10288
    .kernarg_segment_align: 8
    .kernarg_segment_size: 272
    .language:       OpenCL C
    .language_version:
      - 2
      - 0
    .max_flat_workgroup_size: 320
    .name:           _Z17sort_pairs_kernelI22helper_blocked_blockedN15benchmark_utils11custom_typeIiiEELj320ELj1ELj10EEvPKT0_PS4_
    .private_segment_fixed_size: 0
    .sgpr_count:     24
    .sgpr_spill_count: 0
    .symbol:         _Z17sort_pairs_kernelI22helper_blocked_blockedN15benchmark_utils11custom_typeIiiEELj320ELj1ELj10EEvPKT0_PS4_.kd
    .uniform_work_group_size: 1
    .uses_dynamic_stack: false
    .vgpr_count:     30
    .vgpr_spill_count: 0
    .wavefront_size: 32
    .workgroup_processor_mode: 1
  - .args:
      - .address_space:  global
        .offset:         0
        .size:           8
        .value_kind:     global_buffer
      - .address_space:  global
        .offset:         8
        .size:           8
        .value_kind:     global_buffer
      - .offset:         16
        .size:           4
        .value_kind:     hidden_block_count_x
      - .offset:         20
        .size:           4
        .value_kind:     hidden_block_count_y
      - .offset:         24
        .size:           4
        .value_kind:     hidden_block_count_z
      - .offset:         28
        .size:           2
        .value_kind:     hidden_group_size_x
      - .offset:         30
        .size:           2
        .value_kind:     hidden_group_size_y
      - .offset:         32
        .size:           2
        .value_kind:     hidden_group_size_z
      - .offset:         34
        .size:           2
        .value_kind:     hidden_remainder_x
      - .offset:         36
        .size:           2
        .value_kind:     hidden_remainder_y
      - .offset:         38
        .size:           2
        .value_kind:     hidden_remainder_z
      - .offset:         56
        .size:           8
        .value_kind:     hidden_global_offset_x
      - .offset:         64
        .size:           8
        .value_kind:     hidden_global_offset_y
      - .offset:         72
        .size:           8
        .value_kind:     hidden_global_offset_z
      - .offset:         80
        .size:           2
        .value_kind:     hidden_grid_dims
    .group_segment_fixed_size: 10288
    .kernarg_segment_align: 8
    .kernarg_segment_size: 272
    .language:       OpenCL C
    .language_version:
      - 2
      - 0
    .max_flat_workgroup_size: 320
    .name:           _Z16sort_keys_kernelI22helper_blocked_blockedN15benchmark_utils11custom_typeIiiEELj320ELj3ELj10EEvPKT0_PS4_
    .private_segment_fixed_size: 0
    .sgpr_count:     27
    .sgpr_spill_count: 0
    .symbol:         _Z16sort_keys_kernelI22helper_blocked_blockedN15benchmark_utils11custom_typeIiiEELj320ELj3ELj10EEvPKT0_PS4_.kd
    .uniform_work_group_size: 1
    .uses_dynamic_stack: false
    .vgpr_count:     40
    .vgpr_spill_count: 0
    .wavefront_size: 32
    .workgroup_processor_mode: 1
  - .args:
      - .address_space:  global
        .offset:         0
        .size:           8
        .value_kind:     global_buffer
      - .address_space:  global
        .offset:         8
        .size:           8
        .value_kind:     global_buffer
      - .offset:         16
        .size:           4
        .value_kind:     hidden_block_count_x
      - .offset:         20
        .size:           4
        .value_kind:     hidden_block_count_y
      - .offset:         24
        .size:           4
        .value_kind:     hidden_block_count_z
      - .offset:         28
        .size:           2
        .value_kind:     hidden_group_size_x
      - .offset:         30
        .size:           2
        .value_kind:     hidden_group_size_y
      - .offset:         32
        .size:           2
        .value_kind:     hidden_group_size_z
      - .offset:         34
        .size:           2
        .value_kind:     hidden_remainder_x
      - .offset:         36
        .size:           2
        .value_kind:     hidden_remainder_y
      - .offset:         38
        .size:           2
        .value_kind:     hidden_remainder_z
      - .offset:         56
        .size:           8
        .value_kind:     hidden_global_offset_x
      - .offset:         64
        .size:           8
        .value_kind:     hidden_global_offset_y
      - .offset:         72
        .size:           8
        .value_kind:     hidden_global_offset_z
      - .offset:         80
        .size:           2
        .value_kind:     hidden_grid_dims
    .group_segment_fixed_size: 10288
    .kernarg_segment_align: 8
    .kernarg_segment_size: 272
    .language:       OpenCL C
    .language_version:
      - 2
      - 0
    .max_flat_workgroup_size: 320
    .name:           _Z17sort_pairs_kernelI22helper_blocked_blockedN15benchmark_utils11custom_typeIiiEELj320ELj3ELj10EEvPKT0_PS4_
    .private_segment_fixed_size: 0
    .sgpr_count:     27
    .sgpr_spill_count: 0
    .symbol:         _Z17sort_pairs_kernelI22helper_blocked_blockedN15benchmark_utils11custom_typeIiiEELj320ELj3ELj10EEvPKT0_PS4_.kd
    .uniform_work_group_size: 1
    .uses_dynamic_stack: false
    .vgpr_count:     46
    .vgpr_spill_count: 0
    .wavefront_size: 32
    .workgroup_processor_mode: 1
  - .args:
      - .address_space:  global
        .offset:         0
        .size:           8
        .value_kind:     global_buffer
      - .address_space:  global
        .offset:         8
        .size:           8
        .value_kind:     global_buffer
      - .offset:         16
        .size:           4
        .value_kind:     hidden_block_count_x
      - .offset:         20
        .size:           4
        .value_kind:     hidden_block_count_y
      - .offset:         24
        .size:           4
        .value_kind:     hidden_block_count_z
      - .offset:         28
        .size:           2
        .value_kind:     hidden_group_size_x
      - .offset:         30
        .size:           2
        .value_kind:     hidden_group_size_y
      - .offset:         32
        .size:           2
        .value_kind:     hidden_group_size_z
      - .offset:         34
        .size:           2
        .value_kind:     hidden_remainder_x
      - .offset:         36
        .size:           2
        .value_kind:     hidden_remainder_y
      - .offset:         38
        .size:           2
        .value_kind:     hidden_remainder_z
      - .offset:         56
        .size:           8
        .value_kind:     hidden_global_offset_x
      - .offset:         64
        .size:           8
        .value_kind:     hidden_global_offset_y
      - .offset:         72
        .size:           8
        .value_kind:     hidden_global_offset_z
      - .offset:         80
        .size:           2
        .value_kind:     hidden_grid_dims
    .group_segment_fixed_size: 10560
    .kernarg_segment_align: 8
    .kernarg_segment_size: 272
    .language:       OpenCL C
    .language_version:
      - 2
      - 0
    .max_flat_workgroup_size: 320
    .name:           _Z16sort_keys_kernelI22helper_blocked_blockedN15benchmark_utils11custom_typeIiiEELj320ELj4ELj10EEvPKT0_PS4_
    .private_segment_fixed_size: 0
    .sgpr_count:     31
    .sgpr_spill_count: 0
    .symbol:         _Z16sort_keys_kernelI22helper_blocked_blockedN15benchmark_utils11custom_typeIiiEELj320ELj4ELj10EEvPKT0_PS4_.kd
    .uniform_work_group_size: 1
    .uses_dynamic_stack: false
    .vgpr_count:     50
    .vgpr_spill_count: 0
    .wavefront_size: 32
    .workgroup_processor_mode: 1
  - .args:
      - .address_space:  global
        .offset:         0
        .size:           8
        .value_kind:     global_buffer
      - .address_space:  global
        .offset:         8
        .size:           8
        .value_kind:     global_buffer
      - .offset:         16
        .size:           4
        .value_kind:     hidden_block_count_x
      - .offset:         20
        .size:           4
        .value_kind:     hidden_block_count_y
      - .offset:         24
        .size:           4
        .value_kind:     hidden_block_count_z
      - .offset:         28
        .size:           2
        .value_kind:     hidden_group_size_x
      - .offset:         30
        .size:           2
        .value_kind:     hidden_group_size_y
      - .offset:         32
        .size:           2
        .value_kind:     hidden_group_size_z
      - .offset:         34
        .size:           2
        .value_kind:     hidden_remainder_x
      - .offset:         36
        .size:           2
        .value_kind:     hidden_remainder_y
      - .offset:         38
        .size:           2
        .value_kind:     hidden_remainder_z
      - .offset:         56
        .size:           8
        .value_kind:     hidden_global_offset_x
      - .offset:         64
        .size:           8
        .value_kind:     hidden_global_offset_y
      - .offset:         72
        .size:           8
        .value_kind:     hidden_global_offset_z
      - .offset:         80
        .size:           2
        .value_kind:     hidden_grid_dims
    .group_segment_fixed_size: 10560
    .kernarg_segment_align: 8
    .kernarg_segment_size: 272
    .language:       OpenCL C
    .language_version:
      - 2
      - 0
    .max_flat_workgroup_size: 320
    .name:           _Z17sort_pairs_kernelI22helper_blocked_blockedN15benchmark_utils11custom_typeIiiEELj320ELj4ELj10EEvPKT0_PS4_
    .private_segment_fixed_size: 0
    .sgpr_count:     36
    .sgpr_spill_count: 0
    .symbol:         _Z17sort_pairs_kernelI22helper_blocked_blockedN15benchmark_utils11custom_typeIiiEELj320ELj4ELj10EEvPKT0_PS4_.kd
    .uniform_work_group_size: 1
    .uses_dynamic_stack: false
    .vgpr_count:     56
    .vgpr_spill_count: 0
    .wavefront_size: 32
    .workgroup_processor_mode: 1
  - .args:
      - .address_space:  global
        .offset:         0
        .size:           8
        .value_kind:     global_buffer
      - .address_space:  global
        .offset:         8
        .size:           8
        .value_kind:     global_buffer
      - .offset:         16
        .size:           4
        .value_kind:     hidden_block_count_x
      - .offset:         20
        .size:           4
        .value_kind:     hidden_block_count_y
      - .offset:         24
        .size:           4
        .value_kind:     hidden_block_count_z
      - .offset:         28
        .size:           2
        .value_kind:     hidden_group_size_x
      - .offset:         30
        .size:           2
        .value_kind:     hidden_group_size_y
      - .offset:         32
        .size:           2
        .value_kind:     hidden_group_size_z
      - .offset:         34
        .size:           2
        .value_kind:     hidden_remainder_x
      - .offset:         36
        .size:           2
        .value_kind:     hidden_remainder_y
      - .offset:         38
        .size:           2
        .value_kind:     hidden_remainder_z
      - .offset:         56
        .size:           8
        .value_kind:     hidden_global_offset_x
      - .offset:         64
        .size:           8
        .value_kind:     hidden_global_offset_y
      - .offset:         72
        .size:           8
        .value_kind:     hidden_global_offset_z
      - .offset:         80
        .size:           2
        .value_kind:     hidden_grid_dims
    .group_segment_fixed_size: 21120
    .kernarg_segment_align: 8
    .kernarg_segment_size: 272
    .language:       OpenCL C
    .language_version:
      - 2
      - 0
    .max_flat_workgroup_size: 320
    .name:           _Z16sort_keys_kernelI22helper_blocked_blockedN15benchmark_utils11custom_typeIiiEELj320ELj8ELj10EEvPKT0_PS4_
    .private_segment_fixed_size: 0
    .sgpr_count:     31
    .sgpr_spill_count: 0
    .symbol:         _Z16sort_keys_kernelI22helper_blocked_blockedN15benchmark_utils11custom_typeIiiEELj320ELj8ELj10EEvPKT0_PS4_.kd
    .uniform_work_group_size: 1
    .uses_dynamic_stack: false
    .vgpr_count:     67
    .vgpr_spill_count: 0
    .wavefront_size: 32
    .workgroup_processor_mode: 1
  - .args:
      - .address_space:  global
        .offset:         0
        .size:           8
        .value_kind:     global_buffer
      - .address_space:  global
        .offset:         8
        .size:           8
        .value_kind:     global_buffer
      - .offset:         16
        .size:           4
        .value_kind:     hidden_block_count_x
      - .offset:         20
        .size:           4
        .value_kind:     hidden_block_count_y
      - .offset:         24
        .size:           4
        .value_kind:     hidden_block_count_z
      - .offset:         28
        .size:           2
        .value_kind:     hidden_group_size_x
      - .offset:         30
        .size:           2
        .value_kind:     hidden_group_size_y
      - .offset:         32
        .size:           2
        .value_kind:     hidden_group_size_z
      - .offset:         34
        .size:           2
        .value_kind:     hidden_remainder_x
      - .offset:         36
        .size:           2
        .value_kind:     hidden_remainder_y
      - .offset:         38
        .size:           2
        .value_kind:     hidden_remainder_z
      - .offset:         56
        .size:           8
        .value_kind:     hidden_global_offset_x
      - .offset:         64
        .size:           8
        .value_kind:     hidden_global_offset_y
      - .offset:         72
        .size:           8
        .value_kind:     hidden_global_offset_z
      - .offset:         80
        .size:           2
        .value_kind:     hidden_grid_dims
    .group_segment_fixed_size: 21120
    .kernarg_segment_align: 8
    .kernarg_segment_size: 272
    .language:       OpenCL C
    .language_version:
      - 2
      - 0
    .max_flat_workgroup_size: 320
    .name:           _Z17sort_pairs_kernelI22helper_blocked_blockedN15benchmark_utils11custom_typeIiiEELj320ELj8ELj10EEvPKT0_PS4_
    .private_segment_fixed_size: 0
    .sgpr_count:     31
    .sgpr_spill_count: 0
    .symbol:         _Z17sort_pairs_kernelI22helper_blocked_blockedN15benchmark_utils11custom_typeIiiEELj320ELj8ELj10EEvPKT0_PS4_.kd
    .uniform_work_group_size: 1
    .uses_dynamic_stack: false
    .vgpr_count:     90
    .vgpr_spill_count: 0
    .wavefront_size: 32
    .workgroup_processor_mode: 1
  - .args:
      - .address_space:  global
        .offset:         0
        .size:           8
        .value_kind:     global_buffer
      - .address_space:  global
        .offset:         8
        .size:           8
        .value_kind:     global_buffer
      - .offset:         16
        .size:           4
        .value_kind:     hidden_block_count_x
      - .offset:         20
        .size:           4
        .value_kind:     hidden_block_count_y
      - .offset:         24
        .size:           4
        .value_kind:     hidden_block_count_z
      - .offset:         28
        .size:           2
        .value_kind:     hidden_group_size_x
      - .offset:         30
        .size:           2
        .value_kind:     hidden_group_size_y
      - .offset:         32
        .size:           2
        .value_kind:     hidden_group_size_z
      - .offset:         34
        .size:           2
        .value_kind:     hidden_remainder_x
      - .offset:         36
        .size:           2
        .value_kind:     hidden_remainder_y
      - .offset:         38
        .size:           2
        .value_kind:     hidden_remainder_z
      - .offset:         56
        .size:           8
        .value_kind:     hidden_global_offset_x
      - .offset:         64
        .size:           8
        .value_kind:     hidden_global_offset_y
      - .offset:         72
        .size:           8
        .value_kind:     hidden_global_offset_z
      - .offset:         80
        .size:           2
        .value_kind:     hidden_grid_dims
    .group_segment_fixed_size: 16448
    .kernarg_segment_align: 8
    .kernarg_segment_size: 272
    .language:       OpenCL C
    .language_version:
      - 2
      - 0
    .max_flat_workgroup_size: 512
    .name:           _Z16sort_keys_kernelI22helper_blocked_blockedN15benchmark_utils11custom_typeIiiEELj512ELj1ELj10EEvPKT0_PS4_
    .private_segment_fixed_size: 0
    .sgpr_count:     24
    .sgpr_spill_count: 0
    .symbol:         _Z16sort_keys_kernelI22helper_blocked_blockedN15benchmark_utils11custom_typeIiiEELj512ELj1ELj10EEvPKT0_PS4_.kd
    .uniform_work_group_size: 1
    .uses_dynamic_stack: false
    .vgpr_count:     28
    .vgpr_spill_count: 0
    .wavefront_size: 32
    .workgroup_processor_mode: 1
  - .args:
      - .address_space:  global
        .offset:         0
        .size:           8
        .value_kind:     global_buffer
      - .address_space:  global
        .offset:         8
        .size:           8
        .value_kind:     global_buffer
      - .offset:         16
        .size:           4
        .value_kind:     hidden_block_count_x
      - .offset:         20
        .size:           4
        .value_kind:     hidden_block_count_y
      - .offset:         24
        .size:           4
        .value_kind:     hidden_block_count_z
      - .offset:         28
        .size:           2
        .value_kind:     hidden_group_size_x
      - .offset:         30
        .size:           2
        .value_kind:     hidden_group_size_y
      - .offset:         32
        .size:           2
        .value_kind:     hidden_group_size_z
      - .offset:         34
        .size:           2
        .value_kind:     hidden_remainder_x
      - .offset:         36
        .size:           2
        .value_kind:     hidden_remainder_y
      - .offset:         38
        .size:           2
        .value_kind:     hidden_remainder_z
      - .offset:         56
        .size:           8
        .value_kind:     hidden_global_offset_x
      - .offset:         64
        .size:           8
        .value_kind:     hidden_global_offset_y
      - .offset:         72
        .size:           8
        .value_kind:     hidden_global_offset_z
      - .offset:         80
        .size:           2
        .value_kind:     hidden_grid_dims
    .group_segment_fixed_size: 16448
    .kernarg_segment_align: 8
    .kernarg_segment_size: 272
    .language:       OpenCL C
    .language_version:
      - 2
      - 0
    .max_flat_workgroup_size: 512
    .name:           _Z17sort_pairs_kernelI22helper_blocked_blockedN15benchmark_utils11custom_typeIiiEELj512ELj1ELj10EEvPKT0_PS4_
    .private_segment_fixed_size: 0
    .sgpr_count:     24
    .sgpr_spill_count: 0
    .symbol:         _Z17sort_pairs_kernelI22helper_blocked_blockedN15benchmark_utils11custom_typeIiiEELj512ELj1ELj10EEvPKT0_PS4_.kd
    .uniform_work_group_size: 1
    .uses_dynamic_stack: false
    .vgpr_count:     30
    .vgpr_spill_count: 0
    .wavefront_size: 32
    .workgroup_processor_mode: 1
  - .args:
      - .address_space:  global
        .offset:         0
        .size:           8
        .value_kind:     global_buffer
      - .address_space:  global
        .offset:         8
        .size:           8
        .value_kind:     global_buffer
      - .offset:         16
        .size:           4
        .value_kind:     hidden_block_count_x
      - .offset:         20
        .size:           4
        .value_kind:     hidden_block_count_y
      - .offset:         24
        .size:           4
        .value_kind:     hidden_block_count_z
      - .offset:         28
        .size:           2
        .value_kind:     hidden_group_size_x
      - .offset:         30
        .size:           2
        .value_kind:     hidden_group_size_y
      - .offset:         32
        .size:           2
        .value_kind:     hidden_group_size_z
      - .offset:         34
        .size:           2
        .value_kind:     hidden_remainder_x
      - .offset:         36
        .size:           2
        .value_kind:     hidden_remainder_y
      - .offset:         38
        .size:           2
        .value_kind:     hidden_remainder_z
      - .offset:         56
        .size:           8
        .value_kind:     hidden_global_offset_x
      - .offset:         64
        .size:           8
        .value_kind:     hidden_global_offset_y
      - .offset:         72
        .size:           8
        .value_kind:     hidden_global_offset_z
      - .offset:         80
        .size:           2
        .value_kind:     hidden_grid_dims
    .group_segment_fixed_size: 16448
    .kernarg_segment_align: 8
    .kernarg_segment_size: 272
    .language:       OpenCL C
    .language_version:
      - 2
      - 0
    .max_flat_workgroup_size: 512
    .name:           _Z16sort_keys_kernelI22helper_blocked_blockedN15benchmark_utils11custom_typeIiiEELj512ELj3ELj10EEvPKT0_PS4_
    .private_segment_fixed_size: 0
    .sgpr_count:     27
    .sgpr_spill_count: 0
    .symbol:         _Z16sort_keys_kernelI22helper_blocked_blockedN15benchmark_utils11custom_typeIiiEELj512ELj3ELj10EEvPKT0_PS4_.kd
    .uniform_work_group_size: 1
    .uses_dynamic_stack: false
    .vgpr_count:     40
    .vgpr_spill_count: 0
    .wavefront_size: 32
    .workgroup_processor_mode: 1
  - .args:
      - .address_space:  global
        .offset:         0
        .size:           8
        .value_kind:     global_buffer
      - .address_space:  global
        .offset:         8
        .size:           8
        .value_kind:     global_buffer
      - .offset:         16
        .size:           4
        .value_kind:     hidden_block_count_x
      - .offset:         20
        .size:           4
        .value_kind:     hidden_block_count_y
      - .offset:         24
        .size:           4
        .value_kind:     hidden_block_count_z
      - .offset:         28
        .size:           2
        .value_kind:     hidden_group_size_x
      - .offset:         30
        .size:           2
        .value_kind:     hidden_group_size_y
      - .offset:         32
        .size:           2
        .value_kind:     hidden_group_size_z
      - .offset:         34
        .size:           2
        .value_kind:     hidden_remainder_x
      - .offset:         36
        .size:           2
        .value_kind:     hidden_remainder_y
      - .offset:         38
        .size:           2
        .value_kind:     hidden_remainder_z
      - .offset:         56
        .size:           8
        .value_kind:     hidden_global_offset_x
      - .offset:         64
        .size:           8
        .value_kind:     hidden_global_offset_y
      - .offset:         72
        .size:           8
        .value_kind:     hidden_global_offset_z
      - .offset:         80
        .size:           2
        .value_kind:     hidden_grid_dims
    .group_segment_fixed_size: 16448
    .kernarg_segment_align: 8
    .kernarg_segment_size: 272
    .language:       OpenCL C
    .language_version:
      - 2
      - 0
    .max_flat_workgroup_size: 512
    .name:           _Z17sort_pairs_kernelI22helper_blocked_blockedN15benchmark_utils11custom_typeIiiEELj512ELj3ELj10EEvPKT0_PS4_
    .private_segment_fixed_size: 0
    .sgpr_count:     29
    .sgpr_spill_count: 0
    .symbol:         _Z17sort_pairs_kernelI22helper_blocked_blockedN15benchmark_utils11custom_typeIiiEELj512ELj3ELj10EEvPKT0_PS4_.kd
    .uniform_work_group_size: 1
    .uses_dynamic_stack: false
    .vgpr_count:     44
    .vgpr_spill_count: 0
    .wavefront_size: 32
    .workgroup_processor_mode: 1
  - .args:
      - .address_space:  global
        .offset:         0
        .size:           8
        .value_kind:     global_buffer
      - .address_space:  global
        .offset:         8
        .size:           8
        .value_kind:     global_buffer
      - .offset:         16
        .size:           4
        .value_kind:     hidden_block_count_x
      - .offset:         20
        .size:           4
        .value_kind:     hidden_block_count_y
      - .offset:         24
        .size:           4
        .value_kind:     hidden_block_count_z
      - .offset:         28
        .size:           2
        .value_kind:     hidden_group_size_x
      - .offset:         30
        .size:           2
        .value_kind:     hidden_group_size_y
      - .offset:         32
        .size:           2
        .value_kind:     hidden_group_size_z
      - .offset:         34
        .size:           2
        .value_kind:     hidden_remainder_x
      - .offset:         36
        .size:           2
        .value_kind:     hidden_remainder_y
      - .offset:         38
        .size:           2
        .value_kind:     hidden_remainder_z
      - .offset:         56
        .size:           8
        .value_kind:     hidden_global_offset_x
      - .offset:         64
        .size:           8
        .value_kind:     hidden_global_offset_y
      - .offset:         72
        .size:           8
        .value_kind:     hidden_global_offset_z
      - .offset:         80
        .size:           2
        .value_kind:     hidden_grid_dims
    .group_segment_fixed_size: 16448
    .kernarg_segment_align: 8
    .kernarg_segment_size: 272
    .language:       OpenCL C
    .language_version:
      - 2
      - 0
    .max_flat_workgroup_size: 512
    .name:           _Z16sort_keys_kernelI22helper_blocked_blockedN15benchmark_utils11custom_typeIiiEELj512ELj4ELj10EEvPKT0_PS4_
    .private_segment_fixed_size: 0
    .sgpr_count:     31
    .sgpr_spill_count: 0
    .symbol:         _Z16sort_keys_kernelI22helper_blocked_blockedN15benchmark_utils11custom_typeIiiEELj512ELj4ELj10EEvPKT0_PS4_.kd
    .uniform_work_group_size: 1
    .uses_dynamic_stack: false
    .vgpr_count:     47
    .vgpr_spill_count: 0
    .wavefront_size: 32
    .workgroup_processor_mode: 1
  - .args:
      - .address_space:  global
        .offset:         0
        .size:           8
        .value_kind:     global_buffer
      - .address_space:  global
        .offset:         8
        .size:           8
        .value_kind:     global_buffer
      - .offset:         16
        .size:           4
        .value_kind:     hidden_block_count_x
      - .offset:         20
        .size:           4
        .value_kind:     hidden_block_count_y
      - .offset:         24
        .size:           4
        .value_kind:     hidden_block_count_z
      - .offset:         28
        .size:           2
        .value_kind:     hidden_group_size_x
      - .offset:         30
        .size:           2
        .value_kind:     hidden_group_size_y
      - .offset:         32
        .size:           2
        .value_kind:     hidden_group_size_z
      - .offset:         34
        .size:           2
        .value_kind:     hidden_remainder_x
      - .offset:         36
        .size:           2
        .value_kind:     hidden_remainder_y
      - .offset:         38
        .size:           2
        .value_kind:     hidden_remainder_z
      - .offset:         56
        .size:           8
        .value_kind:     hidden_global_offset_x
      - .offset:         64
        .size:           8
        .value_kind:     hidden_global_offset_y
      - .offset:         72
        .size:           8
        .value_kind:     hidden_global_offset_z
      - .offset:         80
        .size:           2
        .value_kind:     hidden_grid_dims
    .group_segment_fixed_size: 16448
    .kernarg_segment_align: 8
    .kernarg_segment_size: 272
    .language:       OpenCL C
    .language_version:
      - 2
      - 0
    .max_flat_workgroup_size: 512
    .name:           _Z17sort_pairs_kernelI22helper_blocked_blockedN15benchmark_utils11custom_typeIiiEELj512ELj4ELj10EEvPKT0_PS4_
    .private_segment_fixed_size: 0
    .sgpr_count:     36
    .sgpr_spill_count: 0
    .symbol:         _Z17sort_pairs_kernelI22helper_blocked_blockedN15benchmark_utils11custom_typeIiiEELj512ELj4ELj10EEvPKT0_PS4_.kd
    .uniform_work_group_size: 1
    .uses_dynamic_stack: false
    .vgpr_count:     52
    .vgpr_spill_count: 0
    .wavefront_size: 32
    .workgroup_processor_mode: 1
  - .args:
      - .address_space:  global
        .offset:         0
        .size:           8
        .value_kind:     global_buffer
      - .address_space:  global
        .offset:         8
        .size:           8
        .value_kind:     global_buffer
      - .offset:         16
        .size:           4
        .value_kind:     hidden_block_count_x
      - .offset:         20
        .size:           4
        .value_kind:     hidden_block_count_y
      - .offset:         24
        .size:           4
        .value_kind:     hidden_block_count_z
      - .offset:         28
        .size:           2
        .value_kind:     hidden_group_size_x
      - .offset:         30
        .size:           2
        .value_kind:     hidden_group_size_y
      - .offset:         32
        .size:           2
        .value_kind:     hidden_group_size_z
      - .offset:         34
        .size:           2
        .value_kind:     hidden_remainder_x
      - .offset:         36
        .size:           2
        .value_kind:     hidden_remainder_y
      - .offset:         38
        .size:           2
        .value_kind:     hidden_remainder_z
      - .offset:         56
        .size:           8
        .value_kind:     hidden_global_offset_x
      - .offset:         64
        .size:           8
        .value_kind:     hidden_global_offset_y
      - .offset:         72
        .size:           8
        .value_kind:     hidden_global_offset_z
      - .offset:         80
        .size:           2
        .value_kind:     hidden_grid_dims
    .group_segment_fixed_size: 32768
    .kernarg_segment_align: 8
    .kernarg_segment_size: 272
    .language:       OpenCL C
    .language_version:
      - 2
      - 0
    .max_flat_workgroup_size: 512
    .name:           _Z16sort_keys_kernelI22helper_blocked_blockedN15benchmark_utils11custom_typeIiiEELj512ELj8ELj10EEvPKT0_PS4_
    .private_segment_fixed_size: 0
    .sgpr_count:     31
    .sgpr_spill_count: 0
    .symbol:         _Z16sort_keys_kernelI22helper_blocked_blockedN15benchmark_utils11custom_typeIiiEELj512ELj8ELj10EEvPKT0_PS4_.kd
    .uniform_work_group_size: 1
    .uses_dynamic_stack: false
    .vgpr_count:     60
    .vgpr_spill_count: 0
    .wavefront_size: 32
    .workgroup_processor_mode: 1
  - .args:
      - .address_space:  global
        .offset:         0
        .size:           8
        .value_kind:     global_buffer
      - .address_space:  global
        .offset:         8
        .size:           8
        .value_kind:     global_buffer
      - .offset:         16
        .size:           4
        .value_kind:     hidden_block_count_x
      - .offset:         20
        .size:           4
        .value_kind:     hidden_block_count_y
      - .offset:         24
        .size:           4
        .value_kind:     hidden_block_count_z
      - .offset:         28
        .size:           2
        .value_kind:     hidden_group_size_x
      - .offset:         30
        .size:           2
        .value_kind:     hidden_group_size_y
      - .offset:         32
        .size:           2
        .value_kind:     hidden_group_size_z
      - .offset:         34
        .size:           2
        .value_kind:     hidden_remainder_x
      - .offset:         36
        .size:           2
        .value_kind:     hidden_remainder_y
      - .offset:         38
        .size:           2
        .value_kind:     hidden_remainder_z
      - .offset:         56
        .size:           8
        .value_kind:     hidden_global_offset_x
      - .offset:         64
        .size:           8
        .value_kind:     hidden_global_offset_y
      - .offset:         72
        .size:           8
        .value_kind:     hidden_global_offset_z
      - .offset:         80
        .size:           2
        .value_kind:     hidden_grid_dims
    .group_segment_fixed_size: 32768
    .kernarg_segment_align: 8
    .kernarg_segment_size: 272
    .language:       OpenCL C
    .language_version:
      - 2
      - 0
    .max_flat_workgroup_size: 512
    .name:           _Z17sort_pairs_kernelI22helper_blocked_blockedN15benchmark_utils11custom_typeIiiEELj512ELj8ELj10EEvPKT0_PS4_
    .private_segment_fixed_size: 0
    .sgpr_count:     31
    .sgpr_spill_count: 0
    .symbol:         _Z17sort_pairs_kernelI22helper_blocked_blockedN15benchmark_utils11custom_typeIiiEELj512ELj8ELj10EEvPKT0_PS4_.kd
    .uniform_work_group_size: 1
    .uses_dynamic_stack: false
    .vgpr_count:     83
    .vgpr_spill_count: 0
    .wavefront_size: 32
    .workgroup_processor_mode: 1
  - .args:
      - .address_space:  global
        .offset:         0
        .size:           8
        .value_kind:     global_buffer
      - .address_space:  global
        .offset:         8
        .size:           8
        .value_kind:     global_buffer
      - .offset:         16
        .size:           4
        .value_kind:     hidden_block_count_x
      - .offset:         20
        .size:           4
        .value_kind:     hidden_block_count_y
      - .offset:         24
        .size:           4
        .value_kind:     hidden_block_count_z
      - .offset:         28
        .size:           2
        .value_kind:     hidden_group_size_x
      - .offset:         30
        .size:           2
        .value_kind:     hidden_group_size_y
      - .offset:         32
        .size:           2
        .value_kind:     hidden_group_size_z
      - .offset:         34
        .size:           2
        .value_kind:     hidden_remainder_x
      - .offset:         36
        .size:           2
        .value_kind:     hidden_remainder_y
      - .offset:         38
        .size:           2
        .value_kind:     hidden_remainder_z
      - .offset:         56
        .size:           8
        .value_kind:     hidden_global_offset_x
      - .offset:         64
        .size:           8
        .value_kind:     hidden_global_offset_y
      - .offset:         72
        .size:           8
        .value_kind:     hidden_global_offset_z
      - .offset:         80
        .size:           2
        .value_kind:     hidden_grid_dims
    .group_segment_fixed_size: 2064
    .kernarg_segment_align: 8
    .kernarg_segment_size: 272
    .language:       OpenCL C
    .language_version:
      - 2
      - 0
    .max_flat_workgroup_size: 64
    .name:           _Z16sort_keys_kernelI22helper_blocked_stripediLj64ELj1ELj10EEvPKT0_PS1_
    .private_segment_fixed_size: 0
    .sgpr_count:     24
    .sgpr_spill_count: 0
    .symbol:         _Z16sort_keys_kernelI22helper_blocked_stripediLj64ELj1ELj10EEvPKT0_PS1_.kd
    .uniform_work_group_size: 1
    .uses_dynamic_stack: false
    .vgpr_count:     26
    .vgpr_spill_count: 0
    .wavefront_size: 32
    .workgroup_processor_mode: 1
  - .args:
      - .address_space:  global
        .offset:         0
        .size:           8
        .value_kind:     global_buffer
      - .address_space:  global
        .offset:         8
        .size:           8
        .value_kind:     global_buffer
      - .offset:         16
        .size:           4
        .value_kind:     hidden_block_count_x
      - .offset:         20
        .size:           4
        .value_kind:     hidden_block_count_y
      - .offset:         24
        .size:           4
        .value_kind:     hidden_block_count_z
      - .offset:         28
        .size:           2
        .value_kind:     hidden_group_size_x
      - .offset:         30
        .size:           2
        .value_kind:     hidden_group_size_y
      - .offset:         32
        .size:           2
        .value_kind:     hidden_group_size_z
      - .offset:         34
        .size:           2
        .value_kind:     hidden_remainder_x
      - .offset:         36
        .size:           2
        .value_kind:     hidden_remainder_y
      - .offset:         38
        .size:           2
        .value_kind:     hidden_remainder_z
      - .offset:         56
        .size:           8
        .value_kind:     hidden_global_offset_x
      - .offset:         64
        .size:           8
        .value_kind:     hidden_global_offset_y
      - .offset:         72
        .size:           8
        .value_kind:     hidden_global_offset_z
      - .offset:         80
        .size:           2
        .value_kind:     hidden_grid_dims
    .group_segment_fixed_size: 2064
    .kernarg_segment_align: 8
    .kernarg_segment_size: 272
    .language:       OpenCL C
    .language_version:
      - 2
      - 0
    .max_flat_workgroup_size: 64
    .name:           _Z17sort_pairs_kernelI22helper_blocked_stripediLj64ELj1ELj10EEvPKT0_PS1_
    .private_segment_fixed_size: 0
    .sgpr_count:     24
    .sgpr_spill_count: 0
    .symbol:         _Z17sort_pairs_kernelI22helper_blocked_stripediLj64ELj1ELj10EEvPKT0_PS1_.kd
    .uniform_work_group_size: 1
    .uses_dynamic_stack: false
    .vgpr_count:     27
    .vgpr_spill_count: 0
    .wavefront_size: 32
    .workgroup_processor_mode: 1
  - .args:
      - .address_space:  global
        .offset:         0
        .size:           8
        .value_kind:     global_buffer
      - .address_space:  global
        .offset:         8
        .size:           8
        .value_kind:     global_buffer
      - .offset:         16
        .size:           4
        .value_kind:     hidden_block_count_x
      - .offset:         20
        .size:           4
        .value_kind:     hidden_block_count_y
      - .offset:         24
        .size:           4
        .value_kind:     hidden_block_count_z
      - .offset:         28
        .size:           2
        .value_kind:     hidden_group_size_x
      - .offset:         30
        .size:           2
        .value_kind:     hidden_group_size_y
      - .offset:         32
        .size:           2
        .value_kind:     hidden_group_size_z
      - .offset:         34
        .size:           2
        .value_kind:     hidden_remainder_x
      - .offset:         36
        .size:           2
        .value_kind:     hidden_remainder_y
      - .offset:         38
        .size:           2
        .value_kind:     hidden_remainder_z
      - .offset:         56
        .size:           8
        .value_kind:     hidden_global_offset_x
      - .offset:         64
        .size:           8
        .value_kind:     hidden_global_offset_y
      - .offset:         72
        .size:           8
        .value_kind:     hidden_global_offset_z
      - .offset:         80
        .size:           2
        .value_kind:     hidden_grid_dims
    .group_segment_fixed_size: 2064
    .kernarg_segment_align: 8
    .kernarg_segment_size: 272
    .language:       OpenCL C
    .language_version:
      - 2
      - 0
    .max_flat_workgroup_size: 64
    .name:           _Z16sort_keys_kernelI22helper_blocked_stripediLj64ELj3ELj10EEvPKT0_PS1_
    .private_segment_fixed_size: 0
    .sgpr_count:     22
    .sgpr_spill_count: 0
    .symbol:         _Z16sort_keys_kernelI22helper_blocked_stripediLj64ELj3ELj10EEvPKT0_PS1_.kd
    .uniform_work_group_size: 1
    .uses_dynamic_stack: false
    .vgpr_count:     36
    .vgpr_spill_count: 0
    .wavefront_size: 32
    .workgroup_processor_mode: 1
  - .args:
      - .address_space:  global
        .offset:         0
        .size:           8
        .value_kind:     global_buffer
      - .address_space:  global
        .offset:         8
        .size:           8
        .value_kind:     global_buffer
      - .offset:         16
        .size:           4
        .value_kind:     hidden_block_count_x
      - .offset:         20
        .size:           4
        .value_kind:     hidden_block_count_y
      - .offset:         24
        .size:           4
        .value_kind:     hidden_block_count_z
      - .offset:         28
        .size:           2
        .value_kind:     hidden_group_size_x
      - .offset:         30
        .size:           2
        .value_kind:     hidden_group_size_y
      - .offset:         32
        .size:           2
        .value_kind:     hidden_group_size_z
      - .offset:         34
        .size:           2
        .value_kind:     hidden_remainder_x
      - .offset:         36
        .size:           2
        .value_kind:     hidden_remainder_y
      - .offset:         38
        .size:           2
        .value_kind:     hidden_remainder_z
      - .offset:         56
        .size:           8
        .value_kind:     hidden_global_offset_x
      - .offset:         64
        .size:           8
        .value_kind:     hidden_global_offset_y
      - .offset:         72
        .size:           8
        .value_kind:     hidden_global_offset_z
      - .offset:         80
        .size:           2
        .value_kind:     hidden_grid_dims
    .group_segment_fixed_size: 2064
    .kernarg_segment_align: 8
    .kernarg_segment_size: 272
    .language:       OpenCL C
    .language_version:
      - 2
      - 0
    .max_flat_workgroup_size: 64
    .name:           _Z17sort_pairs_kernelI22helper_blocked_stripediLj64ELj3ELj10EEvPKT0_PS1_
    .private_segment_fixed_size: 0
    .sgpr_count:     24
    .sgpr_spill_count: 0
    .symbol:         _Z17sort_pairs_kernelI22helper_blocked_stripediLj64ELj3ELj10EEvPKT0_PS1_.kd
    .uniform_work_group_size: 1
    .uses_dynamic_stack: false
    .vgpr_count:     40
    .vgpr_spill_count: 0
    .wavefront_size: 32
    .workgroup_processor_mode: 1
  - .args:
      - .address_space:  global
        .offset:         0
        .size:           8
        .value_kind:     global_buffer
      - .address_space:  global
        .offset:         8
        .size:           8
        .value_kind:     global_buffer
      - .offset:         16
        .size:           4
        .value_kind:     hidden_block_count_x
      - .offset:         20
        .size:           4
        .value_kind:     hidden_block_count_y
      - .offset:         24
        .size:           4
        .value_kind:     hidden_block_count_z
      - .offset:         28
        .size:           2
        .value_kind:     hidden_group_size_x
      - .offset:         30
        .size:           2
        .value_kind:     hidden_group_size_y
      - .offset:         32
        .size:           2
        .value_kind:     hidden_group_size_z
      - .offset:         34
        .size:           2
        .value_kind:     hidden_remainder_x
      - .offset:         36
        .size:           2
        .value_kind:     hidden_remainder_y
      - .offset:         38
        .size:           2
        .value_kind:     hidden_remainder_z
      - .offset:         56
        .size:           8
        .value_kind:     hidden_global_offset_x
      - .offset:         64
        .size:           8
        .value_kind:     hidden_global_offset_y
      - .offset:         72
        .size:           8
        .value_kind:     hidden_global_offset_z
      - .offset:         80
        .size:           2
        .value_kind:     hidden_grid_dims
    .group_segment_fixed_size: 2064
    .kernarg_segment_align: 8
    .kernarg_segment_size: 272
    .language:       OpenCL C
    .language_version:
      - 2
      - 0
    .max_flat_workgroup_size: 64
    .name:           _Z16sort_keys_kernelI22helper_blocked_stripediLj64ELj4ELj10EEvPKT0_PS1_
    .private_segment_fixed_size: 0
    .sgpr_count:     24
    .sgpr_spill_count: 0
    .symbol:         _Z16sort_keys_kernelI22helper_blocked_stripediLj64ELj4ELj10EEvPKT0_PS1_.kd
    .uniform_work_group_size: 1
    .uses_dynamic_stack: false
    .vgpr_count:     43
    .vgpr_spill_count: 0
    .wavefront_size: 32
    .workgroup_processor_mode: 1
  - .args:
      - .address_space:  global
        .offset:         0
        .size:           8
        .value_kind:     global_buffer
      - .address_space:  global
        .offset:         8
        .size:           8
        .value_kind:     global_buffer
      - .offset:         16
        .size:           4
        .value_kind:     hidden_block_count_x
      - .offset:         20
        .size:           4
        .value_kind:     hidden_block_count_y
      - .offset:         24
        .size:           4
        .value_kind:     hidden_block_count_z
      - .offset:         28
        .size:           2
        .value_kind:     hidden_group_size_x
      - .offset:         30
        .size:           2
        .value_kind:     hidden_group_size_y
      - .offset:         32
        .size:           2
        .value_kind:     hidden_group_size_z
      - .offset:         34
        .size:           2
        .value_kind:     hidden_remainder_x
      - .offset:         36
        .size:           2
        .value_kind:     hidden_remainder_y
      - .offset:         38
        .size:           2
        .value_kind:     hidden_remainder_z
      - .offset:         56
        .size:           8
        .value_kind:     hidden_global_offset_x
      - .offset:         64
        .size:           8
        .value_kind:     hidden_global_offset_y
      - .offset:         72
        .size:           8
        .value_kind:     hidden_global_offset_z
      - .offset:         80
        .size:           2
        .value_kind:     hidden_grid_dims
    .group_segment_fixed_size: 2064
    .kernarg_segment_align: 8
    .kernarg_segment_size: 272
    .language:       OpenCL C
    .language_version:
      - 2
      - 0
    .max_flat_workgroup_size: 64
    .name:           _Z17sort_pairs_kernelI22helper_blocked_stripediLj64ELj4ELj10EEvPKT0_PS1_
    .private_segment_fixed_size: 0
    .sgpr_count:     26
    .sgpr_spill_count: 0
    .symbol:         _Z17sort_pairs_kernelI22helper_blocked_stripediLj64ELj4ELj10EEvPKT0_PS1_.kd
    .uniform_work_group_size: 1
    .uses_dynamic_stack: false
    .vgpr_count:     47
    .vgpr_spill_count: 0
    .wavefront_size: 32
    .workgroup_processor_mode: 1
  - .args:
      - .address_space:  global
        .offset:         0
        .size:           8
        .value_kind:     global_buffer
      - .address_space:  global
        .offset:         8
        .size:           8
        .value_kind:     global_buffer
      - .offset:         16
        .size:           4
        .value_kind:     hidden_block_count_x
      - .offset:         20
        .size:           4
        .value_kind:     hidden_block_count_y
      - .offset:         24
        .size:           4
        .value_kind:     hidden_block_count_z
      - .offset:         28
        .size:           2
        .value_kind:     hidden_group_size_x
      - .offset:         30
        .size:           2
        .value_kind:     hidden_group_size_y
      - .offset:         32
        .size:           2
        .value_kind:     hidden_group_size_z
      - .offset:         34
        .size:           2
        .value_kind:     hidden_remainder_x
      - .offset:         36
        .size:           2
        .value_kind:     hidden_remainder_y
      - .offset:         38
        .size:           2
        .value_kind:     hidden_remainder_z
      - .offset:         56
        .size:           8
        .value_kind:     hidden_global_offset_x
      - .offset:         64
        .size:           8
        .value_kind:     hidden_global_offset_y
      - .offset:         72
        .size:           8
        .value_kind:     hidden_global_offset_z
      - .offset:         80
        .size:           2
        .value_kind:     hidden_grid_dims
    .group_segment_fixed_size: 2064
    .kernarg_segment_align: 8
    .kernarg_segment_size: 272
    .language:       OpenCL C
    .language_version:
      - 2
      - 0
    .max_flat_workgroup_size: 64
    .name:           _Z16sort_keys_kernelI22helper_blocked_stripediLj64ELj8ELj10EEvPKT0_PS1_
    .private_segment_fixed_size: 0
    .sgpr_count:     24
    .sgpr_spill_count: 0
    .symbol:         _Z16sort_keys_kernelI22helper_blocked_stripediLj64ELj8ELj10EEvPKT0_PS1_.kd
    .uniform_work_group_size: 1
    .uses_dynamic_stack: false
    .vgpr_count:     56
    .vgpr_spill_count: 0
    .wavefront_size: 32
    .workgroup_processor_mode: 1
  - .args:
      - .address_space:  global
        .offset:         0
        .size:           8
        .value_kind:     global_buffer
      - .address_space:  global
        .offset:         8
        .size:           8
        .value_kind:     global_buffer
      - .offset:         16
        .size:           4
        .value_kind:     hidden_block_count_x
      - .offset:         20
        .size:           4
        .value_kind:     hidden_block_count_y
      - .offset:         24
        .size:           4
        .value_kind:     hidden_block_count_z
      - .offset:         28
        .size:           2
        .value_kind:     hidden_group_size_x
      - .offset:         30
        .size:           2
        .value_kind:     hidden_group_size_y
      - .offset:         32
        .size:           2
        .value_kind:     hidden_group_size_z
      - .offset:         34
        .size:           2
        .value_kind:     hidden_remainder_x
      - .offset:         36
        .size:           2
        .value_kind:     hidden_remainder_y
      - .offset:         38
        .size:           2
        .value_kind:     hidden_remainder_z
      - .offset:         56
        .size:           8
        .value_kind:     hidden_global_offset_x
      - .offset:         64
        .size:           8
        .value_kind:     hidden_global_offset_y
      - .offset:         72
        .size:           8
        .value_kind:     hidden_global_offset_z
      - .offset:         80
        .size:           2
        .value_kind:     hidden_grid_dims
    .group_segment_fixed_size: 2064
    .kernarg_segment_align: 8
    .kernarg_segment_size: 272
    .language:       OpenCL C
    .language_version:
      - 2
      - 0
    .max_flat_workgroup_size: 64
    .name:           _Z17sort_pairs_kernelI22helper_blocked_stripediLj64ELj8ELj10EEvPKT0_PS1_
    .private_segment_fixed_size: 0
    .sgpr_count:     24
    .sgpr_spill_count: 0
    .symbol:         _Z17sort_pairs_kernelI22helper_blocked_stripediLj64ELj8ELj10EEvPKT0_PS1_.kd
    .uniform_work_group_size: 1
    .uses_dynamic_stack: false
    .vgpr_count:     64
    .vgpr_spill_count: 0
    .wavefront_size: 32
    .workgroup_processor_mode: 1
  - .args:
      - .address_space:  global
        .offset:         0
        .size:           8
        .value_kind:     global_buffer
      - .address_space:  global
        .offset:         8
        .size:           8
        .value_kind:     global_buffer
      - .offset:         16
        .size:           4
        .value_kind:     hidden_block_count_x
      - .offset:         20
        .size:           4
        .value_kind:     hidden_block_count_y
      - .offset:         24
        .size:           4
        .value_kind:     hidden_block_count_z
      - .offset:         28
        .size:           2
        .value_kind:     hidden_group_size_x
      - .offset:         30
        .size:           2
        .value_kind:     hidden_group_size_y
      - .offset:         32
        .size:           2
        .value_kind:     hidden_group_size_z
      - .offset:         34
        .size:           2
        .value_kind:     hidden_remainder_x
      - .offset:         36
        .size:           2
        .value_kind:     hidden_remainder_y
      - .offset:         38
        .size:           2
        .value_kind:     hidden_remainder_z
      - .offset:         56
        .size:           8
        .value_kind:     hidden_global_offset_x
      - .offset:         64
        .size:           8
        .value_kind:     hidden_global_offset_y
      - .offset:         72
        .size:           8
        .value_kind:     hidden_global_offset_z
      - .offset:         80
        .size:           2
        .value_kind:     hidden_grid_dims
    .group_segment_fixed_size: 4112
    .kernarg_segment_align: 8
    .kernarg_segment_size: 272
    .language:       OpenCL C
    .language_version:
      - 2
      - 0
    .max_flat_workgroup_size: 128
    .name:           _Z16sort_keys_kernelI22helper_blocked_stripediLj128ELj1ELj10EEvPKT0_PS1_
    .private_segment_fixed_size: 0
    .sgpr_count:     25
    .sgpr_spill_count: 0
    .symbol:         _Z16sort_keys_kernelI22helper_blocked_stripediLj128ELj1ELj10EEvPKT0_PS1_.kd
    .uniform_work_group_size: 1
    .uses_dynamic_stack: false
    .vgpr_count:     26
    .vgpr_spill_count: 0
    .wavefront_size: 32
    .workgroup_processor_mode: 1
  - .args:
      - .address_space:  global
        .offset:         0
        .size:           8
        .value_kind:     global_buffer
      - .address_space:  global
        .offset:         8
        .size:           8
        .value_kind:     global_buffer
      - .offset:         16
        .size:           4
        .value_kind:     hidden_block_count_x
      - .offset:         20
        .size:           4
        .value_kind:     hidden_block_count_y
      - .offset:         24
        .size:           4
        .value_kind:     hidden_block_count_z
      - .offset:         28
        .size:           2
        .value_kind:     hidden_group_size_x
      - .offset:         30
        .size:           2
        .value_kind:     hidden_group_size_y
      - .offset:         32
        .size:           2
        .value_kind:     hidden_group_size_z
      - .offset:         34
        .size:           2
        .value_kind:     hidden_remainder_x
      - .offset:         36
        .size:           2
        .value_kind:     hidden_remainder_y
      - .offset:         38
        .size:           2
        .value_kind:     hidden_remainder_z
      - .offset:         56
        .size:           8
        .value_kind:     hidden_global_offset_x
      - .offset:         64
        .size:           8
        .value_kind:     hidden_global_offset_y
      - .offset:         72
        .size:           8
        .value_kind:     hidden_global_offset_z
      - .offset:         80
        .size:           2
        .value_kind:     hidden_grid_dims
    .group_segment_fixed_size: 4112
    .kernarg_segment_align: 8
    .kernarg_segment_size: 272
    .language:       OpenCL C
    .language_version:
      - 2
      - 0
    .max_flat_workgroup_size: 128
    .name:           _Z17sort_pairs_kernelI22helper_blocked_stripediLj128ELj1ELj10EEvPKT0_PS1_
    .private_segment_fixed_size: 0
    .sgpr_count:     25
    .sgpr_spill_count: 0
    .symbol:         _Z17sort_pairs_kernelI22helper_blocked_stripediLj128ELj1ELj10EEvPKT0_PS1_.kd
    .uniform_work_group_size: 1
    .uses_dynamic_stack: false
    .vgpr_count:     27
    .vgpr_spill_count: 0
    .wavefront_size: 32
    .workgroup_processor_mode: 1
  - .args:
      - .address_space:  global
        .offset:         0
        .size:           8
        .value_kind:     global_buffer
      - .address_space:  global
        .offset:         8
        .size:           8
        .value_kind:     global_buffer
      - .offset:         16
        .size:           4
        .value_kind:     hidden_block_count_x
      - .offset:         20
        .size:           4
        .value_kind:     hidden_block_count_y
      - .offset:         24
        .size:           4
        .value_kind:     hidden_block_count_z
      - .offset:         28
        .size:           2
        .value_kind:     hidden_group_size_x
      - .offset:         30
        .size:           2
        .value_kind:     hidden_group_size_y
      - .offset:         32
        .size:           2
        .value_kind:     hidden_group_size_z
      - .offset:         34
        .size:           2
        .value_kind:     hidden_remainder_x
      - .offset:         36
        .size:           2
        .value_kind:     hidden_remainder_y
      - .offset:         38
        .size:           2
        .value_kind:     hidden_remainder_z
      - .offset:         56
        .size:           8
        .value_kind:     hidden_global_offset_x
      - .offset:         64
        .size:           8
        .value_kind:     hidden_global_offset_y
      - .offset:         72
        .size:           8
        .value_kind:     hidden_global_offset_z
      - .offset:         80
        .size:           2
        .value_kind:     hidden_grid_dims
    .group_segment_fixed_size: 4112
    .kernarg_segment_align: 8
    .kernarg_segment_size: 272
    .language:       OpenCL C
    .language_version:
      - 2
      - 0
    .max_flat_workgroup_size: 128
    .name:           _Z16sort_keys_kernelI22helper_blocked_stripediLj128ELj3ELj10EEvPKT0_PS1_
    .private_segment_fixed_size: 0
    .sgpr_count:     22
    .sgpr_spill_count: 0
    .symbol:         _Z16sort_keys_kernelI22helper_blocked_stripediLj128ELj3ELj10EEvPKT0_PS1_.kd
    .uniform_work_group_size: 1
    .uses_dynamic_stack: false
    .vgpr_count:     36
    .vgpr_spill_count: 0
    .wavefront_size: 32
    .workgroup_processor_mode: 1
  - .args:
      - .address_space:  global
        .offset:         0
        .size:           8
        .value_kind:     global_buffer
      - .address_space:  global
        .offset:         8
        .size:           8
        .value_kind:     global_buffer
      - .offset:         16
        .size:           4
        .value_kind:     hidden_block_count_x
      - .offset:         20
        .size:           4
        .value_kind:     hidden_block_count_y
      - .offset:         24
        .size:           4
        .value_kind:     hidden_block_count_z
      - .offset:         28
        .size:           2
        .value_kind:     hidden_group_size_x
      - .offset:         30
        .size:           2
        .value_kind:     hidden_group_size_y
      - .offset:         32
        .size:           2
        .value_kind:     hidden_group_size_z
      - .offset:         34
        .size:           2
        .value_kind:     hidden_remainder_x
      - .offset:         36
        .size:           2
        .value_kind:     hidden_remainder_y
      - .offset:         38
        .size:           2
        .value_kind:     hidden_remainder_z
      - .offset:         56
        .size:           8
        .value_kind:     hidden_global_offset_x
      - .offset:         64
        .size:           8
        .value_kind:     hidden_global_offset_y
      - .offset:         72
        .size:           8
        .value_kind:     hidden_global_offset_z
      - .offset:         80
        .size:           2
        .value_kind:     hidden_grid_dims
    .group_segment_fixed_size: 4112
    .kernarg_segment_align: 8
    .kernarg_segment_size: 272
    .language:       OpenCL C
    .language_version:
      - 2
      - 0
    .max_flat_workgroup_size: 128
    .name:           _Z17sort_pairs_kernelI22helper_blocked_stripediLj128ELj3ELj10EEvPKT0_PS1_
    .private_segment_fixed_size: 0
    .sgpr_count:     22
    .sgpr_spill_count: 0
    .symbol:         _Z17sort_pairs_kernelI22helper_blocked_stripediLj128ELj3ELj10EEvPKT0_PS1_.kd
    .uniform_work_group_size: 1
    .uses_dynamic_stack: false
    .vgpr_count:     40
    .vgpr_spill_count: 0
    .wavefront_size: 32
    .workgroup_processor_mode: 1
  - .args:
      - .address_space:  global
        .offset:         0
        .size:           8
        .value_kind:     global_buffer
      - .address_space:  global
        .offset:         8
        .size:           8
        .value_kind:     global_buffer
      - .offset:         16
        .size:           4
        .value_kind:     hidden_block_count_x
      - .offset:         20
        .size:           4
        .value_kind:     hidden_block_count_y
      - .offset:         24
        .size:           4
        .value_kind:     hidden_block_count_z
      - .offset:         28
        .size:           2
        .value_kind:     hidden_group_size_x
      - .offset:         30
        .size:           2
        .value_kind:     hidden_group_size_y
      - .offset:         32
        .size:           2
        .value_kind:     hidden_group_size_z
      - .offset:         34
        .size:           2
        .value_kind:     hidden_remainder_x
      - .offset:         36
        .size:           2
        .value_kind:     hidden_remainder_y
      - .offset:         38
        .size:           2
        .value_kind:     hidden_remainder_z
      - .offset:         56
        .size:           8
        .value_kind:     hidden_global_offset_x
      - .offset:         64
        .size:           8
        .value_kind:     hidden_global_offset_y
      - .offset:         72
        .size:           8
        .value_kind:     hidden_global_offset_z
      - .offset:         80
        .size:           2
        .value_kind:     hidden_grid_dims
    .group_segment_fixed_size: 4112
    .kernarg_segment_align: 8
    .kernarg_segment_size: 272
    .language:       OpenCL C
    .language_version:
      - 2
      - 0
    .max_flat_workgroup_size: 128
    .name:           _Z16sort_keys_kernelI22helper_blocked_stripediLj128ELj4ELj10EEvPKT0_PS1_
    .private_segment_fixed_size: 0
    .sgpr_count:     26
    .sgpr_spill_count: 0
    .symbol:         _Z16sort_keys_kernelI22helper_blocked_stripediLj128ELj4ELj10EEvPKT0_PS1_.kd
    .uniform_work_group_size: 1
    .uses_dynamic_stack: false
    .vgpr_count:     43
    .vgpr_spill_count: 0
    .wavefront_size: 32
    .workgroup_processor_mode: 1
  - .args:
      - .address_space:  global
        .offset:         0
        .size:           8
        .value_kind:     global_buffer
      - .address_space:  global
        .offset:         8
        .size:           8
        .value_kind:     global_buffer
      - .offset:         16
        .size:           4
        .value_kind:     hidden_block_count_x
      - .offset:         20
        .size:           4
        .value_kind:     hidden_block_count_y
      - .offset:         24
        .size:           4
        .value_kind:     hidden_block_count_z
      - .offset:         28
        .size:           2
        .value_kind:     hidden_group_size_x
      - .offset:         30
        .size:           2
        .value_kind:     hidden_group_size_y
      - .offset:         32
        .size:           2
        .value_kind:     hidden_group_size_z
      - .offset:         34
        .size:           2
        .value_kind:     hidden_remainder_x
      - .offset:         36
        .size:           2
        .value_kind:     hidden_remainder_y
      - .offset:         38
        .size:           2
        .value_kind:     hidden_remainder_z
      - .offset:         56
        .size:           8
        .value_kind:     hidden_global_offset_x
      - .offset:         64
        .size:           8
        .value_kind:     hidden_global_offset_y
      - .offset:         72
        .size:           8
        .value_kind:     hidden_global_offset_z
      - .offset:         80
        .size:           2
        .value_kind:     hidden_grid_dims
    .group_segment_fixed_size: 4112
    .kernarg_segment_align: 8
    .kernarg_segment_size: 272
    .language:       OpenCL C
    .language_version:
      - 2
      - 0
    .max_flat_workgroup_size: 128
    .name:           _Z17sort_pairs_kernelI22helper_blocked_stripediLj128ELj4ELj10EEvPKT0_PS1_
    .private_segment_fixed_size: 0
    .sgpr_count:     26
    .sgpr_spill_count: 0
    .symbol:         _Z17sort_pairs_kernelI22helper_blocked_stripediLj128ELj4ELj10EEvPKT0_PS1_.kd
    .uniform_work_group_size: 1
    .uses_dynamic_stack: false
    .vgpr_count:     47
    .vgpr_spill_count: 0
    .wavefront_size: 32
    .workgroup_processor_mode: 1
  - .args:
      - .address_space:  global
        .offset:         0
        .size:           8
        .value_kind:     global_buffer
      - .address_space:  global
        .offset:         8
        .size:           8
        .value_kind:     global_buffer
      - .offset:         16
        .size:           4
        .value_kind:     hidden_block_count_x
      - .offset:         20
        .size:           4
        .value_kind:     hidden_block_count_y
      - .offset:         24
        .size:           4
        .value_kind:     hidden_block_count_z
      - .offset:         28
        .size:           2
        .value_kind:     hidden_group_size_x
      - .offset:         30
        .size:           2
        .value_kind:     hidden_group_size_y
      - .offset:         32
        .size:           2
        .value_kind:     hidden_group_size_z
      - .offset:         34
        .size:           2
        .value_kind:     hidden_remainder_x
      - .offset:         36
        .size:           2
        .value_kind:     hidden_remainder_y
      - .offset:         38
        .size:           2
        .value_kind:     hidden_remainder_z
      - .offset:         56
        .size:           8
        .value_kind:     hidden_global_offset_x
      - .offset:         64
        .size:           8
        .value_kind:     hidden_global_offset_y
      - .offset:         72
        .size:           8
        .value_kind:     hidden_global_offset_z
      - .offset:         80
        .size:           2
        .value_kind:     hidden_grid_dims
    .group_segment_fixed_size: 4112
    .kernarg_segment_align: 8
    .kernarg_segment_size: 272
    .language:       OpenCL C
    .language_version:
      - 2
      - 0
    .max_flat_workgroup_size: 128
    .name:           _Z16sort_keys_kernelI22helper_blocked_stripediLj128ELj8ELj10EEvPKT0_PS1_
    .private_segment_fixed_size: 0
    .sgpr_count:     22
    .sgpr_spill_count: 0
    .symbol:         _Z16sort_keys_kernelI22helper_blocked_stripediLj128ELj8ELj10EEvPKT0_PS1_.kd
    .uniform_work_group_size: 1
    .uses_dynamic_stack: false
    .vgpr_count:     56
    .vgpr_spill_count: 0
    .wavefront_size: 32
    .workgroup_processor_mode: 1
  - .args:
      - .address_space:  global
        .offset:         0
        .size:           8
        .value_kind:     global_buffer
      - .address_space:  global
        .offset:         8
        .size:           8
        .value_kind:     global_buffer
      - .offset:         16
        .size:           4
        .value_kind:     hidden_block_count_x
      - .offset:         20
        .size:           4
        .value_kind:     hidden_block_count_y
      - .offset:         24
        .size:           4
        .value_kind:     hidden_block_count_z
      - .offset:         28
        .size:           2
        .value_kind:     hidden_group_size_x
      - .offset:         30
        .size:           2
        .value_kind:     hidden_group_size_y
      - .offset:         32
        .size:           2
        .value_kind:     hidden_group_size_z
      - .offset:         34
        .size:           2
        .value_kind:     hidden_remainder_x
      - .offset:         36
        .size:           2
        .value_kind:     hidden_remainder_y
      - .offset:         38
        .size:           2
        .value_kind:     hidden_remainder_z
      - .offset:         56
        .size:           8
        .value_kind:     hidden_global_offset_x
      - .offset:         64
        .size:           8
        .value_kind:     hidden_global_offset_y
      - .offset:         72
        .size:           8
        .value_kind:     hidden_global_offset_z
      - .offset:         80
        .size:           2
        .value_kind:     hidden_grid_dims
    .group_segment_fixed_size: 4112
    .kernarg_segment_align: 8
    .kernarg_segment_size: 272
    .language:       OpenCL C
    .language_version:
      - 2
      - 0
    .max_flat_workgroup_size: 128
    .name:           _Z17sort_pairs_kernelI22helper_blocked_stripediLj128ELj8ELj10EEvPKT0_PS1_
    .private_segment_fixed_size: 0
    .sgpr_count:     22
    .sgpr_spill_count: 0
    .symbol:         _Z17sort_pairs_kernelI22helper_blocked_stripediLj128ELj8ELj10EEvPKT0_PS1_.kd
    .uniform_work_group_size: 1
    .uses_dynamic_stack: false
    .vgpr_count:     64
    .vgpr_spill_count: 0
    .wavefront_size: 32
    .workgroup_processor_mode: 1
  - .args:
      - .address_space:  global
        .offset:         0
        .size:           8
        .value_kind:     global_buffer
      - .address_space:  global
        .offset:         8
        .size:           8
        .value_kind:     global_buffer
      - .offset:         16
        .size:           4
        .value_kind:     hidden_block_count_x
      - .offset:         20
        .size:           4
        .value_kind:     hidden_block_count_y
      - .offset:         24
        .size:           4
        .value_kind:     hidden_block_count_z
      - .offset:         28
        .size:           2
        .value_kind:     hidden_group_size_x
      - .offset:         30
        .size:           2
        .value_kind:     hidden_group_size_y
      - .offset:         32
        .size:           2
        .value_kind:     hidden_group_size_z
      - .offset:         34
        .size:           2
        .value_kind:     hidden_remainder_x
      - .offset:         36
        .size:           2
        .value_kind:     hidden_remainder_y
      - .offset:         38
        .size:           2
        .value_kind:     hidden_remainder_z
      - .offset:         56
        .size:           8
        .value_kind:     hidden_global_offset_x
      - .offset:         64
        .size:           8
        .value_kind:     hidden_global_offset_y
      - .offset:         72
        .size:           8
        .value_kind:     hidden_global_offset_z
      - .offset:         80
        .size:           2
        .value_kind:     hidden_grid_dims
    .group_segment_fixed_size: 6176
    .kernarg_segment_align: 8
    .kernarg_segment_size: 272
    .language:       OpenCL C
    .language_version:
      - 2
      - 0
    .max_flat_workgroup_size: 192
    .name:           _Z16sort_keys_kernelI22helper_blocked_stripediLj192ELj1ELj10EEvPKT0_PS1_
    .private_segment_fixed_size: 0
    .sgpr_count:     26
    .sgpr_spill_count: 0
    .symbol:         _Z16sort_keys_kernelI22helper_blocked_stripediLj192ELj1ELj10EEvPKT0_PS1_.kd
    .uniform_work_group_size: 1
    .uses_dynamic_stack: false
    .vgpr_count:     26
    .vgpr_spill_count: 0
    .wavefront_size: 32
    .workgroup_processor_mode: 1
  - .args:
      - .address_space:  global
        .offset:         0
        .size:           8
        .value_kind:     global_buffer
      - .address_space:  global
        .offset:         8
        .size:           8
        .value_kind:     global_buffer
      - .offset:         16
        .size:           4
        .value_kind:     hidden_block_count_x
      - .offset:         20
        .size:           4
        .value_kind:     hidden_block_count_y
      - .offset:         24
        .size:           4
        .value_kind:     hidden_block_count_z
      - .offset:         28
        .size:           2
        .value_kind:     hidden_group_size_x
      - .offset:         30
        .size:           2
        .value_kind:     hidden_group_size_y
      - .offset:         32
        .size:           2
        .value_kind:     hidden_group_size_z
      - .offset:         34
        .size:           2
        .value_kind:     hidden_remainder_x
      - .offset:         36
        .size:           2
        .value_kind:     hidden_remainder_y
      - .offset:         38
        .size:           2
        .value_kind:     hidden_remainder_z
      - .offset:         56
        .size:           8
        .value_kind:     hidden_global_offset_x
      - .offset:         64
        .size:           8
        .value_kind:     hidden_global_offset_y
      - .offset:         72
        .size:           8
        .value_kind:     hidden_global_offset_z
      - .offset:         80
        .size:           2
        .value_kind:     hidden_grid_dims
    .group_segment_fixed_size: 6176
    .kernarg_segment_align: 8
    .kernarg_segment_size: 272
    .language:       OpenCL C
    .language_version:
      - 2
      - 0
    .max_flat_workgroup_size: 192
    .name:           _Z17sort_pairs_kernelI22helper_blocked_stripediLj192ELj1ELj10EEvPKT0_PS1_
    .private_segment_fixed_size: 0
    .sgpr_count:     26
    .sgpr_spill_count: 0
    .symbol:         _Z17sort_pairs_kernelI22helper_blocked_stripediLj192ELj1ELj10EEvPKT0_PS1_.kd
    .uniform_work_group_size: 1
    .uses_dynamic_stack: false
    .vgpr_count:     27
    .vgpr_spill_count: 0
    .wavefront_size: 32
    .workgroup_processor_mode: 1
  - .args:
      - .address_space:  global
        .offset:         0
        .size:           8
        .value_kind:     global_buffer
      - .address_space:  global
        .offset:         8
        .size:           8
        .value_kind:     global_buffer
      - .offset:         16
        .size:           4
        .value_kind:     hidden_block_count_x
      - .offset:         20
        .size:           4
        .value_kind:     hidden_block_count_y
      - .offset:         24
        .size:           4
        .value_kind:     hidden_block_count_z
      - .offset:         28
        .size:           2
        .value_kind:     hidden_group_size_x
      - .offset:         30
        .size:           2
        .value_kind:     hidden_group_size_y
      - .offset:         32
        .size:           2
        .value_kind:     hidden_group_size_z
      - .offset:         34
        .size:           2
        .value_kind:     hidden_remainder_x
      - .offset:         36
        .size:           2
        .value_kind:     hidden_remainder_y
      - .offset:         38
        .size:           2
        .value_kind:     hidden_remainder_z
      - .offset:         56
        .size:           8
        .value_kind:     hidden_global_offset_x
      - .offset:         64
        .size:           8
        .value_kind:     hidden_global_offset_y
      - .offset:         72
        .size:           8
        .value_kind:     hidden_global_offset_z
      - .offset:         80
        .size:           2
        .value_kind:     hidden_grid_dims
    .group_segment_fixed_size: 6176
    .kernarg_segment_align: 8
    .kernarg_segment_size: 272
    .language:       OpenCL C
    .language_version:
      - 2
      - 0
    .max_flat_workgroup_size: 192
    .name:           _Z16sort_keys_kernelI22helper_blocked_stripediLj192ELj3ELj10EEvPKT0_PS1_
    .private_segment_fixed_size: 0
    .sgpr_count:     24
    .sgpr_spill_count: 0
    .symbol:         _Z16sort_keys_kernelI22helper_blocked_stripediLj192ELj3ELj10EEvPKT0_PS1_.kd
    .uniform_work_group_size: 1
    .uses_dynamic_stack: false
    .vgpr_count:     36
    .vgpr_spill_count: 0
    .wavefront_size: 32
    .workgroup_processor_mode: 1
  - .args:
      - .address_space:  global
        .offset:         0
        .size:           8
        .value_kind:     global_buffer
      - .address_space:  global
        .offset:         8
        .size:           8
        .value_kind:     global_buffer
      - .offset:         16
        .size:           4
        .value_kind:     hidden_block_count_x
      - .offset:         20
        .size:           4
        .value_kind:     hidden_block_count_y
      - .offset:         24
        .size:           4
        .value_kind:     hidden_block_count_z
      - .offset:         28
        .size:           2
        .value_kind:     hidden_group_size_x
      - .offset:         30
        .size:           2
        .value_kind:     hidden_group_size_y
      - .offset:         32
        .size:           2
        .value_kind:     hidden_group_size_z
      - .offset:         34
        .size:           2
        .value_kind:     hidden_remainder_x
      - .offset:         36
        .size:           2
        .value_kind:     hidden_remainder_y
      - .offset:         38
        .size:           2
        .value_kind:     hidden_remainder_z
      - .offset:         56
        .size:           8
        .value_kind:     hidden_global_offset_x
      - .offset:         64
        .size:           8
        .value_kind:     hidden_global_offset_y
      - .offset:         72
        .size:           8
        .value_kind:     hidden_global_offset_z
      - .offset:         80
        .size:           2
        .value_kind:     hidden_grid_dims
    .group_segment_fixed_size: 6176
    .kernarg_segment_align: 8
    .kernarg_segment_size: 272
    .language:       OpenCL C
    .language_version:
      - 2
      - 0
    .max_flat_workgroup_size: 192
    .name:           _Z17sort_pairs_kernelI22helper_blocked_stripediLj192ELj3ELj10EEvPKT0_PS1_
    .private_segment_fixed_size: 0
    .sgpr_count:     24
    .sgpr_spill_count: 0
    .symbol:         _Z17sort_pairs_kernelI22helper_blocked_stripediLj192ELj3ELj10EEvPKT0_PS1_.kd
    .uniform_work_group_size: 1
    .uses_dynamic_stack: false
    .vgpr_count:     40
    .vgpr_spill_count: 0
    .wavefront_size: 32
    .workgroup_processor_mode: 1
  - .args:
      - .address_space:  global
        .offset:         0
        .size:           8
        .value_kind:     global_buffer
      - .address_space:  global
        .offset:         8
        .size:           8
        .value_kind:     global_buffer
      - .offset:         16
        .size:           4
        .value_kind:     hidden_block_count_x
      - .offset:         20
        .size:           4
        .value_kind:     hidden_block_count_y
      - .offset:         24
        .size:           4
        .value_kind:     hidden_block_count_z
      - .offset:         28
        .size:           2
        .value_kind:     hidden_group_size_x
      - .offset:         30
        .size:           2
        .value_kind:     hidden_group_size_y
      - .offset:         32
        .size:           2
        .value_kind:     hidden_group_size_z
      - .offset:         34
        .size:           2
        .value_kind:     hidden_remainder_x
      - .offset:         36
        .size:           2
        .value_kind:     hidden_remainder_y
      - .offset:         38
        .size:           2
        .value_kind:     hidden_remainder_z
      - .offset:         56
        .size:           8
        .value_kind:     hidden_global_offset_x
      - .offset:         64
        .size:           8
        .value_kind:     hidden_global_offset_y
      - .offset:         72
        .size:           8
        .value_kind:     hidden_global_offset_z
      - .offset:         80
        .size:           2
        .value_kind:     hidden_grid_dims
    .group_segment_fixed_size: 6176
    .kernarg_segment_align: 8
    .kernarg_segment_size: 272
    .language:       OpenCL C
    .language_version:
      - 2
      - 0
    .max_flat_workgroup_size: 192
    .name:           _Z16sort_keys_kernelI22helper_blocked_stripediLj192ELj4ELj10EEvPKT0_PS1_
    .private_segment_fixed_size: 0
    .sgpr_count:     26
    .sgpr_spill_count: 0
    .symbol:         _Z16sort_keys_kernelI22helper_blocked_stripediLj192ELj4ELj10EEvPKT0_PS1_.kd
    .uniform_work_group_size: 1
    .uses_dynamic_stack: false
    .vgpr_count:     43
    .vgpr_spill_count: 0
    .wavefront_size: 32
    .workgroup_processor_mode: 1
  - .args:
      - .address_space:  global
        .offset:         0
        .size:           8
        .value_kind:     global_buffer
      - .address_space:  global
        .offset:         8
        .size:           8
        .value_kind:     global_buffer
      - .offset:         16
        .size:           4
        .value_kind:     hidden_block_count_x
      - .offset:         20
        .size:           4
        .value_kind:     hidden_block_count_y
      - .offset:         24
        .size:           4
        .value_kind:     hidden_block_count_z
      - .offset:         28
        .size:           2
        .value_kind:     hidden_group_size_x
      - .offset:         30
        .size:           2
        .value_kind:     hidden_group_size_y
      - .offset:         32
        .size:           2
        .value_kind:     hidden_group_size_z
      - .offset:         34
        .size:           2
        .value_kind:     hidden_remainder_x
      - .offset:         36
        .size:           2
        .value_kind:     hidden_remainder_y
      - .offset:         38
        .size:           2
        .value_kind:     hidden_remainder_z
      - .offset:         56
        .size:           8
        .value_kind:     hidden_global_offset_x
      - .offset:         64
        .size:           8
        .value_kind:     hidden_global_offset_y
      - .offset:         72
        .size:           8
        .value_kind:     hidden_global_offset_z
      - .offset:         80
        .size:           2
        .value_kind:     hidden_grid_dims
    .group_segment_fixed_size: 6176
    .kernarg_segment_align: 8
    .kernarg_segment_size: 272
    .language:       OpenCL C
    .language_version:
      - 2
      - 0
    .max_flat_workgroup_size: 192
    .name:           _Z17sort_pairs_kernelI22helper_blocked_stripediLj192ELj4ELj10EEvPKT0_PS1_
    .private_segment_fixed_size: 0
    .sgpr_count:     26
    .sgpr_spill_count: 0
    .symbol:         _Z17sort_pairs_kernelI22helper_blocked_stripediLj192ELj4ELj10EEvPKT0_PS1_.kd
    .uniform_work_group_size: 1
    .uses_dynamic_stack: false
    .vgpr_count:     47
    .vgpr_spill_count: 0
    .wavefront_size: 32
    .workgroup_processor_mode: 1
  - .args:
      - .address_space:  global
        .offset:         0
        .size:           8
        .value_kind:     global_buffer
      - .address_space:  global
        .offset:         8
        .size:           8
        .value_kind:     global_buffer
      - .offset:         16
        .size:           4
        .value_kind:     hidden_block_count_x
      - .offset:         20
        .size:           4
        .value_kind:     hidden_block_count_y
      - .offset:         24
        .size:           4
        .value_kind:     hidden_block_count_z
      - .offset:         28
        .size:           2
        .value_kind:     hidden_group_size_x
      - .offset:         30
        .size:           2
        .value_kind:     hidden_group_size_y
      - .offset:         32
        .size:           2
        .value_kind:     hidden_group_size_z
      - .offset:         34
        .size:           2
        .value_kind:     hidden_remainder_x
      - .offset:         36
        .size:           2
        .value_kind:     hidden_remainder_y
      - .offset:         38
        .size:           2
        .value_kind:     hidden_remainder_z
      - .offset:         56
        .size:           8
        .value_kind:     hidden_global_offset_x
      - .offset:         64
        .size:           8
        .value_kind:     hidden_global_offset_y
      - .offset:         72
        .size:           8
        .value_kind:     hidden_global_offset_z
      - .offset:         80
        .size:           2
        .value_kind:     hidden_grid_dims
    .group_segment_fixed_size: 6176
    .kernarg_segment_align: 8
    .kernarg_segment_size: 272
    .language:       OpenCL C
    .language_version:
      - 2
      - 0
    .max_flat_workgroup_size: 192
    .name:           _Z16sort_keys_kernelI22helper_blocked_stripediLj192ELj8ELj10EEvPKT0_PS1_
    .private_segment_fixed_size: 0
    .sgpr_count:     24
    .sgpr_spill_count: 0
    .symbol:         _Z16sort_keys_kernelI22helper_blocked_stripediLj192ELj8ELj10EEvPKT0_PS1_.kd
    .uniform_work_group_size: 1
    .uses_dynamic_stack: false
    .vgpr_count:     56
    .vgpr_spill_count: 0
    .wavefront_size: 32
    .workgroup_processor_mode: 1
  - .args:
      - .address_space:  global
        .offset:         0
        .size:           8
        .value_kind:     global_buffer
      - .address_space:  global
        .offset:         8
        .size:           8
        .value_kind:     global_buffer
      - .offset:         16
        .size:           4
        .value_kind:     hidden_block_count_x
      - .offset:         20
        .size:           4
        .value_kind:     hidden_block_count_y
      - .offset:         24
        .size:           4
        .value_kind:     hidden_block_count_z
      - .offset:         28
        .size:           2
        .value_kind:     hidden_group_size_x
      - .offset:         30
        .size:           2
        .value_kind:     hidden_group_size_y
      - .offset:         32
        .size:           2
        .value_kind:     hidden_group_size_z
      - .offset:         34
        .size:           2
        .value_kind:     hidden_remainder_x
      - .offset:         36
        .size:           2
        .value_kind:     hidden_remainder_y
      - .offset:         38
        .size:           2
        .value_kind:     hidden_remainder_z
      - .offset:         56
        .size:           8
        .value_kind:     hidden_global_offset_x
      - .offset:         64
        .size:           8
        .value_kind:     hidden_global_offset_y
      - .offset:         72
        .size:           8
        .value_kind:     hidden_global_offset_z
      - .offset:         80
        .size:           2
        .value_kind:     hidden_grid_dims
    .group_segment_fixed_size: 6176
    .kernarg_segment_align: 8
    .kernarg_segment_size: 272
    .language:       OpenCL C
    .language_version:
      - 2
      - 0
    .max_flat_workgroup_size: 192
    .name:           _Z17sort_pairs_kernelI22helper_blocked_stripediLj192ELj8ELj10EEvPKT0_PS1_
    .private_segment_fixed_size: 0
    .sgpr_count:     24
    .sgpr_spill_count: 0
    .symbol:         _Z17sort_pairs_kernelI22helper_blocked_stripediLj192ELj8ELj10EEvPKT0_PS1_.kd
    .uniform_work_group_size: 1
    .uses_dynamic_stack: false
    .vgpr_count:     64
    .vgpr_spill_count: 0
    .wavefront_size: 32
    .workgroup_processor_mode: 1
  - .args:
      - .address_space:  global
        .offset:         0
        .size:           8
        .value_kind:     global_buffer
      - .address_space:  global
        .offset:         8
        .size:           8
        .value_kind:     global_buffer
      - .offset:         16
        .size:           4
        .value_kind:     hidden_block_count_x
      - .offset:         20
        .size:           4
        .value_kind:     hidden_block_count_y
      - .offset:         24
        .size:           4
        .value_kind:     hidden_block_count_z
      - .offset:         28
        .size:           2
        .value_kind:     hidden_group_size_x
      - .offset:         30
        .size:           2
        .value_kind:     hidden_group_size_y
      - .offset:         32
        .size:           2
        .value_kind:     hidden_group_size_z
      - .offset:         34
        .size:           2
        .value_kind:     hidden_remainder_x
      - .offset:         36
        .size:           2
        .value_kind:     hidden_remainder_y
      - .offset:         38
        .size:           2
        .value_kind:     hidden_remainder_z
      - .offset:         56
        .size:           8
        .value_kind:     hidden_global_offset_x
      - .offset:         64
        .size:           8
        .value_kind:     hidden_global_offset_y
      - .offset:         72
        .size:           8
        .value_kind:     hidden_global_offset_z
      - .offset:         80
        .size:           2
        .value_kind:     hidden_grid_dims
    .group_segment_fixed_size: 8224
    .kernarg_segment_align: 8
    .kernarg_segment_size: 272
    .language:       OpenCL C
    .language_version:
      - 2
      - 0
    .max_flat_workgroup_size: 256
    .name:           _Z16sort_keys_kernelI22helper_blocked_stripediLj256ELj1ELj10EEvPKT0_PS1_
    .private_segment_fixed_size: 0
    .sgpr_count:     26
    .sgpr_spill_count: 0
    .symbol:         _Z16sort_keys_kernelI22helper_blocked_stripediLj256ELj1ELj10EEvPKT0_PS1_.kd
    .uniform_work_group_size: 1
    .uses_dynamic_stack: false
    .vgpr_count:     26
    .vgpr_spill_count: 0
    .wavefront_size: 32
    .workgroup_processor_mode: 1
  - .args:
      - .address_space:  global
        .offset:         0
        .size:           8
        .value_kind:     global_buffer
      - .address_space:  global
        .offset:         8
        .size:           8
        .value_kind:     global_buffer
      - .offset:         16
        .size:           4
        .value_kind:     hidden_block_count_x
      - .offset:         20
        .size:           4
        .value_kind:     hidden_block_count_y
      - .offset:         24
        .size:           4
        .value_kind:     hidden_block_count_z
      - .offset:         28
        .size:           2
        .value_kind:     hidden_group_size_x
      - .offset:         30
        .size:           2
        .value_kind:     hidden_group_size_y
      - .offset:         32
        .size:           2
        .value_kind:     hidden_group_size_z
      - .offset:         34
        .size:           2
        .value_kind:     hidden_remainder_x
      - .offset:         36
        .size:           2
        .value_kind:     hidden_remainder_y
      - .offset:         38
        .size:           2
        .value_kind:     hidden_remainder_z
      - .offset:         56
        .size:           8
        .value_kind:     hidden_global_offset_x
      - .offset:         64
        .size:           8
        .value_kind:     hidden_global_offset_y
      - .offset:         72
        .size:           8
        .value_kind:     hidden_global_offset_z
      - .offset:         80
        .size:           2
        .value_kind:     hidden_grid_dims
    .group_segment_fixed_size: 8224
    .kernarg_segment_align: 8
    .kernarg_segment_size: 272
    .language:       OpenCL C
    .language_version:
      - 2
      - 0
    .max_flat_workgroup_size: 256
    .name:           _Z17sort_pairs_kernelI22helper_blocked_stripediLj256ELj1ELj10EEvPKT0_PS1_
    .private_segment_fixed_size: 0
    .sgpr_count:     26
    .sgpr_spill_count: 0
    .symbol:         _Z17sort_pairs_kernelI22helper_blocked_stripediLj256ELj1ELj10EEvPKT0_PS1_.kd
    .uniform_work_group_size: 1
    .uses_dynamic_stack: false
    .vgpr_count:     27
    .vgpr_spill_count: 0
    .wavefront_size: 32
    .workgroup_processor_mode: 1
  - .args:
      - .address_space:  global
        .offset:         0
        .size:           8
        .value_kind:     global_buffer
      - .address_space:  global
        .offset:         8
        .size:           8
        .value_kind:     global_buffer
      - .offset:         16
        .size:           4
        .value_kind:     hidden_block_count_x
      - .offset:         20
        .size:           4
        .value_kind:     hidden_block_count_y
      - .offset:         24
        .size:           4
        .value_kind:     hidden_block_count_z
      - .offset:         28
        .size:           2
        .value_kind:     hidden_group_size_x
      - .offset:         30
        .size:           2
        .value_kind:     hidden_group_size_y
      - .offset:         32
        .size:           2
        .value_kind:     hidden_group_size_z
      - .offset:         34
        .size:           2
        .value_kind:     hidden_remainder_x
      - .offset:         36
        .size:           2
        .value_kind:     hidden_remainder_y
      - .offset:         38
        .size:           2
        .value_kind:     hidden_remainder_z
      - .offset:         56
        .size:           8
        .value_kind:     hidden_global_offset_x
      - .offset:         64
        .size:           8
        .value_kind:     hidden_global_offset_y
      - .offset:         72
        .size:           8
        .value_kind:     hidden_global_offset_z
      - .offset:         80
        .size:           2
        .value_kind:     hidden_grid_dims
    .group_segment_fixed_size: 8224
    .kernarg_segment_align: 8
    .kernarg_segment_size: 272
    .language:       OpenCL C
    .language_version:
      - 2
      - 0
    .max_flat_workgroup_size: 256
    .name:           _Z16sort_keys_kernelI22helper_blocked_stripediLj256ELj3ELj10EEvPKT0_PS1_
    .private_segment_fixed_size: 0
    .sgpr_count:     24
    .sgpr_spill_count: 0
    .symbol:         _Z16sort_keys_kernelI22helper_blocked_stripediLj256ELj3ELj10EEvPKT0_PS1_.kd
    .uniform_work_group_size: 1
    .uses_dynamic_stack: false
    .vgpr_count:     36
    .vgpr_spill_count: 0
    .wavefront_size: 32
    .workgroup_processor_mode: 1
  - .args:
      - .address_space:  global
        .offset:         0
        .size:           8
        .value_kind:     global_buffer
      - .address_space:  global
        .offset:         8
        .size:           8
        .value_kind:     global_buffer
      - .offset:         16
        .size:           4
        .value_kind:     hidden_block_count_x
      - .offset:         20
        .size:           4
        .value_kind:     hidden_block_count_y
      - .offset:         24
        .size:           4
        .value_kind:     hidden_block_count_z
      - .offset:         28
        .size:           2
        .value_kind:     hidden_group_size_x
      - .offset:         30
        .size:           2
        .value_kind:     hidden_group_size_y
      - .offset:         32
        .size:           2
        .value_kind:     hidden_group_size_z
      - .offset:         34
        .size:           2
        .value_kind:     hidden_remainder_x
      - .offset:         36
        .size:           2
        .value_kind:     hidden_remainder_y
      - .offset:         38
        .size:           2
        .value_kind:     hidden_remainder_z
      - .offset:         56
        .size:           8
        .value_kind:     hidden_global_offset_x
      - .offset:         64
        .size:           8
        .value_kind:     hidden_global_offset_y
      - .offset:         72
        .size:           8
        .value_kind:     hidden_global_offset_z
      - .offset:         80
        .size:           2
        .value_kind:     hidden_grid_dims
    .group_segment_fixed_size: 8224
    .kernarg_segment_align: 8
    .kernarg_segment_size: 272
    .language:       OpenCL C
    .language_version:
      - 2
      - 0
    .max_flat_workgroup_size: 256
    .name:           _Z17sort_pairs_kernelI22helper_blocked_stripediLj256ELj3ELj10EEvPKT0_PS1_
    .private_segment_fixed_size: 0
    .sgpr_count:     24
    .sgpr_spill_count: 0
    .symbol:         _Z17sort_pairs_kernelI22helper_blocked_stripediLj256ELj3ELj10EEvPKT0_PS1_.kd
    .uniform_work_group_size: 1
    .uses_dynamic_stack: false
    .vgpr_count:     40
    .vgpr_spill_count: 0
    .wavefront_size: 32
    .workgroup_processor_mode: 1
  - .args:
      - .address_space:  global
        .offset:         0
        .size:           8
        .value_kind:     global_buffer
      - .address_space:  global
        .offset:         8
        .size:           8
        .value_kind:     global_buffer
      - .offset:         16
        .size:           4
        .value_kind:     hidden_block_count_x
      - .offset:         20
        .size:           4
        .value_kind:     hidden_block_count_y
      - .offset:         24
        .size:           4
        .value_kind:     hidden_block_count_z
      - .offset:         28
        .size:           2
        .value_kind:     hidden_group_size_x
      - .offset:         30
        .size:           2
        .value_kind:     hidden_group_size_y
      - .offset:         32
        .size:           2
        .value_kind:     hidden_group_size_z
      - .offset:         34
        .size:           2
        .value_kind:     hidden_remainder_x
      - .offset:         36
        .size:           2
        .value_kind:     hidden_remainder_y
      - .offset:         38
        .size:           2
        .value_kind:     hidden_remainder_z
      - .offset:         56
        .size:           8
        .value_kind:     hidden_global_offset_x
      - .offset:         64
        .size:           8
        .value_kind:     hidden_global_offset_y
      - .offset:         72
        .size:           8
        .value_kind:     hidden_global_offset_z
      - .offset:         80
        .size:           2
        .value_kind:     hidden_grid_dims
    .group_segment_fixed_size: 8224
    .kernarg_segment_align: 8
    .kernarg_segment_size: 272
    .language:       OpenCL C
    .language_version:
      - 2
      - 0
    .max_flat_workgroup_size: 256
    .name:           _Z16sort_keys_kernelI22helper_blocked_stripediLj256ELj4ELj10EEvPKT0_PS1_
    .private_segment_fixed_size: 0
    .sgpr_count:     26
    .sgpr_spill_count: 0
    .symbol:         _Z16sort_keys_kernelI22helper_blocked_stripediLj256ELj4ELj10EEvPKT0_PS1_.kd
    .uniform_work_group_size: 1
    .uses_dynamic_stack: false
    .vgpr_count:     43
    .vgpr_spill_count: 0
    .wavefront_size: 32
    .workgroup_processor_mode: 1
  - .args:
      - .address_space:  global
        .offset:         0
        .size:           8
        .value_kind:     global_buffer
      - .address_space:  global
        .offset:         8
        .size:           8
        .value_kind:     global_buffer
      - .offset:         16
        .size:           4
        .value_kind:     hidden_block_count_x
      - .offset:         20
        .size:           4
        .value_kind:     hidden_block_count_y
      - .offset:         24
        .size:           4
        .value_kind:     hidden_block_count_z
      - .offset:         28
        .size:           2
        .value_kind:     hidden_group_size_x
      - .offset:         30
        .size:           2
        .value_kind:     hidden_group_size_y
      - .offset:         32
        .size:           2
        .value_kind:     hidden_group_size_z
      - .offset:         34
        .size:           2
        .value_kind:     hidden_remainder_x
      - .offset:         36
        .size:           2
        .value_kind:     hidden_remainder_y
      - .offset:         38
        .size:           2
        .value_kind:     hidden_remainder_z
      - .offset:         56
        .size:           8
        .value_kind:     hidden_global_offset_x
      - .offset:         64
        .size:           8
        .value_kind:     hidden_global_offset_y
      - .offset:         72
        .size:           8
        .value_kind:     hidden_global_offset_z
      - .offset:         80
        .size:           2
        .value_kind:     hidden_grid_dims
    .group_segment_fixed_size: 8224
    .kernarg_segment_align: 8
    .kernarg_segment_size: 272
    .language:       OpenCL C
    .language_version:
      - 2
      - 0
    .max_flat_workgroup_size: 256
    .name:           _Z17sort_pairs_kernelI22helper_blocked_stripediLj256ELj4ELj10EEvPKT0_PS1_
    .private_segment_fixed_size: 0
    .sgpr_count:     26
    .sgpr_spill_count: 0
    .symbol:         _Z17sort_pairs_kernelI22helper_blocked_stripediLj256ELj4ELj10EEvPKT0_PS1_.kd
    .uniform_work_group_size: 1
    .uses_dynamic_stack: false
    .vgpr_count:     47
    .vgpr_spill_count: 0
    .wavefront_size: 32
    .workgroup_processor_mode: 1
  - .args:
      - .address_space:  global
        .offset:         0
        .size:           8
        .value_kind:     global_buffer
      - .address_space:  global
        .offset:         8
        .size:           8
        .value_kind:     global_buffer
      - .offset:         16
        .size:           4
        .value_kind:     hidden_block_count_x
      - .offset:         20
        .size:           4
        .value_kind:     hidden_block_count_y
      - .offset:         24
        .size:           4
        .value_kind:     hidden_block_count_z
      - .offset:         28
        .size:           2
        .value_kind:     hidden_group_size_x
      - .offset:         30
        .size:           2
        .value_kind:     hidden_group_size_y
      - .offset:         32
        .size:           2
        .value_kind:     hidden_group_size_z
      - .offset:         34
        .size:           2
        .value_kind:     hidden_remainder_x
      - .offset:         36
        .size:           2
        .value_kind:     hidden_remainder_y
      - .offset:         38
        .size:           2
        .value_kind:     hidden_remainder_z
      - .offset:         56
        .size:           8
        .value_kind:     hidden_global_offset_x
      - .offset:         64
        .size:           8
        .value_kind:     hidden_global_offset_y
      - .offset:         72
        .size:           8
        .value_kind:     hidden_global_offset_z
      - .offset:         80
        .size:           2
        .value_kind:     hidden_grid_dims
    .group_segment_fixed_size: 8224
    .kernarg_segment_align: 8
    .kernarg_segment_size: 272
    .language:       OpenCL C
    .language_version:
      - 2
      - 0
    .max_flat_workgroup_size: 256
    .name:           _Z16sort_keys_kernelI22helper_blocked_stripediLj256ELj8ELj10EEvPKT0_PS1_
    .private_segment_fixed_size: 0
    .sgpr_count:     24
    .sgpr_spill_count: 0
    .symbol:         _Z16sort_keys_kernelI22helper_blocked_stripediLj256ELj8ELj10EEvPKT0_PS1_.kd
    .uniform_work_group_size: 1
    .uses_dynamic_stack: false
    .vgpr_count:     56
    .vgpr_spill_count: 0
    .wavefront_size: 32
    .workgroup_processor_mode: 1
  - .args:
      - .address_space:  global
        .offset:         0
        .size:           8
        .value_kind:     global_buffer
      - .address_space:  global
        .offset:         8
        .size:           8
        .value_kind:     global_buffer
      - .offset:         16
        .size:           4
        .value_kind:     hidden_block_count_x
      - .offset:         20
        .size:           4
        .value_kind:     hidden_block_count_y
      - .offset:         24
        .size:           4
        .value_kind:     hidden_block_count_z
      - .offset:         28
        .size:           2
        .value_kind:     hidden_group_size_x
      - .offset:         30
        .size:           2
        .value_kind:     hidden_group_size_y
      - .offset:         32
        .size:           2
        .value_kind:     hidden_group_size_z
      - .offset:         34
        .size:           2
        .value_kind:     hidden_remainder_x
      - .offset:         36
        .size:           2
        .value_kind:     hidden_remainder_y
      - .offset:         38
        .size:           2
        .value_kind:     hidden_remainder_z
      - .offset:         56
        .size:           8
        .value_kind:     hidden_global_offset_x
      - .offset:         64
        .size:           8
        .value_kind:     hidden_global_offset_y
      - .offset:         72
        .size:           8
        .value_kind:     hidden_global_offset_z
      - .offset:         80
        .size:           2
        .value_kind:     hidden_grid_dims
    .group_segment_fixed_size: 8224
    .kernarg_segment_align: 8
    .kernarg_segment_size: 272
    .language:       OpenCL C
    .language_version:
      - 2
      - 0
    .max_flat_workgroup_size: 256
    .name:           _Z17sort_pairs_kernelI22helper_blocked_stripediLj256ELj8ELj10EEvPKT0_PS1_
    .private_segment_fixed_size: 0
    .sgpr_count:     24
    .sgpr_spill_count: 0
    .symbol:         _Z17sort_pairs_kernelI22helper_blocked_stripediLj256ELj8ELj10EEvPKT0_PS1_.kd
    .uniform_work_group_size: 1
    .uses_dynamic_stack: false
    .vgpr_count:     64
    .vgpr_spill_count: 0
    .wavefront_size: 32
    .workgroup_processor_mode: 1
  - .args:
      - .address_space:  global
        .offset:         0
        .size:           8
        .value_kind:     global_buffer
      - .address_space:  global
        .offset:         8
        .size:           8
        .value_kind:     global_buffer
      - .offset:         16
        .size:           4
        .value_kind:     hidden_block_count_x
      - .offset:         20
        .size:           4
        .value_kind:     hidden_block_count_y
      - .offset:         24
        .size:           4
        .value_kind:     hidden_block_count_z
      - .offset:         28
        .size:           2
        .value_kind:     hidden_group_size_x
      - .offset:         30
        .size:           2
        .value_kind:     hidden_group_size_y
      - .offset:         32
        .size:           2
        .value_kind:     hidden_group_size_z
      - .offset:         34
        .size:           2
        .value_kind:     hidden_remainder_x
      - .offset:         36
        .size:           2
        .value_kind:     hidden_remainder_y
      - .offset:         38
        .size:           2
        .value_kind:     hidden_remainder_z
      - .offset:         56
        .size:           8
        .value_kind:     hidden_global_offset_x
      - .offset:         64
        .size:           8
        .value_kind:     hidden_global_offset_y
      - .offset:         72
        .size:           8
        .value_kind:     hidden_global_offset_z
      - .offset:         80
        .size:           2
        .value_kind:     hidden_grid_dims
    .group_segment_fixed_size: 10288
    .kernarg_segment_align: 8
    .kernarg_segment_size: 272
    .language:       OpenCL C
    .language_version:
      - 2
      - 0
    .max_flat_workgroup_size: 320
    .name:           _Z16sort_keys_kernelI22helper_blocked_stripediLj320ELj1ELj10EEvPKT0_PS1_
    .private_segment_fixed_size: 0
    .sgpr_count:     24
    .sgpr_spill_count: 0
    .symbol:         _Z16sort_keys_kernelI22helper_blocked_stripediLj320ELj1ELj10EEvPKT0_PS1_.kd
    .uniform_work_group_size: 1
    .uses_dynamic_stack: false
    .vgpr_count:     26
    .vgpr_spill_count: 0
    .wavefront_size: 32
    .workgroup_processor_mode: 1
  - .args:
      - .address_space:  global
        .offset:         0
        .size:           8
        .value_kind:     global_buffer
      - .address_space:  global
        .offset:         8
        .size:           8
        .value_kind:     global_buffer
      - .offset:         16
        .size:           4
        .value_kind:     hidden_block_count_x
      - .offset:         20
        .size:           4
        .value_kind:     hidden_block_count_y
      - .offset:         24
        .size:           4
        .value_kind:     hidden_block_count_z
      - .offset:         28
        .size:           2
        .value_kind:     hidden_group_size_x
      - .offset:         30
        .size:           2
        .value_kind:     hidden_group_size_y
      - .offset:         32
        .size:           2
        .value_kind:     hidden_group_size_z
      - .offset:         34
        .size:           2
        .value_kind:     hidden_remainder_x
      - .offset:         36
        .size:           2
        .value_kind:     hidden_remainder_y
      - .offset:         38
        .size:           2
        .value_kind:     hidden_remainder_z
      - .offset:         56
        .size:           8
        .value_kind:     hidden_global_offset_x
      - .offset:         64
        .size:           8
        .value_kind:     hidden_global_offset_y
      - .offset:         72
        .size:           8
        .value_kind:     hidden_global_offset_z
      - .offset:         80
        .size:           2
        .value_kind:     hidden_grid_dims
    .group_segment_fixed_size: 10288
    .kernarg_segment_align: 8
    .kernarg_segment_size: 272
    .language:       OpenCL C
    .language_version:
      - 2
      - 0
    .max_flat_workgroup_size: 320
    .name:           _Z17sort_pairs_kernelI22helper_blocked_stripediLj320ELj1ELj10EEvPKT0_PS1_
    .private_segment_fixed_size: 0
    .sgpr_count:     24
    .sgpr_spill_count: 0
    .symbol:         _Z17sort_pairs_kernelI22helper_blocked_stripediLj320ELj1ELj10EEvPKT0_PS1_.kd
    .uniform_work_group_size: 1
    .uses_dynamic_stack: false
    .vgpr_count:     27
    .vgpr_spill_count: 0
    .wavefront_size: 32
    .workgroup_processor_mode: 1
  - .args:
      - .address_space:  global
        .offset:         0
        .size:           8
        .value_kind:     global_buffer
      - .address_space:  global
        .offset:         8
        .size:           8
        .value_kind:     global_buffer
      - .offset:         16
        .size:           4
        .value_kind:     hidden_block_count_x
      - .offset:         20
        .size:           4
        .value_kind:     hidden_block_count_y
      - .offset:         24
        .size:           4
        .value_kind:     hidden_block_count_z
      - .offset:         28
        .size:           2
        .value_kind:     hidden_group_size_x
      - .offset:         30
        .size:           2
        .value_kind:     hidden_group_size_y
      - .offset:         32
        .size:           2
        .value_kind:     hidden_group_size_z
      - .offset:         34
        .size:           2
        .value_kind:     hidden_remainder_x
      - .offset:         36
        .size:           2
        .value_kind:     hidden_remainder_y
      - .offset:         38
        .size:           2
        .value_kind:     hidden_remainder_z
      - .offset:         56
        .size:           8
        .value_kind:     hidden_global_offset_x
      - .offset:         64
        .size:           8
        .value_kind:     hidden_global_offset_y
      - .offset:         72
        .size:           8
        .value_kind:     hidden_global_offset_z
      - .offset:         80
        .size:           2
        .value_kind:     hidden_grid_dims
    .group_segment_fixed_size: 10288
    .kernarg_segment_align: 8
    .kernarg_segment_size: 272
    .language:       OpenCL C
    .language_version:
      - 2
      - 0
    .max_flat_workgroup_size: 320
    .name:           _Z16sort_keys_kernelI22helper_blocked_stripediLj320ELj3ELj10EEvPKT0_PS1_
    .private_segment_fixed_size: 0
    .sgpr_count:     22
    .sgpr_spill_count: 0
    .symbol:         _Z16sort_keys_kernelI22helper_blocked_stripediLj320ELj3ELj10EEvPKT0_PS1_.kd
    .uniform_work_group_size: 1
    .uses_dynamic_stack: false
    .vgpr_count:     36
    .vgpr_spill_count: 0
    .wavefront_size: 32
    .workgroup_processor_mode: 1
  - .args:
      - .address_space:  global
        .offset:         0
        .size:           8
        .value_kind:     global_buffer
      - .address_space:  global
        .offset:         8
        .size:           8
        .value_kind:     global_buffer
      - .offset:         16
        .size:           4
        .value_kind:     hidden_block_count_x
      - .offset:         20
        .size:           4
        .value_kind:     hidden_block_count_y
      - .offset:         24
        .size:           4
        .value_kind:     hidden_block_count_z
      - .offset:         28
        .size:           2
        .value_kind:     hidden_group_size_x
      - .offset:         30
        .size:           2
        .value_kind:     hidden_group_size_y
      - .offset:         32
        .size:           2
        .value_kind:     hidden_group_size_z
      - .offset:         34
        .size:           2
        .value_kind:     hidden_remainder_x
      - .offset:         36
        .size:           2
        .value_kind:     hidden_remainder_y
      - .offset:         38
        .size:           2
        .value_kind:     hidden_remainder_z
      - .offset:         56
        .size:           8
        .value_kind:     hidden_global_offset_x
      - .offset:         64
        .size:           8
        .value_kind:     hidden_global_offset_y
      - .offset:         72
        .size:           8
        .value_kind:     hidden_global_offset_z
      - .offset:         80
        .size:           2
        .value_kind:     hidden_grid_dims
    .group_segment_fixed_size: 10288
    .kernarg_segment_align: 8
    .kernarg_segment_size: 272
    .language:       OpenCL C
    .language_version:
      - 2
      - 0
    .max_flat_workgroup_size: 320
    .name:           _Z17sort_pairs_kernelI22helper_blocked_stripediLj320ELj3ELj10EEvPKT0_PS1_
    .private_segment_fixed_size: 0
    .sgpr_count:     22
    .sgpr_spill_count: 0
    .symbol:         _Z17sort_pairs_kernelI22helper_blocked_stripediLj320ELj3ELj10EEvPKT0_PS1_.kd
    .uniform_work_group_size: 1
    .uses_dynamic_stack: false
    .vgpr_count:     40
    .vgpr_spill_count: 0
    .wavefront_size: 32
    .workgroup_processor_mode: 1
  - .args:
      - .address_space:  global
        .offset:         0
        .size:           8
        .value_kind:     global_buffer
      - .address_space:  global
        .offset:         8
        .size:           8
        .value_kind:     global_buffer
      - .offset:         16
        .size:           4
        .value_kind:     hidden_block_count_x
      - .offset:         20
        .size:           4
        .value_kind:     hidden_block_count_y
      - .offset:         24
        .size:           4
        .value_kind:     hidden_block_count_z
      - .offset:         28
        .size:           2
        .value_kind:     hidden_group_size_x
      - .offset:         30
        .size:           2
        .value_kind:     hidden_group_size_y
      - .offset:         32
        .size:           2
        .value_kind:     hidden_group_size_z
      - .offset:         34
        .size:           2
        .value_kind:     hidden_remainder_x
      - .offset:         36
        .size:           2
        .value_kind:     hidden_remainder_y
      - .offset:         38
        .size:           2
        .value_kind:     hidden_remainder_z
      - .offset:         56
        .size:           8
        .value_kind:     hidden_global_offset_x
      - .offset:         64
        .size:           8
        .value_kind:     hidden_global_offset_y
      - .offset:         72
        .size:           8
        .value_kind:     hidden_global_offset_z
      - .offset:         80
        .size:           2
        .value_kind:     hidden_grid_dims
    .group_segment_fixed_size: 10288
    .kernarg_segment_align: 8
    .kernarg_segment_size: 272
    .language:       OpenCL C
    .language_version:
      - 2
      - 0
    .max_flat_workgroup_size: 320
    .name:           _Z16sort_keys_kernelI22helper_blocked_stripediLj320ELj4ELj10EEvPKT0_PS1_
    .private_segment_fixed_size: 0
    .sgpr_count:     24
    .sgpr_spill_count: 0
    .symbol:         _Z16sort_keys_kernelI22helper_blocked_stripediLj320ELj4ELj10EEvPKT0_PS1_.kd
    .uniform_work_group_size: 1
    .uses_dynamic_stack: false
    .vgpr_count:     43
    .vgpr_spill_count: 0
    .wavefront_size: 32
    .workgroup_processor_mode: 1
  - .args:
      - .address_space:  global
        .offset:         0
        .size:           8
        .value_kind:     global_buffer
      - .address_space:  global
        .offset:         8
        .size:           8
        .value_kind:     global_buffer
      - .offset:         16
        .size:           4
        .value_kind:     hidden_block_count_x
      - .offset:         20
        .size:           4
        .value_kind:     hidden_block_count_y
      - .offset:         24
        .size:           4
        .value_kind:     hidden_block_count_z
      - .offset:         28
        .size:           2
        .value_kind:     hidden_group_size_x
      - .offset:         30
        .size:           2
        .value_kind:     hidden_group_size_y
      - .offset:         32
        .size:           2
        .value_kind:     hidden_group_size_z
      - .offset:         34
        .size:           2
        .value_kind:     hidden_remainder_x
      - .offset:         36
        .size:           2
        .value_kind:     hidden_remainder_y
      - .offset:         38
        .size:           2
        .value_kind:     hidden_remainder_z
      - .offset:         56
        .size:           8
        .value_kind:     hidden_global_offset_x
      - .offset:         64
        .size:           8
        .value_kind:     hidden_global_offset_y
      - .offset:         72
        .size:           8
        .value_kind:     hidden_global_offset_z
      - .offset:         80
        .size:           2
        .value_kind:     hidden_grid_dims
    .group_segment_fixed_size: 10288
    .kernarg_segment_align: 8
    .kernarg_segment_size: 272
    .language:       OpenCL C
    .language_version:
      - 2
      - 0
    .max_flat_workgroup_size: 320
    .name:           _Z17sort_pairs_kernelI22helper_blocked_stripediLj320ELj4ELj10EEvPKT0_PS1_
    .private_segment_fixed_size: 0
    .sgpr_count:     24
    .sgpr_spill_count: 0
    .symbol:         _Z17sort_pairs_kernelI22helper_blocked_stripediLj320ELj4ELj10EEvPKT0_PS1_.kd
    .uniform_work_group_size: 1
    .uses_dynamic_stack: false
    .vgpr_count:     47
    .vgpr_spill_count: 0
    .wavefront_size: 32
    .workgroup_processor_mode: 1
  - .args:
      - .address_space:  global
        .offset:         0
        .size:           8
        .value_kind:     global_buffer
      - .address_space:  global
        .offset:         8
        .size:           8
        .value_kind:     global_buffer
      - .offset:         16
        .size:           4
        .value_kind:     hidden_block_count_x
      - .offset:         20
        .size:           4
        .value_kind:     hidden_block_count_y
      - .offset:         24
        .size:           4
        .value_kind:     hidden_block_count_z
      - .offset:         28
        .size:           2
        .value_kind:     hidden_group_size_x
      - .offset:         30
        .size:           2
        .value_kind:     hidden_group_size_y
      - .offset:         32
        .size:           2
        .value_kind:     hidden_group_size_z
      - .offset:         34
        .size:           2
        .value_kind:     hidden_remainder_x
      - .offset:         36
        .size:           2
        .value_kind:     hidden_remainder_y
      - .offset:         38
        .size:           2
        .value_kind:     hidden_remainder_z
      - .offset:         56
        .size:           8
        .value_kind:     hidden_global_offset_x
      - .offset:         64
        .size:           8
        .value_kind:     hidden_global_offset_y
      - .offset:         72
        .size:           8
        .value_kind:     hidden_global_offset_z
      - .offset:         80
        .size:           2
        .value_kind:     hidden_grid_dims
    .group_segment_fixed_size: 10560
    .kernarg_segment_align: 8
    .kernarg_segment_size: 272
    .language:       OpenCL C
    .language_version:
      - 2
      - 0
    .max_flat_workgroup_size: 320
    .name:           _Z16sort_keys_kernelI22helper_blocked_stripediLj320ELj8ELj10EEvPKT0_PS1_
    .private_segment_fixed_size: 0
    .sgpr_count:     22
    .sgpr_spill_count: 0
    .symbol:         _Z16sort_keys_kernelI22helper_blocked_stripediLj320ELj8ELj10EEvPKT0_PS1_.kd
    .uniform_work_group_size: 1
    .uses_dynamic_stack: false
    .vgpr_count:     63
    .vgpr_spill_count: 0
    .wavefront_size: 32
    .workgroup_processor_mode: 1
  - .args:
      - .address_space:  global
        .offset:         0
        .size:           8
        .value_kind:     global_buffer
      - .address_space:  global
        .offset:         8
        .size:           8
        .value_kind:     global_buffer
      - .offset:         16
        .size:           4
        .value_kind:     hidden_block_count_x
      - .offset:         20
        .size:           4
        .value_kind:     hidden_block_count_y
      - .offset:         24
        .size:           4
        .value_kind:     hidden_block_count_z
      - .offset:         28
        .size:           2
        .value_kind:     hidden_group_size_x
      - .offset:         30
        .size:           2
        .value_kind:     hidden_group_size_y
      - .offset:         32
        .size:           2
        .value_kind:     hidden_group_size_z
      - .offset:         34
        .size:           2
        .value_kind:     hidden_remainder_x
      - .offset:         36
        .size:           2
        .value_kind:     hidden_remainder_y
      - .offset:         38
        .size:           2
        .value_kind:     hidden_remainder_z
      - .offset:         56
        .size:           8
        .value_kind:     hidden_global_offset_x
      - .offset:         64
        .size:           8
        .value_kind:     hidden_global_offset_y
      - .offset:         72
        .size:           8
        .value_kind:     hidden_global_offset_z
      - .offset:         80
        .size:           2
        .value_kind:     hidden_grid_dims
    .group_segment_fixed_size: 10560
    .kernarg_segment_align: 8
    .kernarg_segment_size: 272
    .language:       OpenCL C
    .language_version:
      - 2
      - 0
    .max_flat_workgroup_size: 320
    .name:           _Z17sort_pairs_kernelI22helper_blocked_stripediLj320ELj8ELj10EEvPKT0_PS1_
    .private_segment_fixed_size: 0
    .sgpr_count:     22
    .sgpr_spill_count: 0
    .symbol:         _Z17sort_pairs_kernelI22helper_blocked_stripediLj320ELj8ELj10EEvPKT0_PS1_.kd
    .uniform_work_group_size: 1
    .uses_dynamic_stack: false
    .vgpr_count:     71
    .vgpr_spill_count: 0
    .wavefront_size: 32
    .workgroup_processor_mode: 1
  - .args:
      - .address_space:  global
        .offset:         0
        .size:           8
        .value_kind:     global_buffer
      - .address_space:  global
        .offset:         8
        .size:           8
        .value_kind:     global_buffer
      - .offset:         16
        .size:           4
        .value_kind:     hidden_block_count_x
      - .offset:         20
        .size:           4
        .value_kind:     hidden_block_count_y
      - .offset:         24
        .size:           4
        .value_kind:     hidden_block_count_z
      - .offset:         28
        .size:           2
        .value_kind:     hidden_group_size_x
      - .offset:         30
        .size:           2
        .value_kind:     hidden_group_size_y
      - .offset:         32
        .size:           2
        .value_kind:     hidden_group_size_z
      - .offset:         34
        .size:           2
        .value_kind:     hidden_remainder_x
      - .offset:         36
        .size:           2
        .value_kind:     hidden_remainder_y
      - .offset:         38
        .size:           2
        .value_kind:     hidden_remainder_z
      - .offset:         56
        .size:           8
        .value_kind:     hidden_global_offset_x
      - .offset:         64
        .size:           8
        .value_kind:     hidden_global_offset_y
      - .offset:         72
        .size:           8
        .value_kind:     hidden_global_offset_z
      - .offset:         80
        .size:           2
        .value_kind:     hidden_grid_dims
    .group_segment_fixed_size: 16448
    .kernarg_segment_align: 8
    .kernarg_segment_size: 272
    .language:       OpenCL C
    .language_version:
      - 2
      - 0
    .max_flat_workgroup_size: 512
    .name:           _Z16sort_keys_kernelI22helper_blocked_stripediLj512ELj1ELj10EEvPKT0_PS1_
    .private_segment_fixed_size: 0
    .sgpr_count:     24
    .sgpr_spill_count: 0
    .symbol:         _Z16sort_keys_kernelI22helper_blocked_stripediLj512ELj1ELj10EEvPKT0_PS1_.kd
    .uniform_work_group_size: 1
    .uses_dynamic_stack: false
    .vgpr_count:     26
    .vgpr_spill_count: 0
    .wavefront_size: 32
    .workgroup_processor_mode: 1
  - .args:
      - .address_space:  global
        .offset:         0
        .size:           8
        .value_kind:     global_buffer
      - .address_space:  global
        .offset:         8
        .size:           8
        .value_kind:     global_buffer
      - .offset:         16
        .size:           4
        .value_kind:     hidden_block_count_x
      - .offset:         20
        .size:           4
        .value_kind:     hidden_block_count_y
      - .offset:         24
        .size:           4
        .value_kind:     hidden_block_count_z
      - .offset:         28
        .size:           2
        .value_kind:     hidden_group_size_x
      - .offset:         30
        .size:           2
        .value_kind:     hidden_group_size_y
      - .offset:         32
        .size:           2
        .value_kind:     hidden_group_size_z
      - .offset:         34
        .size:           2
        .value_kind:     hidden_remainder_x
      - .offset:         36
        .size:           2
        .value_kind:     hidden_remainder_y
      - .offset:         38
        .size:           2
        .value_kind:     hidden_remainder_z
      - .offset:         56
        .size:           8
        .value_kind:     hidden_global_offset_x
      - .offset:         64
        .size:           8
        .value_kind:     hidden_global_offset_y
      - .offset:         72
        .size:           8
        .value_kind:     hidden_global_offset_z
      - .offset:         80
        .size:           2
        .value_kind:     hidden_grid_dims
    .group_segment_fixed_size: 16448
    .kernarg_segment_align: 8
    .kernarg_segment_size: 272
    .language:       OpenCL C
    .language_version:
      - 2
      - 0
    .max_flat_workgroup_size: 512
    .name:           _Z17sort_pairs_kernelI22helper_blocked_stripediLj512ELj1ELj10EEvPKT0_PS1_
    .private_segment_fixed_size: 0
    .sgpr_count:     24
    .sgpr_spill_count: 0
    .symbol:         _Z17sort_pairs_kernelI22helper_blocked_stripediLj512ELj1ELj10EEvPKT0_PS1_.kd
    .uniform_work_group_size: 1
    .uses_dynamic_stack: false
    .vgpr_count:     27
    .vgpr_spill_count: 0
    .wavefront_size: 32
    .workgroup_processor_mode: 1
  - .args:
      - .address_space:  global
        .offset:         0
        .size:           8
        .value_kind:     global_buffer
      - .address_space:  global
        .offset:         8
        .size:           8
        .value_kind:     global_buffer
      - .offset:         16
        .size:           4
        .value_kind:     hidden_block_count_x
      - .offset:         20
        .size:           4
        .value_kind:     hidden_block_count_y
      - .offset:         24
        .size:           4
        .value_kind:     hidden_block_count_z
      - .offset:         28
        .size:           2
        .value_kind:     hidden_group_size_x
      - .offset:         30
        .size:           2
        .value_kind:     hidden_group_size_y
      - .offset:         32
        .size:           2
        .value_kind:     hidden_group_size_z
      - .offset:         34
        .size:           2
        .value_kind:     hidden_remainder_x
      - .offset:         36
        .size:           2
        .value_kind:     hidden_remainder_y
      - .offset:         38
        .size:           2
        .value_kind:     hidden_remainder_z
      - .offset:         56
        .size:           8
        .value_kind:     hidden_global_offset_x
      - .offset:         64
        .size:           8
        .value_kind:     hidden_global_offset_y
      - .offset:         72
        .size:           8
        .value_kind:     hidden_global_offset_z
      - .offset:         80
        .size:           2
        .value_kind:     hidden_grid_dims
    .group_segment_fixed_size: 16448
    .kernarg_segment_align: 8
    .kernarg_segment_size: 272
    .language:       OpenCL C
    .language_version:
      - 2
      - 0
    .max_flat_workgroup_size: 512
    .name:           _Z16sort_keys_kernelI22helper_blocked_stripediLj512ELj3ELj10EEvPKT0_PS1_
    .private_segment_fixed_size: 0
    .sgpr_count:     22
    .sgpr_spill_count: 0
    .symbol:         _Z16sort_keys_kernelI22helper_blocked_stripediLj512ELj3ELj10EEvPKT0_PS1_.kd
    .uniform_work_group_size: 1
    .uses_dynamic_stack: false
    .vgpr_count:     36
    .vgpr_spill_count: 0
    .wavefront_size: 32
    .workgroup_processor_mode: 1
  - .args:
      - .address_space:  global
        .offset:         0
        .size:           8
        .value_kind:     global_buffer
      - .address_space:  global
        .offset:         8
        .size:           8
        .value_kind:     global_buffer
      - .offset:         16
        .size:           4
        .value_kind:     hidden_block_count_x
      - .offset:         20
        .size:           4
        .value_kind:     hidden_block_count_y
      - .offset:         24
        .size:           4
        .value_kind:     hidden_block_count_z
      - .offset:         28
        .size:           2
        .value_kind:     hidden_group_size_x
      - .offset:         30
        .size:           2
        .value_kind:     hidden_group_size_y
      - .offset:         32
        .size:           2
        .value_kind:     hidden_group_size_z
      - .offset:         34
        .size:           2
        .value_kind:     hidden_remainder_x
      - .offset:         36
        .size:           2
        .value_kind:     hidden_remainder_y
      - .offset:         38
        .size:           2
        .value_kind:     hidden_remainder_z
      - .offset:         56
        .size:           8
        .value_kind:     hidden_global_offset_x
      - .offset:         64
        .size:           8
        .value_kind:     hidden_global_offset_y
      - .offset:         72
        .size:           8
        .value_kind:     hidden_global_offset_z
      - .offset:         80
        .size:           2
        .value_kind:     hidden_grid_dims
    .group_segment_fixed_size: 16448
    .kernarg_segment_align: 8
    .kernarg_segment_size: 272
    .language:       OpenCL C
    .language_version:
      - 2
      - 0
    .max_flat_workgroup_size: 512
    .name:           _Z17sort_pairs_kernelI22helper_blocked_stripediLj512ELj3ELj10EEvPKT0_PS1_
    .private_segment_fixed_size: 0
    .sgpr_count:     22
    .sgpr_spill_count: 0
    .symbol:         _Z17sort_pairs_kernelI22helper_blocked_stripediLj512ELj3ELj10EEvPKT0_PS1_.kd
    .uniform_work_group_size: 1
    .uses_dynamic_stack: false
    .vgpr_count:     40
    .vgpr_spill_count: 0
    .wavefront_size: 32
    .workgroup_processor_mode: 1
  - .args:
      - .address_space:  global
        .offset:         0
        .size:           8
        .value_kind:     global_buffer
      - .address_space:  global
        .offset:         8
        .size:           8
        .value_kind:     global_buffer
      - .offset:         16
        .size:           4
        .value_kind:     hidden_block_count_x
      - .offset:         20
        .size:           4
        .value_kind:     hidden_block_count_y
      - .offset:         24
        .size:           4
        .value_kind:     hidden_block_count_z
      - .offset:         28
        .size:           2
        .value_kind:     hidden_group_size_x
      - .offset:         30
        .size:           2
        .value_kind:     hidden_group_size_y
      - .offset:         32
        .size:           2
        .value_kind:     hidden_group_size_z
      - .offset:         34
        .size:           2
        .value_kind:     hidden_remainder_x
      - .offset:         36
        .size:           2
        .value_kind:     hidden_remainder_y
      - .offset:         38
        .size:           2
        .value_kind:     hidden_remainder_z
      - .offset:         56
        .size:           8
        .value_kind:     hidden_global_offset_x
      - .offset:         64
        .size:           8
        .value_kind:     hidden_global_offset_y
      - .offset:         72
        .size:           8
        .value_kind:     hidden_global_offset_z
      - .offset:         80
        .size:           2
        .value_kind:     hidden_grid_dims
    .group_segment_fixed_size: 16448
    .kernarg_segment_align: 8
    .kernarg_segment_size: 272
    .language:       OpenCL C
    .language_version:
      - 2
      - 0
    .max_flat_workgroup_size: 512
    .name:           _Z16sort_keys_kernelI22helper_blocked_stripediLj512ELj4ELj10EEvPKT0_PS1_
    .private_segment_fixed_size: 0
    .sgpr_count:     24
    .sgpr_spill_count: 0
    .symbol:         _Z16sort_keys_kernelI22helper_blocked_stripediLj512ELj4ELj10EEvPKT0_PS1_.kd
    .uniform_work_group_size: 1
    .uses_dynamic_stack: false
    .vgpr_count:     43
    .vgpr_spill_count: 0
    .wavefront_size: 32
    .workgroup_processor_mode: 1
  - .args:
      - .address_space:  global
        .offset:         0
        .size:           8
        .value_kind:     global_buffer
      - .address_space:  global
        .offset:         8
        .size:           8
        .value_kind:     global_buffer
      - .offset:         16
        .size:           4
        .value_kind:     hidden_block_count_x
      - .offset:         20
        .size:           4
        .value_kind:     hidden_block_count_y
      - .offset:         24
        .size:           4
        .value_kind:     hidden_block_count_z
      - .offset:         28
        .size:           2
        .value_kind:     hidden_group_size_x
      - .offset:         30
        .size:           2
        .value_kind:     hidden_group_size_y
      - .offset:         32
        .size:           2
        .value_kind:     hidden_group_size_z
      - .offset:         34
        .size:           2
        .value_kind:     hidden_remainder_x
      - .offset:         36
        .size:           2
        .value_kind:     hidden_remainder_y
      - .offset:         38
        .size:           2
        .value_kind:     hidden_remainder_z
      - .offset:         56
        .size:           8
        .value_kind:     hidden_global_offset_x
      - .offset:         64
        .size:           8
        .value_kind:     hidden_global_offset_y
      - .offset:         72
        .size:           8
        .value_kind:     hidden_global_offset_z
      - .offset:         80
        .size:           2
        .value_kind:     hidden_grid_dims
    .group_segment_fixed_size: 16448
    .kernarg_segment_align: 8
    .kernarg_segment_size: 272
    .language:       OpenCL C
    .language_version:
      - 2
      - 0
    .max_flat_workgroup_size: 512
    .name:           _Z17sort_pairs_kernelI22helper_blocked_stripediLj512ELj4ELj10EEvPKT0_PS1_
    .private_segment_fixed_size: 0
    .sgpr_count:     24
    .sgpr_spill_count: 0
    .symbol:         _Z17sort_pairs_kernelI22helper_blocked_stripediLj512ELj4ELj10EEvPKT0_PS1_.kd
    .uniform_work_group_size: 1
    .uses_dynamic_stack: false
    .vgpr_count:     47
    .vgpr_spill_count: 0
    .wavefront_size: 32
    .workgroup_processor_mode: 1
  - .args:
      - .address_space:  global
        .offset:         0
        .size:           8
        .value_kind:     global_buffer
      - .address_space:  global
        .offset:         8
        .size:           8
        .value_kind:     global_buffer
      - .offset:         16
        .size:           4
        .value_kind:     hidden_block_count_x
      - .offset:         20
        .size:           4
        .value_kind:     hidden_block_count_y
      - .offset:         24
        .size:           4
        .value_kind:     hidden_block_count_z
      - .offset:         28
        .size:           2
        .value_kind:     hidden_group_size_x
      - .offset:         30
        .size:           2
        .value_kind:     hidden_group_size_y
      - .offset:         32
        .size:           2
        .value_kind:     hidden_group_size_z
      - .offset:         34
        .size:           2
        .value_kind:     hidden_remainder_x
      - .offset:         36
        .size:           2
        .value_kind:     hidden_remainder_y
      - .offset:         38
        .size:           2
        .value_kind:     hidden_remainder_z
      - .offset:         56
        .size:           8
        .value_kind:     hidden_global_offset_x
      - .offset:         64
        .size:           8
        .value_kind:     hidden_global_offset_y
      - .offset:         72
        .size:           8
        .value_kind:     hidden_global_offset_z
      - .offset:         80
        .size:           2
        .value_kind:     hidden_grid_dims
    .group_segment_fixed_size: 16448
    .kernarg_segment_align: 8
    .kernarg_segment_size: 272
    .language:       OpenCL C
    .language_version:
      - 2
      - 0
    .max_flat_workgroup_size: 512
    .name:           _Z16sort_keys_kernelI22helper_blocked_stripediLj512ELj8ELj10EEvPKT0_PS1_
    .private_segment_fixed_size: 0
    .sgpr_count:     22
    .sgpr_spill_count: 0
    .symbol:         _Z16sort_keys_kernelI22helper_blocked_stripediLj512ELj8ELj10EEvPKT0_PS1_.kd
    .uniform_work_group_size: 1
    .uses_dynamic_stack: false
    .vgpr_count:     56
    .vgpr_spill_count: 0
    .wavefront_size: 32
    .workgroup_processor_mode: 1
  - .args:
      - .address_space:  global
        .offset:         0
        .size:           8
        .value_kind:     global_buffer
      - .address_space:  global
        .offset:         8
        .size:           8
        .value_kind:     global_buffer
      - .offset:         16
        .size:           4
        .value_kind:     hidden_block_count_x
      - .offset:         20
        .size:           4
        .value_kind:     hidden_block_count_y
      - .offset:         24
        .size:           4
        .value_kind:     hidden_block_count_z
      - .offset:         28
        .size:           2
        .value_kind:     hidden_group_size_x
      - .offset:         30
        .size:           2
        .value_kind:     hidden_group_size_y
      - .offset:         32
        .size:           2
        .value_kind:     hidden_group_size_z
      - .offset:         34
        .size:           2
        .value_kind:     hidden_remainder_x
      - .offset:         36
        .size:           2
        .value_kind:     hidden_remainder_y
      - .offset:         38
        .size:           2
        .value_kind:     hidden_remainder_z
      - .offset:         56
        .size:           8
        .value_kind:     hidden_global_offset_x
      - .offset:         64
        .size:           8
        .value_kind:     hidden_global_offset_y
      - .offset:         72
        .size:           8
        .value_kind:     hidden_global_offset_z
      - .offset:         80
        .size:           2
        .value_kind:     hidden_grid_dims
    .group_segment_fixed_size: 16448
    .kernarg_segment_align: 8
    .kernarg_segment_size: 272
    .language:       OpenCL C
    .language_version:
      - 2
      - 0
    .max_flat_workgroup_size: 512
    .name:           _Z17sort_pairs_kernelI22helper_blocked_stripediLj512ELj8ELj10EEvPKT0_PS1_
    .private_segment_fixed_size: 0
    .sgpr_count:     22
    .sgpr_spill_count: 0
    .symbol:         _Z17sort_pairs_kernelI22helper_blocked_stripediLj512ELj8ELj10EEvPKT0_PS1_.kd
    .uniform_work_group_size: 1
    .uses_dynamic_stack: false
    .vgpr_count:     64
    .vgpr_spill_count: 0
    .wavefront_size: 32
    .workgroup_processor_mode: 1
  - .args:
      - .address_space:  global
        .offset:         0
        .size:           8
        .value_kind:     global_buffer
      - .address_space:  global
        .offset:         8
        .size:           8
        .value_kind:     global_buffer
      - .offset:         16
        .size:           4
        .value_kind:     hidden_block_count_x
      - .offset:         20
        .size:           4
        .value_kind:     hidden_block_count_y
      - .offset:         24
        .size:           4
        .value_kind:     hidden_block_count_z
      - .offset:         28
        .size:           2
        .value_kind:     hidden_group_size_x
      - .offset:         30
        .size:           2
        .value_kind:     hidden_group_size_y
      - .offset:         32
        .size:           2
        .value_kind:     hidden_group_size_z
      - .offset:         34
        .size:           2
        .value_kind:     hidden_remainder_x
      - .offset:         36
        .size:           2
        .value_kind:     hidden_remainder_y
      - .offset:         38
        .size:           2
        .value_kind:     hidden_remainder_z
      - .offset:         56
        .size:           8
        .value_kind:     hidden_global_offset_x
      - .offset:         64
        .size:           8
        .value_kind:     hidden_global_offset_y
      - .offset:         72
        .size:           8
        .value_kind:     hidden_global_offset_z
      - .offset:         80
        .size:           2
        .value_kind:     hidden_grid_dims
    .group_segment_fixed_size: 2064
    .kernarg_segment_align: 8
    .kernarg_segment_size: 272
    .language:       OpenCL C
    .language_version:
      - 2
      - 0
    .max_flat_workgroup_size: 64
    .name:           _Z16sort_keys_kernelI22helper_blocked_stripedaLj64ELj1ELj10EEvPKT0_PS1_
    .private_segment_fixed_size: 0
    .sgpr_count:     22
    .sgpr_spill_count: 0
    .symbol:         _Z16sort_keys_kernelI22helper_blocked_stripedaLj64ELj1ELj10EEvPKT0_PS1_.kd
    .uniform_work_group_size: 1
    .uses_dynamic_stack: false
    .vgpr_count:     25
    .vgpr_spill_count: 0
    .wavefront_size: 32
    .workgroup_processor_mode: 1
  - .args:
      - .address_space:  global
        .offset:         0
        .size:           8
        .value_kind:     global_buffer
      - .address_space:  global
        .offset:         8
        .size:           8
        .value_kind:     global_buffer
      - .offset:         16
        .size:           4
        .value_kind:     hidden_block_count_x
      - .offset:         20
        .size:           4
        .value_kind:     hidden_block_count_y
      - .offset:         24
        .size:           4
        .value_kind:     hidden_block_count_z
      - .offset:         28
        .size:           2
        .value_kind:     hidden_group_size_x
      - .offset:         30
        .size:           2
        .value_kind:     hidden_group_size_y
      - .offset:         32
        .size:           2
        .value_kind:     hidden_group_size_z
      - .offset:         34
        .size:           2
        .value_kind:     hidden_remainder_x
      - .offset:         36
        .size:           2
        .value_kind:     hidden_remainder_y
      - .offset:         38
        .size:           2
        .value_kind:     hidden_remainder_z
      - .offset:         56
        .size:           8
        .value_kind:     hidden_global_offset_x
      - .offset:         64
        .size:           8
        .value_kind:     hidden_global_offset_y
      - .offset:         72
        .size:           8
        .value_kind:     hidden_global_offset_z
      - .offset:         80
        .size:           2
        .value_kind:     hidden_grid_dims
    .group_segment_fixed_size: 2064
    .kernarg_segment_align: 8
    .kernarg_segment_size: 272
    .language:       OpenCL C
    .language_version:
      - 2
      - 0
    .max_flat_workgroup_size: 64
    .name:           _Z17sort_pairs_kernelI22helper_blocked_stripedaLj64ELj1ELj10EEvPKT0_PS1_
    .private_segment_fixed_size: 0
    .sgpr_count:     22
    .sgpr_spill_count: 0
    .symbol:         _Z17sort_pairs_kernelI22helper_blocked_stripedaLj64ELj1ELj10EEvPKT0_PS1_.kd
    .uniform_work_group_size: 1
    .uses_dynamic_stack: false
    .vgpr_count:     26
    .vgpr_spill_count: 0
    .wavefront_size: 32
    .workgroup_processor_mode: 1
  - .args:
      - .address_space:  global
        .offset:         0
        .size:           8
        .value_kind:     global_buffer
      - .address_space:  global
        .offset:         8
        .size:           8
        .value_kind:     global_buffer
      - .offset:         16
        .size:           4
        .value_kind:     hidden_block_count_x
      - .offset:         20
        .size:           4
        .value_kind:     hidden_block_count_y
      - .offset:         24
        .size:           4
        .value_kind:     hidden_block_count_z
      - .offset:         28
        .size:           2
        .value_kind:     hidden_group_size_x
      - .offset:         30
        .size:           2
        .value_kind:     hidden_group_size_y
      - .offset:         32
        .size:           2
        .value_kind:     hidden_group_size_z
      - .offset:         34
        .size:           2
        .value_kind:     hidden_remainder_x
      - .offset:         36
        .size:           2
        .value_kind:     hidden_remainder_y
      - .offset:         38
        .size:           2
        .value_kind:     hidden_remainder_z
      - .offset:         56
        .size:           8
        .value_kind:     hidden_global_offset_x
      - .offset:         64
        .size:           8
        .value_kind:     hidden_global_offset_y
      - .offset:         72
        .size:           8
        .value_kind:     hidden_global_offset_z
      - .offset:         80
        .size:           2
        .value_kind:     hidden_grid_dims
    .group_segment_fixed_size: 2064
    .kernarg_segment_align: 8
    .kernarg_segment_size: 272
    .language:       OpenCL C
    .language_version:
      - 2
      - 0
    .max_flat_workgroup_size: 64
    .name:           _Z16sort_keys_kernelI22helper_blocked_stripedaLj64ELj3ELj10EEvPKT0_PS1_
    .private_segment_fixed_size: 0
    .sgpr_count:     22
    .sgpr_spill_count: 0
    .symbol:         _Z16sort_keys_kernelI22helper_blocked_stripedaLj64ELj3ELj10EEvPKT0_PS1_.kd
    .uniform_work_group_size: 1
    .uses_dynamic_stack: false
    .vgpr_count:     35
    .vgpr_spill_count: 0
    .wavefront_size: 32
    .workgroup_processor_mode: 1
  - .args:
      - .address_space:  global
        .offset:         0
        .size:           8
        .value_kind:     global_buffer
      - .address_space:  global
        .offset:         8
        .size:           8
        .value_kind:     global_buffer
      - .offset:         16
        .size:           4
        .value_kind:     hidden_block_count_x
      - .offset:         20
        .size:           4
        .value_kind:     hidden_block_count_y
      - .offset:         24
        .size:           4
        .value_kind:     hidden_block_count_z
      - .offset:         28
        .size:           2
        .value_kind:     hidden_group_size_x
      - .offset:         30
        .size:           2
        .value_kind:     hidden_group_size_y
      - .offset:         32
        .size:           2
        .value_kind:     hidden_group_size_z
      - .offset:         34
        .size:           2
        .value_kind:     hidden_remainder_x
      - .offset:         36
        .size:           2
        .value_kind:     hidden_remainder_y
      - .offset:         38
        .size:           2
        .value_kind:     hidden_remainder_z
      - .offset:         56
        .size:           8
        .value_kind:     hidden_global_offset_x
      - .offset:         64
        .size:           8
        .value_kind:     hidden_global_offset_y
      - .offset:         72
        .size:           8
        .value_kind:     hidden_global_offset_z
      - .offset:         80
        .size:           2
        .value_kind:     hidden_grid_dims
    .group_segment_fixed_size: 2064
    .kernarg_segment_align: 8
    .kernarg_segment_size: 272
    .language:       OpenCL C
    .language_version:
      - 2
      - 0
    .max_flat_workgroup_size: 64
    .name:           _Z17sort_pairs_kernelI22helper_blocked_stripedaLj64ELj3ELj10EEvPKT0_PS1_
    .private_segment_fixed_size: 0
    .sgpr_count:     22
    .sgpr_spill_count: 0
    .symbol:         _Z17sort_pairs_kernelI22helper_blocked_stripedaLj64ELj3ELj10EEvPKT0_PS1_.kd
    .uniform_work_group_size: 1
    .uses_dynamic_stack: false
    .vgpr_count:     38
    .vgpr_spill_count: 0
    .wavefront_size: 32
    .workgroup_processor_mode: 1
  - .args:
      - .address_space:  global
        .offset:         0
        .size:           8
        .value_kind:     global_buffer
      - .address_space:  global
        .offset:         8
        .size:           8
        .value_kind:     global_buffer
      - .offset:         16
        .size:           4
        .value_kind:     hidden_block_count_x
      - .offset:         20
        .size:           4
        .value_kind:     hidden_block_count_y
      - .offset:         24
        .size:           4
        .value_kind:     hidden_block_count_z
      - .offset:         28
        .size:           2
        .value_kind:     hidden_group_size_x
      - .offset:         30
        .size:           2
        .value_kind:     hidden_group_size_y
      - .offset:         32
        .size:           2
        .value_kind:     hidden_group_size_z
      - .offset:         34
        .size:           2
        .value_kind:     hidden_remainder_x
      - .offset:         36
        .size:           2
        .value_kind:     hidden_remainder_y
      - .offset:         38
        .size:           2
        .value_kind:     hidden_remainder_z
      - .offset:         56
        .size:           8
        .value_kind:     hidden_global_offset_x
      - .offset:         64
        .size:           8
        .value_kind:     hidden_global_offset_y
      - .offset:         72
        .size:           8
        .value_kind:     hidden_global_offset_z
      - .offset:         80
        .size:           2
        .value_kind:     hidden_grid_dims
    .group_segment_fixed_size: 2064
    .kernarg_segment_align: 8
    .kernarg_segment_size: 272
    .language:       OpenCL C
    .language_version:
      - 2
      - 0
    .max_flat_workgroup_size: 64
    .name:           _Z16sort_keys_kernelI22helper_blocked_stripedaLj64ELj4ELj10EEvPKT0_PS1_
    .private_segment_fixed_size: 0
    .sgpr_count:     23
    .sgpr_spill_count: 0
    .symbol:         _Z16sort_keys_kernelI22helper_blocked_stripedaLj64ELj4ELj10EEvPKT0_PS1_.kd
    .uniform_work_group_size: 1
    .uses_dynamic_stack: false
    .vgpr_count:     41
    .vgpr_spill_count: 0
    .wavefront_size: 32
    .workgroup_processor_mode: 1
  - .args:
      - .address_space:  global
        .offset:         0
        .size:           8
        .value_kind:     global_buffer
      - .address_space:  global
        .offset:         8
        .size:           8
        .value_kind:     global_buffer
      - .offset:         16
        .size:           4
        .value_kind:     hidden_block_count_x
      - .offset:         20
        .size:           4
        .value_kind:     hidden_block_count_y
      - .offset:         24
        .size:           4
        .value_kind:     hidden_block_count_z
      - .offset:         28
        .size:           2
        .value_kind:     hidden_group_size_x
      - .offset:         30
        .size:           2
        .value_kind:     hidden_group_size_y
      - .offset:         32
        .size:           2
        .value_kind:     hidden_group_size_z
      - .offset:         34
        .size:           2
        .value_kind:     hidden_remainder_x
      - .offset:         36
        .size:           2
        .value_kind:     hidden_remainder_y
      - .offset:         38
        .size:           2
        .value_kind:     hidden_remainder_z
      - .offset:         56
        .size:           8
        .value_kind:     hidden_global_offset_x
      - .offset:         64
        .size:           8
        .value_kind:     hidden_global_offset_y
      - .offset:         72
        .size:           8
        .value_kind:     hidden_global_offset_z
      - .offset:         80
        .size:           2
        .value_kind:     hidden_grid_dims
    .group_segment_fixed_size: 2064
    .kernarg_segment_align: 8
    .kernarg_segment_size: 272
    .language:       OpenCL C
    .language_version:
      - 2
      - 0
    .max_flat_workgroup_size: 64
    .name:           _Z17sort_pairs_kernelI22helper_blocked_stripedaLj64ELj4ELj10EEvPKT0_PS1_
    .private_segment_fixed_size: 0
    .sgpr_count:     23
    .sgpr_spill_count: 0
    .symbol:         _Z17sort_pairs_kernelI22helper_blocked_stripedaLj64ELj4ELj10EEvPKT0_PS1_.kd
    .uniform_work_group_size: 1
    .uses_dynamic_stack: false
    .vgpr_count:     57
    .vgpr_spill_count: 0
    .wavefront_size: 32
    .workgroup_processor_mode: 1
  - .args:
      - .address_space:  global
        .offset:         0
        .size:           8
        .value_kind:     global_buffer
      - .address_space:  global
        .offset:         8
        .size:           8
        .value_kind:     global_buffer
      - .offset:         16
        .size:           4
        .value_kind:     hidden_block_count_x
      - .offset:         20
        .size:           4
        .value_kind:     hidden_block_count_y
      - .offset:         24
        .size:           4
        .value_kind:     hidden_block_count_z
      - .offset:         28
        .size:           2
        .value_kind:     hidden_group_size_x
      - .offset:         30
        .size:           2
        .value_kind:     hidden_group_size_y
      - .offset:         32
        .size:           2
        .value_kind:     hidden_group_size_z
      - .offset:         34
        .size:           2
        .value_kind:     hidden_remainder_x
      - .offset:         36
        .size:           2
        .value_kind:     hidden_remainder_y
      - .offset:         38
        .size:           2
        .value_kind:     hidden_remainder_z
      - .offset:         56
        .size:           8
        .value_kind:     hidden_global_offset_x
      - .offset:         64
        .size:           8
        .value_kind:     hidden_global_offset_y
      - .offset:         72
        .size:           8
        .value_kind:     hidden_global_offset_z
      - .offset:         80
        .size:           2
        .value_kind:     hidden_grid_dims
    .group_segment_fixed_size: 2064
    .kernarg_segment_align: 8
    .kernarg_segment_size: 272
    .language:       OpenCL C
    .language_version:
      - 2
      - 0
    .max_flat_workgroup_size: 64
    .name:           _Z16sort_keys_kernelI22helper_blocked_stripedaLj64ELj8ELj10EEvPKT0_PS1_
    .private_segment_fixed_size: 0
    .sgpr_count:     22
    .sgpr_spill_count: 0
    .symbol:         _Z16sort_keys_kernelI22helper_blocked_stripedaLj64ELj8ELj10EEvPKT0_PS1_.kd
    .uniform_work_group_size: 1
    .uses_dynamic_stack: false
    .vgpr_count:     55
    .vgpr_spill_count: 0
    .wavefront_size: 32
    .workgroup_processor_mode: 1
  - .args:
      - .address_space:  global
        .offset:         0
        .size:           8
        .value_kind:     global_buffer
      - .address_space:  global
        .offset:         8
        .size:           8
        .value_kind:     global_buffer
      - .offset:         16
        .size:           4
        .value_kind:     hidden_block_count_x
      - .offset:         20
        .size:           4
        .value_kind:     hidden_block_count_y
      - .offset:         24
        .size:           4
        .value_kind:     hidden_block_count_z
      - .offset:         28
        .size:           2
        .value_kind:     hidden_group_size_x
      - .offset:         30
        .size:           2
        .value_kind:     hidden_group_size_y
      - .offset:         32
        .size:           2
        .value_kind:     hidden_group_size_z
      - .offset:         34
        .size:           2
        .value_kind:     hidden_remainder_x
      - .offset:         36
        .size:           2
        .value_kind:     hidden_remainder_y
      - .offset:         38
        .size:           2
        .value_kind:     hidden_remainder_z
      - .offset:         56
        .size:           8
        .value_kind:     hidden_global_offset_x
      - .offset:         64
        .size:           8
        .value_kind:     hidden_global_offset_y
      - .offset:         72
        .size:           8
        .value_kind:     hidden_global_offset_z
      - .offset:         80
        .size:           2
        .value_kind:     hidden_grid_dims
    .group_segment_fixed_size: 2064
    .kernarg_segment_align: 8
    .kernarg_segment_size: 272
    .language:       OpenCL C
    .language_version:
      - 2
      - 0
    .max_flat_workgroup_size: 64
    .name:           _Z17sort_pairs_kernelI22helper_blocked_stripedaLj64ELj8ELj10EEvPKT0_PS1_
    .private_segment_fixed_size: 0
    .sgpr_count:     22
    .sgpr_spill_count: 0
    .symbol:         _Z17sort_pairs_kernelI22helper_blocked_stripedaLj64ELj8ELj10EEvPKT0_PS1_.kd
    .uniform_work_group_size: 1
    .uses_dynamic_stack: false
    .vgpr_count:     63
    .vgpr_spill_count: 0
    .wavefront_size: 32
    .workgroup_processor_mode: 1
  - .args:
      - .address_space:  global
        .offset:         0
        .size:           8
        .value_kind:     global_buffer
      - .address_space:  global
        .offset:         8
        .size:           8
        .value_kind:     global_buffer
      - .offset:         16
        .size:           4
        .value_kind:     hidden_block_count_x
      - .offset:         20
        .size:           4
        .value_kind:     hidden_block_count_y
      - .offset:         24
        .size:           4
        .value_kind:     hidden_block_count_z
      - .offset:         28
        .size:           2
        .value_kind:     hidden_group_size_x
      - .offset:         30
        .size:           2
        .value_kind:     hidden_group_size_y
      - .offset:         32
        .size:           2
        .value_kind:     hidden_group_size_z
      - .offset:         34
        .size:           2
        .value_kind:     hidden_remainder_x
      - .offset:         36
        .size:           2
        .value_kind:     hidden_remainder_y
      - .offset:         38
        .size:           2
        .value_kind:     hidden_remainder_z
      - .offset:         56
        .size:           8
        .value_kind:     hidden_global_offset_x
      - .offset:         64
        .size:           8
        .value_kind:     hidden_global_offset_y
      - .offset:         72
        .size:           8
        .value_kind:     hidden_global_offset_z
      - .offset:         80
        .size:           2
        .value_kind:     hidden_grid_dims
    .group_segment_fixed_size: 4112
    .kernarg_segment_align: 8
    .kernarg_segment_size: 272
    .language:       OpenCL C
    .language_version:
      - 2
      - 0
    .max_flat_workgroup_size: 128
    .name:           _Z16sort_keys_kernelI22helper_blocked_stripedaLj128ELj1ELj10EEvPKT0_PS1_
    .private_segment_fixed_size: 0
    .sgpr_count:     22
    .sgpr_spill_count: 0
    .symbol:         _Z16sort_keys_kernelI22helper_blocked_stripedaLj128ELj1ELj10EEvPKT0_PS1_.kd
    .uniform_work_group_size: 1
    .uses_dynamic_stack: false
    .vgpr_count:     25
    .vgpr_spill_count: 0
    .wavefront_size: 32
    .workgroup_processor_mode: 1
  - .args:
      - .address_space:  global
        .offset:         0
        .size:           8
        .value_kind:     global_buffer
      - .address_space:  global
        .offset:         8
        .size:           8
        .value_kind:     global_buffer
      - .offset:         16
        .size:           4
        .value_kind:     hidden_block_count_x
      - .offset:         20
        .size:           4
        .value_kind:     hidden_block_count_y
      - .offset:         24
        .size:           4
        .value_kind:     hidden_block_count_z
      - .offset:         28
        .size:           2
        .value_kind:     hidden_group_size_x
      - .offset:         30
        .size:           2
        .value_kind:     hidden_group_size_y
      - .offset:         32
        .size:           2
        .value_kind:     hidden_group_size_z
      - .offset:         34
        .size:           2
        .value_kind:     hidden_remainder_x
      - .offset:         36
        .size:           2
        .value_kind:     hidden_remainder_y
      - .offset:         38
        .size:           2
        .value_kind:     hidden_remainder_z
      - .offset:         56
        .size:           8
        .value_kind:     hidden_global_offset_x
      - .offset:         64
        .size:           8
        .value_kind:     hidden_global_offset_y
      - .offset:         72
        .size:           8
        .value_kind:     hidden_global_offset_z
      - .offset:         80
        .size:           2
        .value_kind:     hidden_grid_dims
    .group_segment_fixed_size: 4112
    .kernarg_segment_align: 8
    .kernarg_segment_size: 272
    .language:       OpenCL C
    .language_version:
      - 2
      - 0
    .max_flat_workgroup_size: 128
    .name:           _Z17sort_pairs_kernelI22helper_blocked_stripedaLj128ELj1ELj10EEvPKT0_PS1_
    .private_segment_fixed_size: 0
    .sgpr_count:     22
    .sgpr_spill_count: 0
    .symbol:         _Z17sort_pairs_kernelI22helper_blocked_stripedaLj128ELj1ELj10EEvPKT0_PS1_.kd
    .uniform_work_group_size: 1
    .uses_dynamic_stack: false
    .vgpr_count:     26
    .vgpr_spill_count: 0
    .wavefront_size: 32
    .workgroup_processor_mode: 1
  - .args:
      - .address_space:  global
        .offset:         0
        .size:           8
        .value_kind:     global_buffer
      - .address_space:  global
        .offset:         8
        .size:           8
        .value_kind:     global_buffer
      - .offset:         16
        .size:           4
        .value_kind:     hidden_block_count_x
      - .offset:         20
        .size:           4
        .value_kind:     hidden_block_count_y
      - .offset:         24
        .size:           4
        .value_kind:     hidden_block_count_z
      - .offset:         28
        .size:           2
        .value_kind:     hidden_group_size_x
      - .offset:         30
        .size:           2
        .value_kind:     hidden_group_size_y
      - .offset:         32
        .size:           2
        .value_kind:     hidden_group_size_z
      - .offset:         34
        .size:           2
        .value_kind:     hidden_remainder_x
      - .offset:         36
        .size:           2
        .value_kind:     hidden_remainder_y
      - .offset:         38
        .size:           2
        .value_kind:     hidden_remainder_z
      - .offset:         56
        .size:           8
        .value_kind:     hidden_global_offset_x
      - .offset:         64
        .size:           8
        .value_kind:     hidden_global_offset_y
      - .offset:         72
        .size:           8
        .value_kind:     hidden_global_offset_z
      - .offset:         80
        .size:           2
        .value_kind:     hidden_grid_dims
    .group_segment_fixed_size: 4112
    .kernarg_segment_align: 8
    .kernarg_segment_size: 272
    .language:       OpenCL C
    .language_version:
      - 2
      - 0
    .max_flat_workgroup_size: 128
    .name:           _Z16sort_keys_kernelI22helper_blocked_stripedaLj128ELj3ELj10EEvPKT0_PS1_
    .private_segment_fixed_size: 0
    .sgpr_count:     22
    .sgpr_spill_count: 0
    .symbol:         _Z16sort_keys_kernelI22helper_blocked_stripedaLj128ELj3ELj10EEvPKT0_PS1_.kd
    .uniform_work_group_size: 1
    .uses_dynamic_stack: false
    .vgpr_count:     35
    .vgpr_spill_count: 0
    .wavefront_size: 32
    .workgroup_processor_mode: 1
  - .args:
      - .address_space:  global
        .offset:         0
        .size:           8
        .value_kind:     global_buffer
      - .address_space:  global
        .offset:         8
        .size:           8
        .value_kind:     global_buffer
      - .offset:         16
        .size:           4
        .value_kind:     hidden_block_count_x
      - .offset:         20
        .size:           4
        .value_kind:     hidden_block_count_y
      - .offset:         24
        .size:           4
        .value_kind:     hidden_block_count_z
      - .offset:         28
        .size:           2
        .value_kind:     hidden_group_size_x
      - .offset:         30
        .size:           2
        .value_kind:     hidden_group_size_y
      - .offset:         32
        .size:           2
        .value_kind:     hidden_group_size_z
      - .offset:         34
        .size:           2
        .value_kind:     hidden_remainder_x
      - .offset:         36
        .size:           2
        .value_kind:     hidden_remainder_y
      - .offset:         38
        .size:           2
        .value_kind:     hidden_remainder_z
      - .offset:         56
        .size:           8
        .value_kind:     hidden_global_offset_x
      - .offset:         64
        .size:           8
        .value_kind:     hidden_global_offset_y
      - .offset:         72
        .size:           8
        .value_kind:     hidden_global_offset_z
      - .offset:         80
        .size:           2
        .value_kind:     hidden_grid_dims
    .group_segment_fixed_size: 4112
    .kernarg_segment_align: 8
    .kernarg_segment_size: 272
    .language:       OpenCL C
    .language_version:
      - 2
      - 0
    .max_flat_workgroup_size: 128
    .name:           _Z17sort_pairs_kernelI22helper_blocked_stripedaLj128ELj3ELj10EEvPKT0_PS1_
    .private_segment_fixed_size: 0
    .sgpr_count:     22
    .sgpr_spill_count: 0
    .symbol:         _Z17sort_pairs_kernelI22helper_blocked_stripedaLj128ELj3ELj10EEvPKT0_PS1_.kd
    .uniform_work_group_size: 1
    .uses_dynamic_stack: false
    .vgpr_count:     38
    .vgpr_spill_count: 0
    .wavefront_size: 32
    .workgroup_processor_mode: 1
  - .args:
      - .address_space:  global
        .offset:         0
        .size:           8
        .value_kind:     global_buffer
      - .address_space:  global
        .offset:         8
        .size:           8
        .value_kind:     global_buffer
      - .offset:         16
        .size:           4
        .value_kind:     hidden_block_count_x
      - .offset:         20
        .size:           4
        .value_kind:     hidden_block_count_y
      - .offset:         24
        .size:           4
        .value_kind:     hidden_block_count_z
      - .offset:         28
        .size:           2
        .value_kind:     hidden_group_size_x
      - .offset:         30
        .size:           2
        .value_kind:     hidden_group_size_y
      - .offset:         32
        .size:           2
        .value_kind:     hidden_group_size_z
      - .offset:         34
        .size:           2
        .value_kind:     hidden_remainder_x
      - .offset:         36
        .size:           2
        .value_kind:     hidden_remainder_y
      - .offset:         38
        .size:           2
        .value_kind:     hidden_remainder_z
      - .offset:         56
        .size:           8
        .value_kind:     hidden_global_offset_x
      - .offset:         64
        .size:           8
        .value_kind:     hidden_global_offset_y
      - .offset:         72
        .size:           8
        .value_kind:     hidden_global_offset_z
      - .offset:         80
        .size:           2
        .value_kind:     hidden_grid_dims
    .group_segment_fixed_size: 4112
    .kernarg_segment_align: 8
    .kernarg_segment_size: 272
    .language:       OpenCL C
    .language_version:
      - 2
      - 0
    .max_flat_workgroup_size: 128
    .name:           _Z16sort_keys_kernelI22helper_blocked_stripedaLj128ELj4ELj10EEvPKT0_PS1_
    .private_segment_fixed_size: 0
    .sgpr_count:     23
    .sgpr_spill_count: 0
    .symbol:         _Z16sort_keys_kernelI22helper_blocked_stripedaLj128ELj4ELj10EEvPKT0_PS1_.kd
    .uniform_work_group_size: 1
    .uses_dynamic_stack: false
    .vgpr_count:     41
    .vgpr_spill_count: 0
    .wavefront_size: 32
    .workgroup_processor_mode: 1
  - .args:
      - .address_space:  global
        .offset:         0
        .size:           8
        .value_kind:     global_buffer
      - .address_space:  global
        .offset:         8
        .size:           8
        .value_kind:     global_buffer
      - .offset:         16
        .size:           4
        .value_kind:     hidden_block_count_x
      - .offset:         20
        .size:           4
        .value_kind:     hidden_block_count_y
      - .offset:         24
        .size:           4
        .value_kind:     hidden_block_count_z
      - .offset:         28
        .size:           2
        .value_kind:     hidden_group_size_x
      - .offset:         30
        .size:           2
        .value_kind:     hidden_group_size_y
      - .offset:         32
        .size:           2
        .value_kind:     hidden_group_size_z
      - .offset:         34
        .size:           2
        .value_kind:     hidden_remainder_x
      - .offset:         36
        .size:           2
        .value_kind:     hidden_remainder_y
      - .offset:         38
        .size:           2
        .value_kind:     hidden_remainder_z
      - .offset:         56
        .size:           8
        .value_kind:     hidden_global_offset_x
      - .offset:         64
        .size:           8
        .value_kind:     hidden_global_offset_y
      - .offset:         72
        .size:           8
        .value_kind:     hidden_global_offset_z
      - .offset:         80
        .size:           2
        .value_kind:     hidden_grid_dims
    .group_segment_fixed_size: 4112
    .kernarg_segment_align: 8
    .kernarg_segment_size: 272
    .language:       OpenCL C
    .language_version:
      - 2
      - 0
    .max_flat_workgroup_size: 128
    .name:           _Z17sort_pairs_kernelI22helper_blocked_stripedaLj128ELj4ELj10EEvPKT0_PS1_
    .private_segment_fixed_size: 0
    .sgpr_count:     23
    .sgpr_spill_count: 0
    .symbol:         _Z17sort_pairs_kernelI22helper_blocked_stripedaLj128ELj4ELj10EEvPKT0_PS1_.kd
    .uniform_work_group_size: 1
    .uses_dynamic_stack: false
    .vgpr_count:     57
    .vgpr_spill_count: 0
    .wavefront_size: 32
    .workgroup_processor_mode: 1
  - .args:
      - .address_space:  global
        .offset:         0
        .size:           8
        .value_kind:     global_buffer
      - .address_space:  global
        .offset:         8
        .size:           8
        .value_kind:     global_buffer
      - .offset:         16
        .size:           4
        .value_kind:     hidden_block_count_x
      - .offset:         20
        .size:           4
        .value_kind:     hidden_block_count_y
      - .offset:         24
        .size:           4
        .value_kind:     hidden_block_count_z
      - .offset:         28
        .size:           2
        .value_kind:     hidden_group_size_x
      - .offset:         30
        .size:           2
        .value_kind:     hidden_group_size_y
      - .offset:         32
        .size:           2
        .value_kind:     hidden_group_size_z
      - .offset:         34
        .size:           2
        .value_kind:     hidden_remainder_x
      - .offset:         36
        .size:           2
        .value_kind:     hidden_remainder_y
      - .offset:         38
        .size:           2
        .value_kind:     hidden_remainder_z
      - .offset:         56
        .size:           8
        .value_kind:     hidden_global_offset_x
      - .offset:         64
        .size:           8
        .value_kind:     hidden_global_offset_y
      - .offset:         72
        .size:           8
        .value_kind:     hidden_global_offset_z
      - .offset:         80
        .size:           2
        .value_kind:     hidden_grid_dims
    .group_segment_fixed_size: 4112
    .kernarg_segment_align: 8
    .kernarg_segment_size: 272
    .language:       OpenCL C
    .language_version:
      - 2
      - 0
    .max_flat_workgroup_size: 128
    .name:           _Z16sort_keys_kernelI22helper_blocked_stripedaLj128ELj8ELj10EEvPKT0_PS1_
    .private_segment_fixed_size: 0
    .sgpr_count:     22
    .sgpr_spill_count: 0
    .symbol:         _Z16sort_keys_kernelI22helper_blocked_stripedaLj128ELj8ELj10EEvPKT0_PS1_.kd
    .uniform_work_group_size: 1
    .uses_dynamic_stack: false
    .vgpr_count:     55
    .vgpr_spill_count: 0
    .wavefront_size: 32
    .workgroup_processor_mode: 1
  - .args:
      - .address_space:  global
        .offset:         0
        .size:           8
        .value_kind:     global_buffer
      - .address_space:  global
        .offset:         8
        .size:           8
        .value_kind:     global_buffer
      - .offset:         16
        .size:           4
        .value_kind:     hidden_block_count_x
      - .offset:         20
        .size:           4
        .value_kind:     hidden_block_count_y
      - .offset:         24
        .size:           4
        .value_kind:     hidden_block_count_z
      - .offset:         28
        .size:           2
        .value_kind:     hidden_group_size_x
      - .offset:         30
        .size:           2
        .value_kind:     hidden_group_size_y
      - .offset:         32
        .size:           2
        .value_kind:     hidden_group_size_z
      - .offset:         34
        .size:           2
        .value_kind:     hidden_remainder_x
      - .offset:         36
        .size:           2
        .value_kind:     hidden_remainder_y
      - .offset:         38
        .size:           2
        .value_kind:     hidden_remainder_z
      - .offset:         56
        .size:           8
        .value_kind:     hidden_global_offset_x
      - .offset:         64
        .size:           8
        .value_kind:     hidden_global_offset_y
      - .offset:         72
        .size:           8
        .value_kind:     hidden_global_offset_z
      - .offset:         80
        .size:           2
        .value_kind:     hidden_grid_dims
    .group_segment_fixed_size: 4112
    .kernarg_segment_align: 8
    .kernarg_segment_size: 272
    .language:       OpenCL C
    .language_version:
      - 2
      - 0
    .max_flat_workgroup_size: 128
    .name:           _Z17sort_pairs_kernelI22helper_blocked_stripedaLj128ELj8ELj10EEvPKT0_PS1_
    .private_segment_fixed_size: 0
    .sgpr_count:     22
    .sgpr_spill_count: 0
    .symbol:         _Z17sort_pairs_kernelI22helper_blocked_stripedaLj128ELj8ELj10EEvPKT0_PS1_.kd
    .uniform_work_group_size: 1
    .uses_dynamic_stack: false
    .vgpr_count:     63
    .vgpr_spill_count: 0
    .wavefront_size: 32
    .workgroup_processor_mode: 1
  - .args:
      - .address_space:  global
        .offset:         0
        .size:           8
        .value_kind:     global_buffer
      - .address_space:  global
        .offset:         8
        .size:           8
        .value_kind:     global_buffer
      - .offset:         16
        .size:           4
        .value_kind:     hidden_block_count_x
      - .offset:         20
        .size:           4
        .value_kind:     hidden_block_count_y
      - .offset:         24
        .size:           4
        .value_kind:     hidden_block_count_z
      - .offset:         28
        .size:           2
        .value_kind:     hidden_group_size_x
      - .offset:         30
        .size:           2
        .value_kind:     hidden_group_size_y
      - .offset:         32
        .size:           2
        .value_kind:     hidden_group_size_z
      - .offset:         34
        .size:           2
        .value_kind:     hidden_remainder_x
      - .offset:         36
        .size:           2
        .value_kind:     hidden_remainder_y
      - .offset:         38
        .size:           2
        .value_kind:     hidden_remainder_z
      - .offset:         56
        .size:           8
        .value_kind:     hidden_global_offset_x
      - .offset:         64
        .size:           8
        .value_kind:     hidden_global_offset_y
      - .offset:         72
        .size:           8
        .value_kind:     hidden_global_offset_z
      - .offset:         80
        .size:           2
        .value_kind:     hidden_grid_dims
    .group_segment_fixed_size: 6176
    .kernarg_segment_align: 8
    .kernarg_segment_size: 272
    .language:       OpenCL C
    .language_version:
      - 2
      - 0
    .max_flat_workgroup_size: 192
    .name:           _Z16sort_keys_kernelI22helper_blocked_stripedaLj192ELj1ELj10EEvPKT0_PS1_
    .private_segment_fixed_size: 0
    .sgpr_count:     22
    .sgpr_spill_count: 0
    .symbol:         _Z16sort_keys_kernelI22helper_blocked_stripedaLj192ELj1ELj10EEvPKT0_PS1_.kd
    .uniform_work_group_size: 1
    .uses_dynamic_stack: false
    .vgpr_count:     25
    .vgpr_spill_count: 0
    .wavefront_size: 32
    .workgroup_processor_mode: 1
  - .args:
      - .address_space:  global
        .offset:         0
        .size:           8
        .value_kind:     global_buffer
      - .address_space:  global
        .offset:         8
        .size:           8
        .value_kind:     global_buffer
      - .offset:         16
        .size:           4
        .value_kind:     hidden_block_count_x
      - .offset:         20
        .size:           4
        .value_kind:     hidden_block_count_y
      - .offset:         24
        .size:           4
        .value_kind:     hidden_block_count_z
      - .offset:         28
        .size:           2
        .value_kind:     hidden_group_size_x
      - .offset:         30
        .size:           2
        .value_kind:     hidden_group_size_y
      - .offset:         32
        .size:           2
        .value_kind:     hidden_group_size_z
      - .offset:         34
        .size:           2
        .value_kind:     hidden_remainder_x
      - .offset:         36
        .size:           2
        .value_kind:     hidden_remainder_y
      - .offset:         38
        .size:           2
        .value_kind:     hidden_remainder_z
      - .offset:         56
        .size:           8
        .value_kind:     hidden_global_offset_x
      - .offset:         64
        .size:           8
        .value_kind:     hidden_global_offset_y
      - .offset:         72
        .size:           8
        .value_kind:     hidden_global_offset_z
      - .offset:         80
        .size:           2
        .value_kind:     hidden_grid_dims
    .group_segment_fixed_size: 6176
    .kernarg_segment_align: 8
    .kernarg_segment_size: 272
    .language:       OpenCL C
    .language_version:
      - 2
      - 0
    .max_flat_workgroup_size: 192
    .name:           _Z17sort_pairs_kernelI22helper_blocked_stripedaLj192ELj1ELj10EEvPKT0_PS1_
    .private_segment_fixed_size: 0
    .sgpr_count:     22
    .sgpr_spill_count: 0
    .symbol:         _Z17sort_pairs_kernelI22helper_blocked_stripedaLj192ELj1ELj10EEvPKT0_PS1_.kd
    .uniform_work_group_size: 1
    .uses_dynamic_stack: false
    .vgpr_count:     26
    .vgpr_spill_count: 0
    .wavefront_size: 32
    .workgroup_processor_mode: 1
  - .args:
      - .address_space:  global
        .offset:         0
        .size:           8
        .value_kind:     global_buffer
      - .address_space:  global
        .offset:         8
        .size:           8
        .value_kind:     global_buffer
      - .offset:         16
        .size:           4
        .value_kind:     hidden_block_count_x
      - .offset:         20
        .size:           4
        .value_kind:     hidden_block_count_y
      - .offset:         24
        .size:           4
        .value_kind:     hidden_block_count_z
      - .offset:         28
        .size:           2
        .value_kind:     hidden_group_size_x
      - .offset:         30
        .size:           2
        .value_kind:     hidden_group_size_y
      - .offset:         32
        .size:           2
        .value_kind:     hidden_group_size_z
      - .offset:         34
        .size:           2
        .value_kind:     hidden_remainder_x
      - .offset:         36
        .size:           2
        .value_kind:     hidden_remainder_y
      - .offset:         38
        .size:           2
        .value_kind:     hidden_remainder_z
      - .offset:         56
        .size:           8
        .value_kind:     hidden_global_offset_x
      - .offset:         64
        .size:           8
        .value_kind:     hidden_global_offset_y
      - .offset:         72
        .size:           8
        .value_kind:     hidden_global_offset_z
      - .offset:         80
        .size:           2
        .value_kind:     hidden_grid_dims
    .group_segment_fixed_size: 6176
    .kernarg_segment_align: 8
    .kernarg_segment_size: 272
    .language:       OpenCL C
    .language_version:
      - 2
      - 0
    .max_flat_workgroup_size: 192
    .name:           _Z16sort_keys_kernelI22helper_blocked_stripedaLj192ELj3ELj10EEvPKT0_PS1_
    .private_segment_fixed_size: 0
    .sgpr_count:     22
    .sgpr_spill_count: 0
    .symbol:         _Z16sort_keys_kernelI22helper_blocked_stripedaLj192ELj3ELj10EEvPKT0_PS1_.kd
    .uniform_work_group_size: 1
    .uses_dynamic_stack: false
    .vgpr_count:     35
    .vgpr_spill_count: 0
    .wavefront_size: 32
    .workgroup_processor_mode: 1
  - .args:
      - .address_space:  global
        .offset:         0
        .size:           8
        .value_kind:     global_buffer
      - .address_space:  global
        .offset:         8
        .size:           8
        .value_kind:     global_buffer
      - .offset:         16
        .size:           4
        .value_kind:     hidden_block_count_x
      - .offset:         20
        .size:           4
        .value_kind:     hidden_block_count_y
      - .offset:         24
        .size:           4
        .value_kind:     hidden_block_count_z
      - .offset:         28
        .size:           2
        .value_kind:     hidden_group_size_x
      - .offset:         30
        .size:           2
        .value_kind:     hidden_group_size_y
      - .offset:         32
        .size:           2
        .value_kind:     hidden_group_size_z
      - .offset:         34
        .size:           2
        .value_kind:     hidden_remainder_x
      - .offset:         36
        .size:           2
        .value_kind:     hidden_remainder_y
      - .offset:         38
        .size:           2
        .value_kind:     hidden_remainder_z
      - .offset:         56
        .size:           8
        .value_kind:     hidden_global_offset_x
      - .offset:         64
        .size:           8
        .value_kind:     hidden_global_offset_y
      - .offset:         72
        .size:           8
        .value_kind:     hidden_global_offset_z
      - .offset:         80
        .size:           2
        .value_kind:     hidden_grid_dims
    .group_segment_fixed_size: 6176
    .kernarg_segment_align: 8
    .kernarg_segment_size: 272
    .language:       OpenCL C
    .language_version:
      - 2
      - 0
    .max_flat_workgroup_size: 192
    .name:           _Z17sort_pairs_kernelI22helper_blocked_stripedaLj192ELj3ELj10EEvPKT0_PS1_
    .private_segment_fixed_size: 0
    .sgpr_count:     22
    .sgpr_spill_count: 0
    .symbol:         _Z17sort_pairs_kernelI22helper_blocked_stripedaLj192ELj3ELj10EEvPKT0_PS1_.kd
    .uniform_work_group_size: 1
    .uses_dynamic_stack: false
    .vgpr_count:     38
    .vgpr_spill_count: 0
    .wavefront_size: 32
    .workgroup_processor_mode: 1
  - .args:
      - .address_space:  global
        .offset:         0
        .size:           8
        .value_kind:     global_buffer
      - .address_space:  global
        .offset:         8
        .size:           8
        .value_kind:     global_buffer
      - .offset:         16
        .size:           4
        .value_kind:     hidden_block_count_x
      - .offset:         20
        .size:           4
        .value_kind:     hidden_block_count_y
      - .offset:         24
        .size:           4
        .value_kind:     hidden_block_count_z
      - .offset:         28
        .size:           2
        .value_kind:     hidden_group_size_x
      - .offset:         30
        .size:           2
        .value_kind:     hidden_group_size_y
      - .offset:         32
        .size:           2
        .value_kind:     hidden_group_size_z
      - .offset:         34
        .size:           2
        .value_kind:     hidden_remainder_x
      - .offset:         36
        .size:           2
        .value_kind:     hidden_remainder_y
      - .offset:         38
        .size:           2
        .value_kind:     hidden_remainder_z
      - .offset:         56
        .size:           8
        .value_kind:     hidden_global_offset_x
      - .offset:         64
        .size:           8
        .value_kind:     hidden_global_offset_y
      - .offset:         72
        .size:           8
        .value_kind:     hidden_global_offset_z
      - .offset:         80
        .size:           2
        .value_kind:     hidden_grid_dims
    .group_segment_fixed_size: 6176
    .kernarg_segment_align: 8
    .kernarg_segment_size: 272
    .language:       OpenCL C
    .language_version:
      - 2
      - 0
    .max_flat_workgroup_size: 192
    .name:           _Z16sort_keys_kernelI22helper_blocked_stripedaLj192ELj4ELj10EEvPKT0_PS1_
    .private_segment_fixed_size: 0
    .sgpr_count:     26
    .sgpr_spill_count: 0
    .symbol:         _Z16sort_keys_kernelI22helper_blocked_stripedaLj192ELj4ELj10EEvPKT0_PS1_.kd
    .uniform_work_group_size: 1
    .uses_dynamic_stack: false
    .vgpr_count:     41
    .vgpr_spill_count: 0
    .wavefront_size: 32
    .workgroup_processor_mode: 1
  - .args:
      - .address_space:  global
        .offset:         0
        .size:           8
        .value_kind:     global_buffer
      - .address_space:  global
        .offset:         8
        .size:           8
        .value_kind:     global_buffer
      - .offset:         16
        .size:           4
        .value_kind:     hidden_block_count_x
      - .offset:         20
        .size:           4
        .value_kind:     hidden_block_count_y
      - .offset:         24
        .size:           4
        .value_kind:     hidden_block_count_z
      - .offset:         28
        .size:           2
        .value_kind:     hidden_group_size_x
      - .offset:         30
        .size:           2
        .value_kind:     hidden_group_size_y
      - .offset:         32
        .size:           2
        .value_kind:     hidden_group_size_z
      - .offset:         34
        .size:           2
        .value_kind:     hidden_remainder_x
      - .offset:         36
        .size:           2
        .value_kind:     hidden_remainder_y
      - .offset:         38
        .size:           2
        .value_kind:     hidden_remainder_z
      - .offset:         56
        .size:           8
        .value_kind:     hidden_global_offset_x
      - .offset:         64
        .size:           8
        .value_kind:     hidden_global_offset_y
      - .offset:         72
        .size:           8
        .value_kind:     hidden_global_offset_z
      - .offset:         80
        .size:           2
        .value_kind:     hidden_grid_dims
    .group_segment_fixed_size: 6176
    .kernarg_segment_align: 8
    .kernarg_segment_size: 272
    .language:       OpenCL C
    .language_version:
      - 2
      - 0
    .max_flat_workgroup_size: 192
    .name:           _Z17sort_pairs_kernelI22helper_blocked_stripedaLj192ELj4ELj10EEvPKT0_PS1_
    .private_segment_fixed_size: 0
    .sgpr_count:     24
    .sgpr_spill_count: 0
    .symbol:         _Z17sort_pairs_kernelI22helper_blocked_stripedaLj192ELj4ELj10EEvPKT0_PS1_.kd
    .uniform_work_group_size: 1
    .uses_dynamic_stack: false
    .vgpr_count:     57
    .vgpr_spill_count: 0
    .wavefront_size: 32
    .workgroup_processor_mode: 1
  - .args:
      - .address_space:  global
        .offset:         0
        .size:           8
        .value_kind:     global_buffer
      - .address_space:  global
        .offset:         8
        .size:           8
        .value_kind:     global_buffer
      - .offset:         16
        .size:           4
        .value_kind:     hidden_block_count_x
      - .offset:         20
        .size:           4
        .value_kind:     hidden_block_count_y
      - .offset:         24
        .size:           4
        .value_kind:     hidden_block_count_z
      - .offset:         28
        .size:           2
        .value_kind:     hidden_group_size_x
      - .offset:         30
        .size:           2
        .value_kind:     hidden_group_size_y
      - .offset:         32
        .size:           2
        .value_kind:     hidden_group_size_z
      - .offset:         34
        .size:           2
        .value_kind:     hidden_remainder_x
      - .offset:         36
        .size:           2
        .value_kind:     hidden_remainder_y
      - .offset:         38
        .size:           2
        .value_kind:     hidden_remainder_z
      - .offset:         56
        .size:           8
        .value_kind:     hidden_global_offset_x
      - .offset:         64
        .size:           8
        .value_kind:     hidden_global_offset_y
      - .offset:         72
        .size:           8
        .value_kind:     hidden_global_offset_z
      - .offset:         80
        .size:           2
        .value_kind:     hidden_grid_dims
    .group_segment_fixed_size: 6176
    .kernarg_segment_align: 8
    .kernarg_segment_size: 272
    .language:       OpenCL C
    .language_version:
      - 2
      - 0
    .max_flat_workgroup_size: 192
    .name:           _Z16sort_keys_kernelI22helper_blocked_stripedaLj192ELj8ELj10EEvPKT0_PS1_
    .private_segment_fixed_size: 0
    .sgpr_count:     22
    .sgpr_spill_count: 0
    .symbol:         _Z16sort_keys_kernelI22helper_blocked_stripedaLj192ELj8ELj10EEvPKT0_PS1_.kd
    .uniform_work_group_size: 1
    .uses_dynamic_stack: false
    .vgpr_count:     55
    .vgpr_spill_count: 0
    .wavefront_size: 32
    .workgroup_processor_mode: 1
  - .args:
      - .address_space:  global
        .offset:         0
        .size:           8
        .value_kind:     global_buffer
      - .address_space:  global
        .offset:         8
        .size:           8
        .value_kind:     global_buffer
      - .offset:         16
        .size:           4
        .value_kind:     hidden_block_count_x
      - .offset:         20
        .size:           4
        .value_kind:     hidden_block_count_y
      - .offset:         24
        .size:           4
        .value_kind:     hidden_block_count_z
      - .offset:         28
        .size:           2
        .value_kind:     hidden_group_size_x
      - .offset:         30
        .size:           2
        .value_kind:     hidden_group_size_y
      - .offset:         32
        .size:           2
        .value_kind:     hidden_group_size_z
      - .offset:         34
        .size:           2
        .value_kind:     hidden_remainder_x
      - .offset:         36
        .size:           2
        .value_kind:     hidden_remainder_y
      - .offset:         38
        .size:           2
        .value_kind:     hidden_remainder_z
      - .offset:         56
        .size:           8
        .value_kind:     hidden_global_offset_x
      - .offset:         64
        .size:           8
        .value_kind:     hidden_global_offset_y
      - .offset:         72
        .size:           8
        .value_kind:     hidden_global_offset_z
      - .offset:         80
        .size:           2
        .value_kind:     hidden_grid_dims
    .group_segment_fixed_size: 6176
    .kernarg_segment_align: 8
    .kernarg_segment_size: 272
    .language:       OpenCL C
    .language_version:
      - 2
      - 0
    .max_flat_workgroup_size: 192
    .name:           _Z17sort_pairs_kernelI22helper_blocked_stripedaLj192ELj8ELj10EEvPKT0_PS1_
    .private_segment_fixed_size: 0
    .sgpr_count:     22
    .sgpr_spill_count: 0
    .symbol:         _Z17sort_pairs_kernelI22helper_blocked_stripedaLj192ELj8ELj10EEvPKT0_PS1_.kd
    .uniform_work_group_size: 1
    .uses_dynamic_stack: false
    .vgpr_count:     63
    .vgpr_spill_count: 0
    .wavefront_size: 32
    .workgroup_processor_mode: 1
  - .args:
      - .address_space:  global
        .offset:         0
        .size:           8
        .value_kind:     global_buffer
      - .address_space:  global
        .offset:         8
        .size:           8
        .value_kind:     global_buffer
      - .offset:         16
        .size:           4
        .value_kind:     hidden_block_count_x
      - .offset:         20
        .size:           4
        .value_kind:     hidden_block_count_y
      - .offset:         24
        .size:           4
        .value_kind:     hidden_block_count_z
      - .offset:         28
        .size:           2
        .value_kind:     hidden_group_size_x
      - .offset:         30
        .size:           2
        .value_kind:     hidden_group_size_y
      - .offset:         32
        .size:           2
        .value_kind:     hidden_group_size_z
      - .offset:         34
        .size:           2
        .value_kind:     hidden_remainder_x
      - .offset:         36
        .size:           2
        .value_kind:     hidden_remainder_y
      - .offset:         38
        .size:           2
        .value_kind:     hidden_remainder_z
      - .offset:         56
        .size:           8
        .value_kind:     hidden_global_offset_x
      - .offset:         64
        .size:           8
        .value_kind:     hidden_global_offset_y
      - .offset:         72
        .size:           8
        .value_kind:     hidden_global_offset_z
      - .offset:         80
        .size:           2
        .value_kind:     hidden_grid_dims
    .group_segment_fixed_size: 8224
    .kernarg_segment_align: 8
    .kernarg_segment_size: 272
    .language:       OpenCL C
    .language_version:
      - 2
      - 0
    .max_flat_workgroup_size: 256
    .name:           _Z16sort_keys_kernelI22helper_blocked_stripedaLj256ELj1ELj10EEvPKT0_PS1_
    .private_segment_fixed_size: 0
    .sgpr_count:     22
    .sgpr_spill_count: 0
    .symbol:         _Z16sort_keys_kernelI22helper_blocked_stripedaLj256ELj1ELj10EEvPKT0_PS1_.kd
    .uniform_work_group_size: 1
    .uses_dynamic_stack: false
    .vgpr_count:     25
    .vgpr_spill_count: 0
    .wavefront_size: 32
    .workgroup_processor_mode: 1
  - .args:
      - .address_space:  global
        .offset:         0
        .size:           8
        .value_kind:     global_buffer
      - .address_space:  global
        .offset:         8
        .size:           8
        .value_kind:     global_buffer
      - .offset:         16
        .size:           4
        .value_kind:     hidden_block_count_x
      - .offset:         20
        .size:           4
        .value_kind:     hidden_block_count_y
      - .offset:         24
        .size:           4
        .value_kind:     hidden_block_count_z
      - .offset:         28
        .size:           2
        .value_kind:     hidden_group_size_x
      - .offset:         30
        .size:           2
        .value_kind:     hidden_group_size_y
      - .offset:         32
        .size:           2
        .value_kind:     hidden_group_size_z
      - .offset:         34
        .size:           2
        .value_kind:     hidden_remainder_x
      - .offset:         36
        .size:           2
        .value_kind:     hidden_remainder_y
      - .offset:         38
        .size:           2
        .value_kind:     hidden_remainder_z
      - .offset:         56
        .size:           8
        .value_kind:     hidden_global_offset_x
      - .offset:         64
        .size:           8
        .value_kind:     hidden_global_offset_y
      - .offset:         72
        .size:           8
        .value_kind:     hidden_global_offset_z
      - .offset:         80
        .size:           2
        .value_kind:     hidden_grid_dims
    .group_segment_fixed_size: 8224
    .kernarg_segment_align: 8
    .kernarg_segment_size: 272
    .language:       OpenCL C
    .language_version:
      - 2
      - 0
    .max_flat_workgroup_size: 256
    .name:           _Z17sort_pairs_kernelI22helper_blocked_stripedaLj256ELj1ELj10EEvPKT0_PS1_
    .private_segment_fixed_size: 0
    .sgpr_count:     22
    .sgpr_spill_count: 0
    .symbol:         _Z17sort_pairs_kernelI22helper_blocked_stripedaLj256ELj1ELj10EEvPKT0_PS1_.kd
    .uniform_work_group_size: 1
    .uses_dynamic_stack: false
    .vgpr_count:     26
    .vgpr_spill_count: 0
    .wavefront_size: 32
    .workgroup_processor_mode: 1
  - .args:
      - .address_space:  global
        .offset:         0
        .size:           8
        .value_kind:     global_buffer
      - .address_space:  global
        .offset:         8
        .size:           8
        .value_kind:     global_buffer
      - .offset:         16
        .size:           4
        .value_kind:     hidden_block_count_x
      - .offset:         20
        .size:           4
        .value_kind:     hidden_block_count_y
      - .offset:         24
        .size:           4
        .value_kind:     hidden_block_count_z
      - .offset:         28
        .size:           2
        .value_kind:     hidden_group_size_x
      - .offset:         30
        .size:           2
        .value_kind:     hidden_group_size_y
      - .offset:         32
        .size:           2
        .value_kind:     hidden_group_size_z
      - .offset:         34
        .size:           2
        .value_kind:     hidden_remainder_x
      - .offset:         36
        .size:           2
        .value_kind:     hidden_remainder_y
      - .offset:         38
        .size:           2
        .value_kind:     hidden_remainder_z
      - .offset:         56
        .size:           8
        .value_kind:     hidden_global_offset_x
      - .offset:         64
        .size:           8
        .value_kind:     hidden_global_offset_y
      - .offset:         72
        .size:           8
        .value_kind:     hidden_global_offset_z
      - .offset:         80
        .size:           2
        .value_kind:     hidden_grid_dims
    .group_segment_fixed_size: 8224
    .kernarg_segment_align: 8
    .kernarg_segment_size: 272
    .language:       OpenCL C
    .language_version:
      - 2
      - 0
    .max_flat_workgroup_size: 256
    .name:           _Z16sort_keys_kernelI22helper_blocked_stripedaLj256ELj3ELj10EEvPKT0_PS1_
    .private_segment_fixed_size: 0
    .sgpr_count:     22
    .sgpr_spill_count: 0
    .symbol:         _Z16sort_keys_kernelI22helper_blocked_stripedaLj256ELj3ELj10EEvPKT0_PS1_.kd
    .uniform_work_group_size: 1
    .uses_dynamic_stack: false
    .vgpr_count:     35
    .vgpr_spill_count: 0
    .wavefront_size: 32
    .workgroup_processor_mode: 1
  - .args:
      - .address_space:  global
        .offset:         0
        .size:           8
        .value_kind:     global_buffer
      - .address_space:  global
        .offset:         8
        .size:           8
        .value_kind:     global_buffer
      - .offset:         16
        .size:           4
        .value_kind:     hidden_block_count_x
      - .offset:         20
        .size:           4
        .value_kind:     hidden_block_count_y
      - .offset:         24
        .size:           4
        .value_kind:     hidden_block_count_z
      - .offset:         28
        .size:           2
        .value_kind:     hidden_group_size_x
      - .offset:         30
        .size:           2
        .value_kind:     hidden_group_size_y
      - .offset:         32
        .size:           2
        .value_kind:     hidden_group_size_z
      - .offset:         34
        .size:           2
        .value_kind:     hidden_remainder_x
      - .offset:         36
        .size:           2
        .value_kind:     hidden_remainder_y
      - .offset:         38
        .size:           2
        .value_kind:     hidden_remainder_z
      - .offset:         56
        .size:           8
        .value_kind:     hidden_global_offset_x
      - .offset:         64
        .size:           8
        .value_kind:     hidden_global_offset_y
      - .offset:         72
        .size:           8
        .value_kind:     hidden_global_offset_z
      - .offset:         80
        .size:           2
        .value_kind:     hidden_grid_dims
    .group_segment_fixed_size: 8224
    .kernarg_segment_align: 8
    .kernarg_segment_size: 272
    .language:       OpenCL C
    .language_version:
      - 2
      - 0
    .max_flat_workgroup_size: 256
    .name:           _Z17sort_pairs_kernelI22helper_blocked_stripedaLj256ELj3ELj10EEvPKT0_PS1_
    .private_segment_fixed_size: 0
    .sgpr_count:     22
    .sgpr_spill_count: 0
    .symbol:         _Z17sort_pairs_kernelI22helper_blocked_stripedaLj256ELj3ELj10EEvPKT0_PS1_.kd
    .uniform_work_group_size: 1
    .uses_dynamic_stack: false
    .vgpr_count:     38
    .vgpr_spill_count: 0
    .wavefront_size: 32
    .workgroup_processor_mode: 1
  - .args:
      - .address_space:  global
        .offset:         0
        .size:           8
        .value_kind:     global_buffer
      - .address_space:  global
        .offset:         8
        .size:           8
        .value_kind:     global_buffer
      - .offset:         16
        .size:           4
        .value_kind:     hidden_block_count_x
      - .offset:         20
        .size:           4
        .value_kind:     hidden_block_count_y
      - .offset:         24
        .size:           4
        .value_kind:     hidden_block_count_z
      - .offset:         28
        .size:           2
        .value_kind:     hidden_group_size_x
      - .offset:         30
        .size:           2
        .value_kind:     hidden_group_size_y
      - .offset:         32
        .size:           2
        .value_kind:     hidden_group_size_z
      - .offset:         34
        .size:           2
        .value_kind:     hidden_remainder_x
      - .offset:         36
        .size:           2
        .value_kind:     hidden_remainder_y
      - .offset:         38
        .size:           2
        .value_kind:     hidden_remainder_z
      - .offset:         56
        .size:           8
        .value_kind:     hidden_global_offset_x
      - .offset:         64
        .size:           8
        .value_kind:     hidden_global_offset_y
      - .offset:         72
        .size:           8
        .value_kind:     hidden_global_offset_z
      - .offset:         80
        .size:           2
        .value_kind:     hidden_grid_dims
    .group_segment_fixed_size: 8224
    .kernarg_segment_align: 8
    .kernarg_segment_size: 272
    .language:       OpenCL C
    .language_version:
      - 2
      - 0
    .max_flat_workgroup_size: 256
    .name:           _Z16sort_keys_kernelI22helper_blocked_stripedaLj256ELj4ELj10EEvPKT0_PS1_
    .private_segment_fixed_size: 0
    .sgpr_count:     26
    .sgpr_spill_count: 0
    .symbol:         _Z16sort_keys_kernelI22helper_blocked_stripedaLj256ELj4ELj10EEvPKT0_PS1_.kd
    .uniform_work_group_size: 1
    .uses_dynamic_stack: false
    .vgpr_count:     41
    .vgpr_spill_count: 0
    .wavefront_size: 32
    .workgroup_processor_mode: 1
  - .args:
      - .address_space:  global
        .offset:         0
        .size:           8
        .value_kind:     global_buffer
      - .address_space:  global
        .offset:         8
        .size:           8
        .value_kind:     global_buffer
      - .offset:         16
        .size:           4
        .value_kind:     hidden_block_count_x
      - .offset:         20
        .size:           4
        .value_kind:     hidden_block_count_y
      - .offset:         24
        .size:           4
        .value_kind:     hidden_block_count_z
      - .offset:         28
        .size:           2
        .value_kind:     hidden_group_size_x
      - .offset:         30
        .size:           2
        .value_kind:     hidden_group_size_y
      - .offset:         32
        .size:           2
        .value_kind:     hidden_group_size_z
      - .offset:         34
        .size:           2
        .value_kind:     hidden_remainder_x
      - .offset:         36
        .size:           2
        .value_kind:     hidden_remainder_y
      - .offset:         38
        .size:           2
        .value_kind:     hidden_remainder_z
      - .offset:         56
        .size:           8
        .value_kind:     hidden_global_offset_x
      - .offset:         64
        .size:           8
        .value_kind:     hidden_global_offset_y
      - .offset:         72
        .size:           8
        .value_kind:     hidden_global_offset_z
      - .offset:         80
        .size:           2
        .value_kind:     hidden_grid_dims
    .group_segment_fixed_size: 8224
    .kernarg_segment_align: 8
    .kernarg_segment_size: 272
    .language:       OpenCL C
    .language_version:
      - 2
      - 0
    .max_flat_workgroup_size: 256
    .name:           _Z17sort_pairs_kernelI22helper_blocked_stripedaLj256ELj4ELj10EEvPKT0_PS1_
    .private_segment_fixed_size: 0
    .sgpr_count:     24
    .sgpr_spill_count: 0
    .symbol:         _Z17sort_pairs_kernelI22helper_blocked_stripedaLj256ELj4ELj10EEvPKT0_PS1_.kd
    .uniform_work_group_size: 1
    .uses_dynamic_stack: false
    .vgpr_count:     57
    .vgpr_spill_count: 0
    .wavefront_size: 32
    .workgroup_processor_mode: 1
  - .args:
      - .address_space:  global
        .offset:         0
        .size:           8
        .value_kind:     global_buffer
      - .address_space:  global
        .offset:         8
        .size:           8
        .value_kind:     global_buffer
      - .offset:         16
        .size:           4
        .value_kind:     hidden_block_count_x
      - .offset:         20
        .size:           4
        .value_kind:     hidden_block_count_y
      - .offset:         24
        .size:           4
        .value_kind:     hidden_block_count_z
      - .offset:         28
        .size:           2
        .value_kind:     hidden_group_size_x
      - .offset:         30
        .size:           2
        .value_kind:     hidden_group_size_y
      - .offset:         32
        .size:           2
        .value_kind:     hidden_group_size_z
      - .offset:         34
        .size:           2
        .value_kind:     hidden_remainder_x
      - .offset:         36
        .size:           2
        .value_kind:     hidden_remainder_y
      - .offset:         38
        .size:           2
        .value_kind:     hidden_remainder_z
      - .offset:         56
        .size:           8
        .value_kind:     hidden_global_offset_x
      - .offset:         64
        .size:           8
        .value_kind:     hidden_global_offset_y
      - .offset:         72
        .size:           8
        .value_kind:     hidden_global_offset_z
      - .offset:         80
        .size:           2
        .value_kind:     hidden_grid_dims
    .group_segment_fixed_size: 8224
    .kernarg_segment_align: 8
    .kernarg_segment_size: 272
    .language:       OpenCL C
    .language_version:
      - 2
      - 0
    .max_flat_workgroup_size: 256
    .name:           _Z16sort_keys_kernelI22helper_blocked_stripedaLj256ELj8ELj10EEvPKT0_PS1_
    .private_segment_fixed_size: 0
    .sgpr_count:     22
    .sgpr_spill_count: 0
    .symbol:         _Z16sort_keys_kernelI22helper_blocked_stripedaLj256ELj8ELj10EEvPKT0_PS1_.kd
    .uniform_work_group_size: 1
    .uses_dynamic_stack: false
    .vgpr_count:     55
    .vgpr_spill_count: 0
    .wavefront_size: 32
    .workgroup_processor_mode: 1
  - .args:
      - .address_space:  global
        .offset:         0
        .size:           8
        .value_kind:     global_buffer
      - .address_space:  global
        .offset:         8
        .size:           8
        .value_kind:     global_buffer
      - .offset:         16
        .size:           4
        .value_kind:     hidden_block_count_x
      - .offset:         20
        .size:           4
        .value_kind:     hidden_block_count_y
      - .offset:         24
        .size:           4
        .value_kind:     hidden_block_count_z
      - .offset:         28
        .size:           2
        .value_kind:     hidden_group_size_x
      - .offset:         30
        .size:           2
        .value_kind:     hidden_group_size_y
      - .offset:         32
        .size:           2
        .value_kind:     hidden_group_size_z
      - .offset:         34
        .size:           2
        .value_kind:     hidden_remainder_x
      - .offset:         36
        .size:           2
        .value_kind:     hidden_remainder_y
      - .offset:         38
        .size:           2
        .value_kind:     hidden_remainder_z
      - .offset:         56
        .size:           8
        .value_kind:     hidden_global_offset_x
      - .offset:         64
        .size:           8
        .value_kind:     hidden_global_offset_y
      - .offset:         72
        .size:           8
        .value_kind:     hidden_global_offset_z
      - .offset:         80
        .size:           2
        .value_kind:     hidden_grid_dims
    .group_segment_fixed_size: 8224
    .kernarg_segment_align: 8
    .kernarg_segment_size: 272
    .language:       OpenCL C
    .language_version:
      - 2
      - 0
    .max_flat_workgroup_size: 256
    .name:           _Z17sort_pairs_kernelI22helper_blocked_stripedaLj256ELj8ELj10EEvPKT0_PS1_
    .private_segment_fixed_size: 0
    .sgpr_count:     22
    .sgpr_spill_count: 0
    .symbol:         _Z17sort_pairs_kernelI22helper_blocked_stripedaLj256ELj8ELj10EEvPKT0_PS1_.kd
    .uniform_work_group_size: 1
    .uses_dynamic_stack: false
    .vgpr_count:     63
    .vgpr_spill_count: 0
    .wavefront_size: 32
    .workgroup_processor_mode: 1
  - .args:
      - .address_space:  global
        .offset:         0
        .size:           8
        .value_kind:     global_buffer
      - .address_space:  global
        .offset:         8
        .size:           8
        .value_kind:     global_buffer
      - .offset:         16
        .size:           4
        .value_kind:     hidden_block_count_x
      - .offset:         20
        .size:           4
        .value_kind:     hidden_block_count_y
      - .offset:         24
        .size:           4
        .value_kind:     hidden_block_count_z
      - .offset:         28
        .size:           2
        .value_kind:     hidden_group_size_x
      - .offset:         30
        .size:           2
        .value_kind:     hidden_group_size_y
      - .offset:         32
        .size:           2
        .value_kind:     hidden_group_size_z
      - .offset:         34
        .size:           2
        .value_kind:     hidden_remainder_x
      - .offset:         36
        .size:           2
        .value_kind:     hidden_remainder_y
      - .offset:         38
        .size:           2
        .value_kind:     hidden_remainder_z
      - .offset:         56
        .size:           8
        .value_kind:     hidden_global_offset_x
      - .offset:         64
        .size:           8
        .value_kind:     hidden_global_offset_y
      - .offset:         72
        .size:           8
        .value_kind:     hidden_global_offset_z
      - .offset:         80
        .size:           2
        .value_kind:     hidden_grid_dims
    .group_segment_fixed_size: 10288
    .kernarg_segment_align: 8
    .kernarg_segment_size: 272
    .language:       OpenCL C
    .language_version:
      - 2
      - 0
    .max_flat_workgroup_size: 320
    .name:           _Z16sort_keys_kernelI22helper_blocked_stripedaLj320ELj1ELj10EEvPKT0_PS1_
    .private_segment_fixed_size: 0
    .sgpr_count:     22
    .sgpr_spill_count: 0
    .symbol:         _Z16sort_keys_kernelI22helper_blocked_stripedaLj320ELj1ELj10EEvPKT0_PS1_.kd
    .uniform_work_group_size: 1
    .uses_dynamic_stack: false
    .vgpr_count:     25
    .vgpr_spill_count: 0
    .wavefront_size: 32
    .workgroup_processor_mode: 1
  - .args:
      - .address_space:  global
        .offset:         0
        .size:           8
        .value_kind:     global_buffer
      - .address_space:  global
        .offset:         8
        .size:           8
        .value_kind:     global_buffer
      - .offset:         16
        .size:           4
        .value_kind:     hidden_block_count_x
      - .offset:         20
        .size:           4
        .value_kind:     hidden_block_count_y
      - .offset:         24
        .size:           4
        .value_kind:     hidden_block_count_z
      - .offset:         28
        .size:           2
        .value_kind:     hidden_group_size_x
      - .offset:         30
        .size:           2
        .value_kind:     hidden_group_size_y
      - .offset:         32
        .size:           2
        .value_kind:     hidden_group_size_z
      - .offset:         34
        .size:           2
        .value_kind:     hidden_remainder_x
      - .offset:         36
        .size:           2
        .value_kind:     hidden_remainder_y
      - .offset:         38
        .size:           2
        .value_kind:     hidden_remainder_z
      - .offset:         56
        .size:           8
        .value_kind:     hidden_global_offset_x
      - .offset:         64
        .size:           8
        .value_kind:     hidden_global_offset_y
      - .offset:         72
        .size:           8
        .value_kind:     hidden_global_offset_z
      - .offset:         80
        .size:           2
        .value_kind:     hidden_grid_dims
    .group_segment_fixed_size: 10288
    .kernarg_segment_align: 8
    .kernarg_segment_size: 272
    .language:       OpenCL C
    .language_version:
      - 2
      - 0
    .max_flat_workgroup_size: 320
    .name:           _Z17sort_pairs_kernelI22helper_blocked_stripedaLj320ELj1ELj10EEvPKT0_PS1_
    .private_segment_fixed_size: 0
    .sgpr_count:     22
    .sgpr_spill_count: 0
    .symbol:         _Z17sort_pairs_kernelI22helper_blocked_stripedaLj320ELj1ELj10EEvPKT0_PS1_.kd
    .uniform_work_group_size: 1
    .uses_dynamic_stack: false
    .vgpr_count:     26
    .vgpr_spill_count: 0
    .wavefront_size: 32
    .workgroup_processor_mode: 1
  - .args:
      - .address_space:  global
        .offset:         0
        .size:           8
        .value_kind:     global_buffer
      - .address_space:  global
        .offset:         8
        .size:           8
        .value_kind:     global_buffer
      - .offset:         16
        .size:           4
        .value_kind:     hidden_block_count_x
      - .offset:         20
        .size:           4
        .value_kind:     hidden_block_count_y
      - .offset:         24
        .size:           4
        .value_kind:     hidden_block_count_z
      - .offset:         28
        .size:           2
        .value_kind:     hidden_group_size_x
      - .offset:         30
        .size:           2
        .value_kind:     hidden_group_size_y
      - .offset:         32
        .size:           2
        .value_kind:     hidden_group_size_z
      - .offset:         34
        .size:           2
        .value_kind:     hidden_remainder_x
      - .offset:         36
        .size:           2
        .value_kind:     hidden_remainder_y
      - .offset:         38
        .size:           2
        .value_kind:     hidden_remainder_z
      - .offset:         56
        .size:           8
        .value_kind:     hidden_global_offset_x
      - .offset:         64
        .size:           8
        .value_kind:     hidden_global_offset_y
      - .offset:         72
        .size:           8
        .value_kind:     hidden_global_offset_z
      - .offset:         80
        .size:           2
        .value_kind:     hidden_grid_dims
    .group_segment_fixed_size: 10288
    .kernarg_segment_align: 8
    .kernarg_segment_size: 272
    .language:       OpenCL C
    .language_version:
      - 2
      - 0
    .max_flat_workgroup_size: 320
    .name:           _Z16sort_keys_kernelI22helper_blocked_stripedaLj320ELj3ELj10EEvPKT0_PS1_
    .private_segment_fixed_size: 0
    .sgpr_count:     22
    .sgpr_spill_count: 0
    .symbol:         _Z16sort_keys_kernelI22helper_blocked_stripedaLj320ELj3ELj10EEvPKT0_PS1_.kd
    .uniform_work_group_size: 1
    .uses_dynamic_stack: false
    .vgpr_count:     35
    .vgpr_spill_count: 0
    .wavefront_size: 32
    .workgroup_processor_mode: 1
  - .args:
      - .address_space:  global
        .offset:         0
        .size:           8
        .value_kind:     global_buffer
      - .address_space:  global
        .offset:         8
        .size:           8
        .value_kind:     global_buffer
      - .offset:         16
        .size:           4
        .value_kind:     hidden_block_count_x
      - .offset:         20
        .size:           4
        .value_kind:     hidden_block_count_y
      - .offset:         24
        .size:           4
        .value_kind:     hidden_block_count_z
      - .offset:         28
        .size:           2
        .value_kind:     hidden_group_size_x
      - .offset:         30
        .size:           2
        .value_kind:     hidden_group_size_y
      - .offset:         32
        .size:           2
        .value_kind:     hidden_group_size_z
      - .offset:         34
        .size:           2
        .value_kind:     hidden_remainder_x
      - .offset:         36
        .size:           2
        .value_kind:     hidden_remainder_y
      - .offset:         38
        .size:           2
        .value_kind:     hidden_remainder_z
      - .offset:         56
        .size:           8
        .value_kind:     hidden_global_offset_x
      - .offset:         64
        .size:           8
        .value_kind:     hidden_global_offset_y
      - .offset:         72
        .size:           8
        .value_kind:     hidden_global_offset_z
      - .offset:         80
        .size:           2
        .value_kind:     hidden_grid_dims
    .group_segment_fixed_size: 10288
    .kernarg_segment_align: 8
    .kernarg_segment_size: 272
    .language:       OpenCL C
    .language_version:
      - 2
      - 0
    .max_flat_workgroup_size: 320
    .name:           _Z17sort_pairs_kernelI22helper_blocked_stripedaLj320ELj3ELj10EEvPKT0_PS1_
    .private_segment_fixed_size: 0
    .sgpr_count:     22
    .sgpr_spill_count: 0
    .symbol:         _Z17sort_pairs_kernelI22helper_blocked_stripedaLj320ELj3ELj10EEvPKT0_PS1_.kd
    .uniform_work_group_size: 1
    .uses_dynamic_stack: false
    .vgpr_count:     38
    .vgpr_spill_count: 0
    .wavefront_size: 32
    .workgroup_processor_mode: 1
  - .args:
      - .address_space:  global
        .offset:         0
        .size:           8
        .value_kind:     global_buffer
      - .address_space:  global
        .offset:         8
        .size:           8
        .value_kind:     global_buffer
      - .offset:         16
        .size:           4
        .value_kind:     hidden_block_count_x
      - .offset:         20
        .size:           4
        .value_kind:     hidden_block_count_y
      - .offset:         24
        .size:           4
        .value_kind:     hidden_block_count_z
      - .offset:         28
        .size:           2
        .value_kind:     hidden_group_size_x
      - .offset:         30
        .size:           2
        .value_kind:     hidden_group_size_y
      - .offset:         32
        .size:           2
        .value_kind:     hidden_group_size_z
      - .offset:         34
        .size:           2
        .value_kind:     hidden_remainder_x
      - .offset:         36
        .size:           2
        .value_kind:     hidden_remainder_y
      - .offset:         38
        .size:           2
        .value_kind:     hidden_remainder_z
      - .offset:         56
        .size:           8
        .value_kind:     hidden_global_offset_x
      - .offset:         64
        .size:           8
        .value_kind:     hidden_global_offset_y
      - .offset:         72
        .size:           8
        .value_kind:     hidden_global_offset_z
      - .offset:         80
        .size:           2
        .value_kind:     hidden_grid_dims
    .group_segment_fixed_size: 10288
    .kernarg_segment_align: 8
    .kernarg_segment_size: 272
    .language:       OpenCL C
    .language_version:
      - 2
      - 0
    .max_flat_workgroup_size: 320
    .name:           _Z16sort_keys_kernelI22helper_blocked_stripedaLj320ELj4ELj10EEvPKT0_PS1_
    .private_segment_fixed_size: 0
    .sgpr_count:     24
    .sgpr_spill_count: 0
    .symbol:         _Z16sort_keys_kernelI22helper_blocked_stripedaLj320ELj4ELj10EEvPKT0_PS1_.kd
    .uniform_work_group_size: 1
    .uses_dynamic_stack: false
    .vgpr_count:     41
    .vgpr_spill_count: 0
    .wavefront_size: 32
    .workgroup_processor_mode: 1
  - .args:
      - .address_space:  global
        .offset:         0
        .size:           8
        .value_kind:     global_buffer
      - .address_space:  global
        .offset:         8
        .size:           8
        .value_kind:     global_buffer
      - .offset:         16
        .size:           4
        .value_kind:     hidden_block_count_x
      - .offset:         20
        .size:           4
        .value_kind:     hidden_block_count_y
      - .offset:         24
        .size:           4
        .value_kind:     hidden_block_count_z
      - .offset:         28
        .size:           2
        .value_kind:     hidden_group_size_x
      - .offset:         30
        .size:           2
        .value_kind:     hidden_group_size_y
      - .offset:         32
        .size:           2
        .value_kind:     hidden_group_size_z
      - .offset:         34
        .size:           2
        .value_kind:     hidden_remainder_x
      - .offset:         36
        .size:           2
        .value_kind:     hidden_remainder_y
      - .offset:         38
        .size:           2
        .value_kind:     hidden_remainder_z
      - .offset:         56
        .size:           8
        .value_kind:     hidden_global_offset_x
      - .offset:         64
        .size:           8
        .value_kind:     hidden_global_offset_y
      - .offset:         72
        .size:           8
        .value_kind:     hidden_global_offset_z
      - .offset:         80
        .size:           2
        .value_kind:     hidden_grid_dims
    .group_segment_fixed_size: 10288
    .kernarg_segment_align: 8
    .kernarg_segment_size: 272
    .language:       OpenCL C
    .language_version:
      - 2
      - 0
    .max_flat_workgroup_size: 320
    .name:           _Z17sort_pairs_kernelI22helper_blocked_stripedaLj320ELj4ELj10EEvPKT0_PS1_
    .private_segment_fixed_size: 0
    .sgpr_count:     22
    .sgpr_spill_count: 0
    .symbol:         _Z17sort_pairs_kernelI22helper_blocked_stripedaLj320ELj4ELj10EEvPKT0_PS1_.kd
    .uniform_work_group_size: 1
    .uses_dynamic_stack: false
    .vgpr_count:     57
    .vgpr_spill_count: 0
    .wavefront_size: 32
    .workgroup_processor_mode: 1
  - .args:
      - .address_space:  global
        .offset:         0
        .size:           8
        .value_kind:     global_buffer
      - .address_space:  global
        .offset:         8
        .size:           8
        .value_kind:     global_buffer
      - .offset:         16
        .size:           4
        .value_kind:     hidden_block_count_x
      - .offset:         20
        .size:           4
        .value_kind:     hidden_block_count_y
      - .offset:         24
        .size:           4
        .value_kind:     hidden_block_count_z
      - .offset:         28
        .size:           2
        .value_kind:     hidden_group_size_x
      - .offset:         30
        .size:           2
        .value_kind:     hidden_group_size_y
      - .offset:         32
        .size:           2
        .value_kind:     hidden_group_size_z
      - .offset:         34
        .size:           2
        .value_kind:     hidden_remainder_x
      - .offset:         36
        .size:           2
        .value_kind:     hidden_remainder_y
      - .offset:         38
        .size:           2
        .value_kind:     hidden_remainder_z
      - .offset:         56
        .size:           8
        .value_kind:     hidden_global_offset_x
      - .offset:         64
        .size:           8
        .value_kind:     hidden_global_offset_y
      - .offset:         72
        .size:           8
        .value_kind:     hidden_global_offset_z
      - .offset:         80
        .size:           2
        .value_kind:     hidden_grid_dims
    .group_segment_fixed_size: 10288
    .kernarg_segment_align: 8
    .kernarg_segment_size: 272
    .language:       OpenCL C
    .language_version:
      - 2
      - 0
    .max_flat_workgroup_size: 320
    .name:           _Z16sort_keys_kernelI22helper_blocked_stripedaLj320ELj8ELj10EEvPKT0_PS1_
    .private_segment_fixed_size: 0
    .sgpr_count:     22
    .sgpr_spill_count: 0
    .symbol:         _Z16sort_keys_kernelI22helper_blocked_stripedaLj320ELj8ELj10EEvPKT0_PS1_.kd
    .uniform_work_group_size: 1
    .uses_dynamic_stack: false
    .vgpr_count:     55
    .vgpr_spill_count: 0
    .wavefront_size: 32
    .workgroup_processor_mode: 1
  - .args:
      - .address_space:  global
        .offset:         0
        .size:           8
        .value_kind:     global_buffer
      - .address_space:  global
        .offset:         8
        .size:           8
        .value_kind:     global_buffer
      - .offset:         16
        .size:           4
        .value_kind:     hidden_block_count_x
      - .offset:         20
        .size:           4
        .value_kind:     hidden_block_count_y
      - .offset:         24
        .size:           4
        .value_kind:     hidden_block_count_z
      - .offset:         28
        .size:           2
        .value_kind:     hidden_group_size_x
      - .offset:         30
        .size:           2
        .value_kind:     hidden_group_size_y
      - .offset:         32
        .size:           2
        .value_kind:     hidden_group_size_z
      - .offset:         34
        .size:           2
        .value_kind:     hidden_remainder_x
      - .offset:         36
        .size:           2
        .value_kind:     hidden_remainder_y
      - .offset:         38
        .size:           2
        .value_kind:     hidden_remainder_z
      - .offset:         56
        .size:           8
        .value_kind:     hidden_global_offset_x
      - .offset:         64
        .size:           8
        .value_kind:     hidden_global_offset_y
      - .offset:         72
        .size:           8
        .value_kind:     hidden_global_offset_z
      - .offset:         80
        .size:           2
        .value_kind:     hidden_grid_dims
    .group_segment_fixed_size: 10288
    .kernarg_segment_align: 8
    .kernarg_segment_size: 272
    .language:       OpenCL C
    .language_version:
      - 2
      - 0
    .max_flat_workgroup_size: 320
    .name:           _Z17sort_pairs_kernelI22helper_blocked_stripedaLj320ELj8ELj10EEvPKT0_PS1_
    .private_segment_fixed_size: 0
    .sgpr_count:     22
    .sgpr_spill_count: 0
    .symbol:         _Z17sort_pairs_kernelI22helper_blocked_stripedaLj320ELj8ELj10EEvPKT0_PS1_.kd
    .uniform_work_group_size: 1
    .uses_dynamic_stack: false
    .vgpr_count:     63
    .vgpr_spill_count: 0
    .wavefront_size: 32
    .workgroup_processor_mode: 1
  - .args:
      - .address_space:  global
        .offset:         0
        .size:           8
        .value_kind:     global_buffer
      - .address_space:  global
        .offset:         8
        .size:           8
        .value_kind:     global_buffer
      - .offset:         16
        .size:           4
        .value_kind:     hidden_block_count_x
      - .offset:         20
        .size:           4
        .value_kind:     hidden_block_count_y
      - .offset:         24
        .size:           4
        .value_kind:     hidden_block_count_z
      - .offset:         28
        .size:           2
        .value_kind:     hidden_group_size_x
      - .offset:         30
        .size:           2
        .value_kind:     hidden_group_size_y
      - .offset:         32
        .size:           2
        .value_kind:     hidden_group_size_z
      - .offset:         34
        .size:           2
        .value_kind:     hidden_remainder_x
      - .offset:         36
        .size:           2
        .value_kind:     hidden_remainder_y
      - .offset:         38
        .size:           2
        .value_kind:     hidden_remainder_z
      - .offset:         56
        .size:           8
        .value_kind:     hidden_global_offset_x
      - .offset:         64
        .size:           8
        .value_kind:     hidden_global_offset_y
      - .offset:         72
        .size:           8
        .value_kind:     hidden_global_offset_z
      - .offset:         80
        .size:           2
        .value_kind:     hidden_grid_dims
    .group_segment_fixed_size: 16448
    .kernarg_segment_align: 8
    .kernarg_segment_size: 272
    .language:       OpenCL C
    .language_version:
      - 2
      - 0
    .max_flat_workgroup_size: 512
    .name:           _Z16sort_keys_kernelI22helper_blocked_stripedaLj512ELj1ELj10EEvPKT0_PS1_
    .private_segment_fixed_size: 0
    .sgpr_count:     22
    .sgpr_spill_count: 0
    .symbol:         _Z16sort_keys_kernelI22helper_blocked_stripedaLj512ELj1ELj10EEvPKT0_PS1_.kd
    .uniform_work_group_size: 1
    .uses_dynamic_stack: false
    .vgpr_count:     25
    .vgpr_spill_count: 0
    .wavefront_size: 32
    .workgroup_processor_mode: 1
  - .args:
      - .address_space:  global
        .offset:         0
        .size:           8
        .value_kind:     global_buffer
      - .address_space:  global
        .offset:         8
        .size:           8
        .value_kind:     global_buffer
      - .offset:         16
        .size:           4
        .value_kind:     hidden_block_count_x
      - .offset:         20
        .size:           4
        .value_kind:     hidden_block_count_y
      - .offset:         24
        .size:           4
        .value_kind:     hidden_block_count_z
      - .offset:         28
        .size:           2
        .value_kind:     hidden_group_size_x
      - .offset:         30
        .size:           2
        .value_kind:     hidden_group_size_y
      - .offset:         32
        .size:           2
        .value_kind:     hidden_group_size_z
      - .offset:         34
        .size:           2
        .value_kind:     hidden_remainder_x
      - .offset:         36
        .size:           2
        .value_kind:     hidden_remainder_y
      - .offset:         38
        .size:           2
        .value_kind:     hidden_remainder_z
      - .offset:         56
        .size:           8
        .value_kind:     hidden_global_offset_x
      - .offset:         64
        .size:           8
        .value_kind:     hidden_global_offset_y
      - .offset:         72
        .size:           8
        .value_kind:     hidden_global_offset_z
      - .offset:         80
        .size:           2
        .value_kind:     hidden_grid_dims
    .group_segment_fixed_size: 16448
    .kernarg_segment_align: 8
    .kernarg_segment_size: 272
    .language:       OpenCL C
    .language_version:
      - 2
      - 0
    .max_flat_workgroup_size: 512
    .name:           _Z17sort_pairs_kernelI22helper_blocked_stripedaLj512ELj1ELj10EEvPKT0_PS1_
    .private_segment_fixed_size: 0
    .sgpr_count:     22
    .sgpr_spill_count: 0
    .symbol:         _Z17sort_pairs_kernelI22helper_blocked_stripedaLj512ELj1ELj10EEvPKT0_PS1_.kd
    .uniform_work_group_size: 1
    .uses_dynamic_stack: false
    .vgpr_count:     26
    .vgpr_spill_count: 0
    .wavefront_size: 32
    .workgroup_processor_mode: 1
  - .args:
      - .address_space:  global
        .offset:         0
        .size:           8
        .value_kind:     global_buffer
      - .address_space:  global
        .offset:         8
        .size:           8
        .value_kind:     global_buffer
      - .offset:         16
        .size:           4
        .value_kind:     hidden_block_count_x
      - .offset:         20
        .size:           4
        .value_kind:     hidden_block_count_y
      - .offset:         24
        .size:           4
        .value_kind:     hidden_block_count_z
      - .offset:         28
        .size:           2
        .value_kind:     hidden_group_size_x
      - .offset:         30
        .size:           2
        .value_kind:     hidden_group_size_y
      - .offset:         32
        .size:           2
        .value_kind:     hidden_group_size_z
      - .offset:         34
        .size:           2
        .value_kind:     hidden_remainder_x
      - .offset:         36
        .size:           2
        .value_kind:     hidden_remainder_y
      - .offset:         38
        .size:           2
        .value_kind:     hidden_remainder_z
      - .offset:         56
        .size:           8
        .value_kind:     hidden_global_offset_x
      - .offset:         64
        .size:           8
        .value_kind:     hidden_global_offset_y
      - .offset:         72
        .size:           8
        .value_kind:     hidden_global_offset_z
      - .offset:         80
        .size:           2
        .value_kind:     hidden_grid_dims
    .group_segment_fixed_size: 16448
    .kernarg_segment_align: 8
    .kernarg_segment_size: 272
    .language:       OpenCL C
    .language_version:
      - 2
      - 0
    .max_flat_workgroup_size: 512
    .name:           _Z16sort_keys_kernelI22helper_blocked_stripedaLj512ELj3ELj10EEvPKT0_PS1_
    .private_segment_fixed_size: 0
    .sgpr_count:     22
    .sgpr_spill_count: 0
    .symbol:         _Z16sort_keys_kernelI22helper_blocked_stripedaLj512ELj3ELj10EEvPKT0_PS1_.kd
    .uniform_work_group_size: 1
    .uses_dynamic_stack: false
    .vgpr_count:     35
    .vgpr_spill_count: 0
    .wavefront_size: 32
    .workgroup_processor_mode: 1
  - .args:
      - .address_space:  global
        .offset:         0
        .size:           8
        .value_kind:     global_buffer
      - .address_space:  global
        .offset:         8
        .size:           8
        .value_kind:     global_buffer
      - .offset:         16
        .size:           4
        .value_kind:     hidden_block_count_x
      - .offset:         20
        .size:           4
        .value_kind:     hidden_block_count_y
      - .offset:         24
        .size:           4
        .value_kind:     hidden_block_count_z
      - .offset:         28
        .size:           2
        .value_kind:     hidden_group_size_x
      - .offset:         30
        .size:           2
        .value_kind:     hidden_group_size_y
      - .offset:         32
        .size:           2
        .value_kind:     hidden_group_size_z
      - .offset:         34
        .size:           2
        .value_kind:     hidden_remainder_x
      - .offset:         36
        .size:           2
        .value_kind:     hidden_remainder_y
      - .offset:         38
        .size:           2
        .value_kind:     hidden_remainder_z
      - .offset:         56
        .size:           8
        .value_kind:     hidden_global_offset_x
      - .offset:         64
        .size:           8
        .value_kind:     hidden_global_offset_y
      - .offset:         72
        .size:           8
        .value_kind:     hidden_global_offset_z
      - .offset:         80
        .size:           2
        .value_kind:     hidden_grid_dims
    .group_segment_fixed_size: 16448
    .kernarg_segment_align: 8
    .kernarg_segment_size: 272
    .language:       OpenCL C
    .language_version:
      - 2
      - 0
    .max_flat_workgroup_size: 512
    .name:           _Z17sort_pairs_kernelI22helper_blocked_stripedaLj512ELj3ELj10EEvPKT0_PS1_
    .private_segment_fixed_size: 0
    .sgpr_count:     22
    .sgpr_spill_count: 0
    .symbol:         _Z17sort_pairs_kernelI22helper_blocked_stripedaLj512ELj3ELj10EEvPKT0_PS1_.kd
    .uniform_work_group_size: 1
    .uses_dynamic_stack: false
    .vgpr_count:     38
    .vgpr_spill_count: 0
    .wavefront_size: 32
    .workgroup_processor_mode: 1
  - .args:
      - .address_space:  global
        .offset:         0
        .size:           8
        .value_kind:     global_buffer
      - .address_space:  global
        .offset:         8
        .size:           8
        .value_kind:     global_buffer
      - .offset:         16
        .size:           4
        .value_kind:     hidden_block_count_x
      - .offset:         20
        .size:           4
        .value_kind:     hidden_block_count_y
      - .offset:         24
        .size:           4
        .value_kind:     hidden_block_count_z
      - .offset:         28
        .size:           2
        .value_kind:     hidden_group_size_x
      - .offset:         30
        .size:           2
        .value_kind:     hidden_group_size_y
      - .offset:         32
        .size:           2
        .value_kind:     hidden_group_size_z
      - .offset:         34
        .size:           2
        .value_kind:     hidden_remainder_x
      - .offset:         36
        .size:           2
        .value_kind:     hidden_remainder_y
      - .offset:         38
        .size:           2
        .value_kind:     hidden_remainder_z
      - .offset:         56
        .size:           8
        .value_kind:     hidden_global_offset_x
      - .offset:         64
        .size:           8
        .value_kind:     hidden_global_offset_y
      - .offset:         72
        .size:           8
        .value_kind:     hidden_global_offset_z
      - .offset:         80
        .size:           2
        .value_kind:     hidden_grid_dims
    .group_segment_fixed_size: 16448
    .kernarg_segment_align: 8
    .kernarg_segment_size: 272
    .language:       OpenCL C
    .language_version:
      - 2
      - 0
    .max_flat_workgroup_size: 512
    .name:           _Z16sort_keys_kernelI22helper_blocked_stripedaLj512ELj4ELj10EEvPKT0_PS1_
    .private_segment_fixed_size: 0
    .sgpr_count:     24
    .sgpr_spill_count: 0
    .symbol:         _Z16sort_keys_kernelI22helper_blocked_stripedaLj512ELj4ELj10EEvPKT0_PS1_.kd
    .uniform_work_group_size: 1
    .uses_dynamic_stack: false
    .vgpr_count:     41
    .vgpr_spill_count: 0
    .wavefront_size: 32
    .workgroup_processor_mode: 1
  - .args:
      - .address_space:  global
        .offset:         0
        .size:           8
        .value_kind:     global_buffer
      - .address_space:  global
        .offset:         8
        .size:           8
        .value_kind:     global_buffer
      - .offset:         16
        .size:           4
        .value_kind:     hidden_block_count_x
      - .offset:         20
        .size:           4
        .value_kind:     hidden_block_count_y
      - .offset:         24
        .size:           4
        .value_kind:     hidden_block_count_z
      - .offset:         28
        .size:           2
        .value_kind:     hidden_group_size_x
      - .offset:         30
        .size:           2
        .value_kind:     hidden_group_size_y
      - .offset:         32
        .size:           2
        .value_kind:     hidden_group_size_z
      - .offset:         34
        .size:           2
        .value_kind:     hidden_remainder_x
      - .offset:         36
        .size:           2
        .value_kind:     hidden_remainder_y
      - .offset:         38
        .size:           2
        .value_kind:     hidden_remainder_z
      - .offset:         56
        .size:           8
        .value_kind:     hidden_global_offset_x
      - .offset:         64
        .size:           8
        .value_kind:     hidden_global_offset_y
      - .offset:         72
        .size:           8
        .value_kind:     hidden_global_offset_z
      - .offset:         80
        .size:           2
        .value_kind:     hidden_grid_dims
    .group_segment_fixed_size: 16448
    .kernarg_segment_align: 8
    .kernarg_segment_size: 272
    .language:       OpenCL C
    .language_version:
      - 2
      - 0
    .max_flat_workgroup_size: 512
    .name:           _Z17sort_pairs_kernelI22helper_blocked_stripedaLj512ELj4ELj10EEvPKT0_PS1_
    .private_segment_fixed_size: 0
    .sgpr_count:     22
    .sgpr_spill_count: 0
    .symbol:         _Z17sort_pairs_kernelI22helper_blocked_stripedaLj512ELj4ELj10EEvPKT0_PS1_.kd
    .uniform_work_group_size: 1
    .uses_dynamic_stack: false
    .vgpr_count:     57
    .vgpr_spill_count: 0
    .wavefront_size: 32
    .workgroup_processor_mode: 1
  - .args:
      - .address_space:  global
        .offset:         0
        .size:           8
        .value_kind:     global_buffer
      - .address_space:  global
        .offset:         8
        .size:           8
        .value_kind:     global_buffer
      - .offset:         16
        .size:           4
        .value_kind:     hidden_block_count_x
      - .offset:         20
        .size:           4
        .value_kind:     hidden_block_count_y
      - .offset:         24
        .size:           4
        .value_kind:     hidden_block_count_z
      - .offset:         28
        .size:           2
        .value_kind:     hidden_group_size_x
      - .offset:         30
        .size:           2
        .value_kind:     hidden_group_size_y
      - .offset:         32
        .size:           2
        .value_kind:     hidden_group_size_z
      - .offset:         34
        .size:           2
        .value_kind:     hidden_remainder_x
      - .offset:         36
        .size:           2
        .value_kind:     hidden_remainder_y
      - .offset:         38
        .size:           2
        .value_kind:     hidden_remainder_z
      - .offset:         56
        .size:           8
        .value_kind:     hidden_global_offset_x
      - .offset:         64
        .size:           8
        .value_kind:     hidden_global_offset_y
      - .offset:         72
        .size:           8
        .value_kind:     hidden_global_offset_z
      - .offset:         80
        .size:           2
        .value_kind:     hidden_grid_dims
    .group_segment_fixed_size: 16448
    .kernarg_segment_align: 8
    .kernarg_segment_size: 272
    .language:       OpenCL C
    .language_version:
      - 2
      - 0
    .max_flat_workgroup_size: 512
    .name:           _Z16sort_keys_kernelI22helper_blocked_stripedaLj512ELj8ELj10EEvPKT0_PS1_
    .private_segment_fixed_size: 0
    .sgpr_count:     22
    .sgpr_spill_count: 0
    .symbol:         _Z16sort_keys_kernelI22helper_blocked_stripedaLj512ELj8ELj10EEvPKT0_PS1_.kd
    .uniform_work_group_size: 1
    .uses_dynamic_stack: false
    .vgpr_count:     55
    .vgpr_spill_count: 0
    .wavefront_size: 32
    .workgroup_processor_mode: 1
  - .args:
      - .address_space:  global
        .offset:         0
        .size:           8
        .value_kind:     global_buffer
      - .address_space:  global
        .offset:         8
        .size:           8
        .value_kind:     global_buffer
      - .offset:         16
        .size:           4
        .value_kind:     hidden_block_count_x
      - .offset:         20
        .size:           4
        .value_kind:     hidden_block_count_y
      - .offset:         24
        .size:           4
        .value_kind:     hidden_block_count_z
      - .offset:         28
        .size:           2
        .value_kind:     hidden_group_size_x
      - .offset:         30
        .size:           2
        .value_kind:     hidden_group_size_y
      - .offset:         32
        .size:           2
        .value_kind:     hidden_group_size_z
      - .offset:         34
        .size:           2
        .value_kind:     hidden_remainder_x
      - .offset:         36
        .size:           2
        .value_kind:     hidden_remainder_y
      - .offset:         38
        .size:           2
        .value_kind:     hidden_remainder_z
      - .offset:         56
        .size:           8
        .value_kind:     hidden_global_offset_x
      - .offset:         64
        .size:           8
        .value_kind:     hidden_global_offset_y
      - .offset:         72
        .size:           8
        .value_kind:     hidden_global_offset_z
      - .offset:         80
        .size:           2
        .value_kind:     hidden_grid_dims
    .group_segment_fixed_size: 16448
    .kernarg_segment_align: 8
    .kernarg_segment_size: 272
    .language:       OpenCL C
    .language_version:
      - 2
      - 0
    .max_flat_workgroup_size: 512
    .name:           _Z17sort_pairs_kernelI22helper_blocked_stripedaLj512ELj8ELj10EEvPKT0_PS1_
    .private_segment_fixed_size: 0
    .sgpr_count:     22
    .sgpr_spill_count: 0
    .symbol:         _Z17sort_pairs_kernelI22helper_blocked_stripedaLj512ELj8ELj10EEvPKT0_PS1_.kd
    .uniform_work_group_size: 1
    .uses_dynamic_stack: false
    .vgpr_count:     63
    .vgpr_spill_count: 0
    .wavefront_size: 32
    .workgroup_processor_mode: 1
  - .args:
      - .address_space:  global
        .offset:         0
        .size:           8
        .value_kind:     global_buffer
      - .address_space:  global
        .offset:         8
        .size:           8
        .value_kind:     global_buffer
      - .offset:         16
        .size:           4
        .value_kind:     hidden_block_count_x
      - .offset:         20
        .size:           4
        .value_kind:     hidden_block_count_y
      - .offset:         24
        .size:           4
        .value_kind:     hidden_block_count_z
      - .offset:         28
        .size:           2
        .value_kind:     hidden_group_size_x
      - .offset:         30
        .size:           2
        .value_kind:     hidden_group_size_y
      - .offset:         32
        .size:           2
        .value_kind:     hidden_group_size_z
      - .offset:         34
        .size:           2
        .value_kind:     hidden_remainder_x
      - .offset:         36
        .size:           2
        .value_kind:     hidden_remainder_y
      - .offset:         38
        .size:           2
        .value_kind:     hidden_remainder_z
      - .offset:         56
        .size:           8
        .value_kind:     hidden_global_offset_x
      - .offset:         64
        .size:           8
        .value_kind:     hidden_global_offset_y
      - .offset:         72
        .size:           8
        .value_kind:     hidden_global_offset_z
      - .offset:         80
        .size:           2
        .value_kind:     hidden_grid_dims
    .group_segment_fixed_size: 2064
    .kernarg_segment_align: 8
    .kernarg_segment_size: 272
    .language:       OpenCL C
    .language_version:
      - 2
      - 0
    .max_flat_workgroup_size: 64
    .name:           _Z16sort_keys_kernelI22helper_blocked_stripedxLj64ELj1ELj10EEvPKT0_PS1_
    .private_segment_fixed_size: 0
    .sgpr_count:     24
    .sgpr_spill_count: 0
    .symbol:         _Z16sort_keys_kernelI22helper_blocked_stripedxLj64ELj1ELj10EEvPKT0_PS1_.kd
    .uniform_work_group_size: 1
    .uses_dynamic_stack: false
    .vgpr_count:     28
    .vgpr_spill_count: 0
    .wavefront_size: 32
    .workgroup_processor_mode: 1
  - .args:
      - .address_space:  global
        .offset:         0
        .size:           8
        .value_kind:     global_buffer
      - .address_space:  global
        .offset:         8
        .size:           8
        .value_kind:     global_buffer
      - .offset:         16
        .size:           4
        .value_kind:     hidden_block_count_x
      - .offset:         20
        .size:           4
        .value_kind:     hidden_block_count_y
      - .offset:         24
        .size:           4
        .value_kind:     hidden_block_count_z
      - .offset:         28
        .size:           2
        .value_kind:     hidden_group_size_x
      - .offset:         30
        .size:           2
        .value_kind:     hidden_group_size_y
      - .offset:         32
        .size:           2
        .value_kind:     hidden_group_size_z
      - .offset:         34
        .size:           2
        .value_kind:     hidden_remainder_x
      - .offset:         36
        .size:           2
        .value_kind:     hidden_remainder_y
      - .offset:         38
        .size:           2
        .value_kind:     hidden_remainder_z
      - .offset:         56
        .size:           8
        .value_kind:     hidden_global_offset_x
      - .offset:         64
        .size:           8
        .value_kind:     hidden_global_offset_y
      - .offset:         72
        .size:           8
        .value_kind:     hidden_global_offset_z
      - .offset:         80
        .size:           2
        .value_kind:     hidden_grid_dims
    .group_segment_fixed_size: 2064
    .kernarg_segment_align: 8
    .kernarg_segment_size: 272
    .language:       OpenCL C
    .language_version:
      - 2
      - 0
    .max_flat_workgroup_size: 64
    .name:           _Z17sort_pairs_kernelI22helper_blocked_stripedxLj64ELj1ELj10EEvPKT0_PS1_
    .private_segment_fixed_size: 0
    .sgpr_count:     24
    .sgpr_spill_count: 0
    .symbol:         _Z17sort_pairs_kernelI22helper_blocked_stripedxLj64ELj1ELj10EEvPKT0_PS1_.kd
    .uniform_work_group_size: 1
    .uses_dynamic_stack: false
    .vgpr_count:     30
    .vgpr_spill_count: 0
    .wavefront_size: 32
    .workgroup_processor_mode: 1
  - .args:
      - .address_space:  global
        .offset:         0
        .size:           8
        .value_kind:     global_buffer
      - .address_space:  global
        .offset:         8
        .size:           8
        .value_kind:     global_buffer
      - .offset:         16
        .size:           4
        .value_kind:     hidden_block_count_x
      - .offset:         20
        .size:           4
        .value_kind:     hidden_block_count_y
      - .offset:         24
        .size:           4
        .value_kind:     hidden_block_count_z
      - .offset:         28
        .size:           2
        .value_kind:     hidden_group_size_x
      - .offset:         30
        .size:           2
        .value_kind:     hidden_group_size_y
      - .offset:         32
        .size:           2
        .value_kind:     hidden_group_size_z
      - .offset:         34
        .size:           2
        .value_kind:     hidden_remainder_x
      - .offset:         36
        .size:           2
        .value_kind:     hidden_remainder_y
      - .offset:         38
        .size:           2
        .value_kind:     hidden_remainder_z
      - .offset:         56
        .size:           8
        .value_kind:     hidden_global_offset_x
      - .offset:         64
        .size:           8
        .value_kind:     hidden_global_offset_y
      - .offset:         72
        .size:           8
        .value_kind:     hidden_global_offset_z
      - .offset:         80
        .size:           2
        .value_kind:     hidden_grid_dims
    .group_segment_fixed_size: 2064
    .kernarg_segment_align: 8
    .kernarg_segment_size: 272
    .language:       OpenCL C
    .language_version:
      - 2
      - 0
    .max_flat_workgroup_size: 64
    .name:           _Z16sort_keys_kernelI22helper_blocked_stripedxLj64ELj3ELj10EEvPKT0_PS1_
    .private_segment_fixed_size: 0
    .sgpr_count:     24
    .sgpr_spill_count: 0
    .symbol:         _Z16sort_keys_kernelI22helper_blocked_stripedxLj64ELj3ELj10EEvPKT0_PS1_.kd
    .uniform_work_group_size: 1
    .uses_dynamic_stack: false
    .vgpr_count:     40
    .vgpr_spill_count: 0
    .wavefront_size: 32
    .workgroup_processor_mode: 1
  - .args:
      - .address_space:  global
        .offset:         0
        .size:           8
        .value_kind:     global_buffer
      - .address_space:  global
        .offset:         8
        .size:           8
        .value_kind:     global_buffer
      - .offset:         16
        .size:           4
        .value_kind:     hidden_block_count_x
      - .offset:         20
        .size:           4
        .value_kind:     hidden_block_count_y
      - .offset:         24
        .size:           4
        .value_kind:     hidden_block_count_z
      - .offset:         28
        .size:           2
        .value_kind:     hidden_group_size_x
      - .offset:         30
        .size:           2
        .value_kind:     hidden_group_size_y
      - .offset:         32
        .size:           2
        .value_kind:     hidden_group_size_z
      - .offset:         34
        .size:           2
        .value_kind:     hidden_remainder_x
      - .offset:         36
        .size:           2
        .value_kind:     hidden_remainder_y
      - .offset:         38
        .size:           2
        .value_kind:     hidden_remainder_z
      - .offset:         56
        .size:           8
        .value_kind:     hidden_global_offset_x
      - .offset:         64
        .size:           8
        .value_kind:     hidden_global_offset_y
      - .offset:         72
        .size:           8
        .value_kind:     hidden_global_offset_z
      - .offset:         80
        .size:           2
        .value_kind:     hidden_grid_dims
    .group_segment_fixed_size: 2064
    .kernarg_segment_align: 8
    .kernarg_segment_size: 272
    .language:       OpenCL C
    .language_version:
      - 2
      - 0
    .max_flat_workgroup_size: 64
    .name:           _Z17sort_pairs_kernelI22helper_blocked_stripedxLj64ELj3ELj10EEvPKT0_PS1_
    .private_segment_fixed_size: 0
    .sgpr_count:     24
    .sgpr_spill_count: 0
    .symbol:         _Z17sort_pairs_kernelI22helper_blocked_stripedxLj64ELj3ELj10EEvPKT0_PS1_.kd
    .uniform_work_group_size: 1
    .uses_dynamic_stack: false
    .vgpr_count:     46
    .vgpr_spill_count: 0
    .wavefront_size: 32
    .workgroup_processor_mode: 1
  - .args:
      - .address_space:  global
        .offset:         0
        .size:           8
        .value_kind:     global_buffer
      - .address_space:  global
        .offset:         8
        .size:           8
        .value_kind:     global_buffer
      - .offset:         16
        .size:           4
        .value_kind:     hidden_block_count_x
      - .offset:         20
        .size:           4
        .value_kind:     hidden_block_count_y
      - .offset:         24
        .size:           4
        .value_kind:     hidden_block_count_z
      - .offset:         28
        .size:           2
        .value_kind:     hidden_group_size_x
      - .offset:         30
        .size:           2
        .value_kind:     hidden_group_size_y
      - .offset:         32
        .size:           2
        .value_kind:     hidden_group_size_z
      - .offset:         34
        .size:           2
        .value_kind:     hidden_remainder_x
      - .offset:         36
        .size:           2
        .value_kind:     hidden_remainder_y
      - .offset:         38
        .size:           2
        .value_kind:     hidden_remainder_z
      - .offset:         56
        .size:           8
        .value_kind:     hidden_global_offset_x
      - .offset:         64
        .size:           8
        .value_kind:     hidden_global_offset_y
      - .offset:         72
        .size:           8
        .value_kind:     hidden_global_offset_z
      - .offset:         80
        .size:           2
        .value_kind:     hidden_grid_dims
    .group_segment_fixed_size: 2064
    .kernarg_segment_align: 8
    .kernarg_segment_size: 272
    .language:       OpenCL C
    .language_version:
      - 2
      - 0
    .max_flat_workgroup_size: 64
    .name:           _Z16sort_keys_kernelI22helper_blocked_stripedxLj64ELj4ELj10EEvPKT0_PS1_
    .private_segment_fixed_size: 0
    .sgpr_count:     26
    .sgpr_spill_count: 0
    .symbol:         _Z16sort_keys_kernelI22helper_blocked_stripedxLj64ELj4ELj10EEvPKT0_PS1_.kd
    .uniform_work_group_size: 1
    .uses_dynamic_stack: false
    .vgpr_count:     49
    .vgpr_spill_count: 0
    .wavefront_size: 32
    .workgroup_processor_mode: 1
  - .args:
      - .address_space:  global
        .offset:         0
        .size:           8
        .value_kind:     global_buffer
      - .address_space:  global
        .offset:         8
        .size:           8
        .value_kind:     global_buffer
      - .offset:         16
        .size:           4
        .value_kind:     hidden_block_count_x
      - .offset:         20
        .size:           4
        .value_kind:     hidden_block_count_y
      - .offset:         24
        .size:           4
        .value_kind:     hidden_block_count_z
      - .offset:         28
        .size:           2
        .value_kind:     hidden_group_size_x
      - .offset:         30
        .size:           2
        .value_kind:     hidden_group_size_y
      - .offset:         32
        .size:           2
        .value_kind:     hidden_group_size_z
      - .offset:         34
        .size:           2
        .value_kind:     hidden_remainder_x
      - .offset:         36
        .size:           2
        .value_kind:     hidden_remainder_y
      - .offset:         38
        .size:           2
        .value_kind:     hidden_remainder_z
      - .offset:         56
        .size:           8
        .value_kind:     hidden_global_offset_x
      - .offset:         64
        .size:           8
        .value_kind:     hidden_global_offset_y
      - .offset:         72
        .size:           8
        .value_kind:     hidden_global_offset_z
      - .offset:         80
        .size:           2
        .value_kind:     hidden_grid_dims
    .group_segment_fixed_size: 2064
    .kernarg_segment_align: 8
    .kernarg_segment_size: 272
    .language:       OpenCL C
    .language_version:
      - 2
      - 0
    .max_flat_workgroup_size: 64
    .name:           _Z17sort_pairs_kernelI22helper_blocked_stripedxLj64ELj4ELj10EEvPKT0_PS1_
    .private_segment_fixed_size: 0
    .sgpr_count:     29
    .sgpr_spill_count: 0
    .symbol:         _Z17sort_pairs_kernelI22helper_blocked_stripedxLj64ELj4ELj10EEvPKT0_PS1_.kd
    .uniform_work_group_size: 1
    .uses_dynamic_stack: false
    .vgpr_count:     53
    .vgpr_spill_count: 0
    .wavefront_size: 32
    .workgroup_processor_mode: 1
  - .args:
      - .address_space:  global
        .offset:         0
        .size:           8
        .value_kind:     global_buffer
      - .address_space:  global
        .offset:         8
        .size:           8
        .value_kind:     global_buffer
      - .offset:         16
        .size:           4
        .value_kind:     hidden_block_count_x
      - .offset:         20
        .size:           4
        .value_kind:     hidden_block_count_y
      - .offset:         24
        .size:           4
        .value_kind:     hidden_block_count_z
      - .offset:         28
        .size:           2
        .value_kind:     hidden_group_size_x
      - .offset:         30
        .size:           2
        .value_kind:     hidden_group_size_y
      - .offset:         32
        .size:           2
        .value_kind:     hidden_group_size_z
      - .offset:         34
        .size:           2
        .value_kind:     hidden_remainder_x
      - .offset:         36
        .size:           2
        .value_kind:     hidden_remainder_y
      - .offset:         38
        .size:           2
        .value_kind:     hidden_remainder_z
      - .offset:         56
        .size:           8
        .value_kind:     hidden_global_offset_x
      - .offset:         64
        .size:           8
        .value_kind:     hidden_global_offset_y
      - .offset:         72
        .size:           8
        .value_kind:     hidden_global_offset_z
      - .offset:         80
        .size:           2
        .value_kind:     hidden_grid_dims
    .group_segment_fixed_size: 4096
    .kernarg_segment_align: 8
    .kernarg_segment_size: 272
    .language:       OpenCL C
    .language_version:
      - 2
      - 0
    .max_flat_workgroup_size: 64
    .name:           _Z16sort_keys_kernelI22helper_blocked_stripedxLj64ELj8ELj10EEvPKT0_PS1_
    .private_segment_fixed_size: 0
    .sgpr_count:     26
    .sgpr_spill_count: 0
    .symbol:         _Z16sort_keys_kernelI22helper_blocked_stripedxLj64ELj8ELj10EEvPKT0_PS1_.kd
    .uniform_work_group_size: 1
    .uses_dynamic_stack: false
    .vgpr_count:     60
    .vgpr_spill_count: 0
    .wavefront_size: 32
    .workgroup_processor_mode: 1
  - .args:
      - .address_space:  global
        .offset:         0
        .size:           8
        .value_kind:     global_buffer
      - .address_space:  global
        .offset:         8
        .size:           8
        .value_kind:     global_buffer
      - .offset:         16
        .size:           4
        .value_kind:     hidden_block_count_x
      - .offset:         20
        .size:           4
        .value_kind:     hidden_block_count_y
      - .offset:         24
        .size:           4
        .value_kind:     hidden_block_count_z
      - .offset:         28
        .size:           2
        .value_kind:     hidden_group_size_x
      - .offset:         30
        .size:           2
        .value_kind:     hidden_group_size_y
      - .offset:         32
        .size:           2
        .value_kind:     hidden_group_size_z
      - .offset:         34
        .size:           2
        .value_kind:     hidden_remainder_x
      - .offset:         36
        .size:           2
        .value_kind:     hidden_remainder_y
      - .offset:         38
        .size:           2
        .value_kind:     hidden_remainder_z
      - .offset:         56
        .size:           8
        .value_kind:     hidden_global_offset_x
      - .offset:         64
        .size:           8
        .value_kind:     hidden_global_offset_y
      - .offset:         72
        .size:           8
        .value_kind:     hidden_global_offset_z
      - .offset:         80
        .size:           2
        .value_kind:     hidden_grid_dims
    .group_segment_fixed_size: 4096
    .kernarg_segment_align: 8
    .kernarg_segment_size: 272
    .language:       OpenCL C
    .language_version:
      - 2
      - 0
    .max_flat_workgroup_size: 64
    .name:           _Z17sort_pairs_kernelI22helper_blocked_stripedxLj64ELj8ELj10EEvPKT0_PS1_
    .private_segment_fixed_size: 0
    .sgpr_count:     26
    .sgpr_spill_count: 0
    .symbol:         _Z17sort_pairs_kernelI22helper_blocked_stripedxLj64ELj8ELj10EEvPKT0_PS1_.kd
    .uniform_work_group_size: 1
    .uses_dynamic_stack: false
    .vgpr_count:     83
    .vgpr_spill_count: 0
    .wavefront_size: 32
    .workgroup_processor_mode: 1
  - .args:
      - .address_space:  global
        .offset:         0
        .size:           8
        .value_kind:     global_buffer
      - .address_space:  global
        .offset:         8
        .size:           8
        .value_kind:     global_buffer
      - .offset:         16
        .size:           4
        .value_kind:     hidden_block_count_x
      - .offset:         20
        .size:           4
        .value_kind:     hidden_block_count_y
      - .offset:         24
        .size:           4
        .value_kind:     hidden_block_count_z
      - .offset:         28
        .size:           2
        .value_kind:     hidden_group_size_x
      - .offset:         30
        .size:           2
        .value_kind:     hidden_group_size_y
      - .offset:         32
        .size:           2
        .value_kind:     hidden_group_size_z
      - .offset:         34
        .size:           2
        .value_kind:     hidden_remainder_x
      - .offset:         36
        .size:           2
        .value_kind:     hidden_remainder_y
      - .offset:         38
        .size:           2
        .value_kind:     hidden_remainder_z
      - .offset:         56
        .size:           8
        .value_kind:     hidden_global_offset_x
      - .offset:         64
        .size:           8
        .value_kind:     hidden_global_offset_y
      - .offset:         72
        .size:           8
        .value_kind:     hidden_global_offset_z
      - .offset:         80
        .size:           2
        .value_kind:     hidden_grid_dims
    .group_segment_fixed_size: 4112
    .kernarg_segment_align: 8
    .kernarg_segment_size: 272
    .language:       OpenCL C
    .language_version:
      - 2
      - 0
    .max_flat_workgroup_size: 128
    .name:           _Z16sort_keys_kernelI22helper_blocked_stripedxLj128ELj1ELj10EEvPKT0_PS1_
    .private_segment_fixed_size: 0
    .sgpr_count:     23
    .sgpr_spill_count: 0
    .symbol:         _Z16sort_keys_kernelI22helper_blocked_stripedxLj128ELj1ELj10EEvPKT0_PS1_.kd
    .uniform_work_group_size: 1
    .uses_dynamic_stack: false
    .vgpr_count:     28
    .vgpr_spill_count: 0
    .wavefront_size: 32
    .workgroup_processor_mode: 1
  - .args:
      - .address_space:  global
        .offset:         0
        .size:           8
        .value_kind:     global_buffer
      - .address_space:  global
        .offset:         8
        .size:           8
        .value_kind:     global_buffer
      - .offset:         16
        .size:           4
        .value_kind:     hidden_block_count_x
      - .offset:         20
        .size:           4
        .value_kind:     hidden_block_count_y
      - .offset:         24
        .size:           4
        .value_kind:     hidden_block_count_z
      - .offset:         28
        .size:           2
        .value_kind:     hidden_group_size_x
      - .offset:         30
        .size:           2
        .value_kind:     hidden_group_size_y
      - .offset:         32
        .size:           2
        .value_kind:     hidden_group_size_z
      - .offset:         34
        .size:           2
        .value_kind:     hidden_remainder_x
      - .offset:         36
        .size:           2
        .value_kind:     hidden_remainder_y
      - .offset:         38
        .size:           2
        .value_kind:     hidden_remainder_z
      - .offset:         56
        .size:           8
        .value_kind:     hidden_global_offset_x
      - .offset:         64
        .size:           8
        .value_kind:     hidden_global_offset_y
      - .offset:         72
        .size:           8
        .value_kind:     hidden_global_offset_z
      - .offset:         80
        .size:           2
        .value_kind:     hidden_grid_dims
    .group_segment_fixed_size: 4112
    .kernarg_segment_align: 8
    .kernarg_segment_size: 272
    .language:       OpenCL C
    .language_version:
      - 2
      - 0
    .max_flat_workgroup_size: 128
    .name:           _Z17sort_pairs_kernelI22helper_blocked_stripedxLj128ELj1ELj10EEvPKT0_PS1_
    .private_segment_fixed_size: 0
    .sgpr_count:     23
    .sgpr_spill_count: 0
    .symbol:         _Z17sort_pairs_kernelI22helper_blocked_stripedxLj128ELj1ELj10EEvPKT0_PS1_.kd
    .uniform_work_group_size: 1
    .uses_dynamic_stack: false
    .vgpr_count:     30
    .vgpr_spill_count: 0
    .wavefront_size: 32
    .workgroup_processor_mode: 1
  - .args:
      - .address_space:  global
        .offset:         0
        .size:           8
        .value_kind:     global_buffer
      - .address_space:  global
        .offset:         8
        .size:           8
        .value_kind:     global_buffer
      - .offset:         16
        .size:           4
        .value_kind:     hidden_block_count_x
      - .offset:         20
        .size:           4
        .value_kind:     hidden_block_count_y
      - .offset:         24
        .size:           4
        .value_kind:     hidden_block_count_z
      - .offset:         28
        .size:           2
        .value_kind:     hidden_group_size_x
      - .offset:         30
        .size:           2
        .value_kind:     hidden_group_size_y
      - .offset:         32
        .size:           2
        .value_kind:     hidden_group_size_z
      - .offset:         34
        .size:           2
        .value_kind:     hidden_remainder_x
      - .offset:         36
        .size:           2
        .value_kind:     hidden_remainder_y
      - .offset:         38
        .size:           2
        .value_kind:     hidden_remainder_z
      - .offset:         56
        .size:           8
        .value_kind:     hidden_global_offset_x
      - .offset:         64
        .size:           8
        .value_kind:     hidden_global_offset_y
      - .offset:         72
        .size:           8
        .value_kind:     hidden_global_offset_z
      - .offset:         80
        .size:           2
        .value_kind:     hidden_grid_dims
    .group_segment_fixed_size: 4112
    .kernarg_segment_align: 8
    .kernarg_segment_size: 272
    .language:       OpenCL C
    .language_version:
      - 2
      - 0
    .max_flat_workgroup_size: 128
    .name:           _Z16sort_keys_kernelI22helper_blocked_stripedxLj128ELj3ELj10EEvPKT0_PS1_
    .private_segment_fixed_size: 0
    .sgpr_count:     23
    .sgpr_spill_count: 0
    .symbol:         _Z16sort_keys_kernelI22helper_blocked_stripedxLj128ELj3ELj10EEvPKT0_PS1_.kd
    .uniform_work_group_size: 1
    .uses_dynamic_stack: false
    .vgpr_count:     40
    .vgpr_spill_count: 0
    .wavefront_size: 32
    .workgroup_processor_mode: 1
  - .args:
      - .address_space:  global
        .offset:         0
        .size:           8
        .value_kind:     global_buffer
      - .address_space:  global
        .offset:         8
        .size:           8
        .value_kind:     global_buffer
      - .offset:         16
        .size:           4
        .value_kind:     hidden_block_count_x
      - .offset:         20
        .size:           4
        .value_kind:     hidden_block_count_y
      - .offset:         24
        .size:           4
        .value_kind:     hidden_block_count_z
      - .offset:         28
        .size:           2
        .value_kind:     hidden_group_size_x
      - .offset:         30
        .size:           2
        .value_kind:     hidden_group_size_y
      - .offset:         32
        .size:           2
        .value_kind:     hidden_group_size_z
      - .offset:         34
        .size:           2
        .value_kind:     hidden_remainder_x
      - .offset:         36
        .size:           2
        .value_kind:     hidden_remainder_y
      - .offset:         38
        .size:           2
        .value_kind:     hidden_remainder_z
      - .offset:         56
        .size:           8
        .value_kind:     hidden_global_offset_x
      - .offset:         64
        .size:           8
        .value_kind:     hidden_global_offset_y
      - .offset:         72
        .size:           8
        .value_kind:     hidden_global_offset_z
      - .offset:         80
        .size:           2
        .value_kind:     hidden_grid_dims
    .group_segment_fixed_size: 4112
    .kernarg_segment_align: 8
    .kernarg_segment_size: 272
    .language:       OpenCL C
    .language_version:
      - 2
      - 0
    .max_flat_workgroup_size: 128
    .name:           _Z17sort_pairs_kernelI22helper_blocked_stripedxLj128ELj3ELj10EEvPKT0_PS1_
    .private_segment_fixed_size: 0
    .sgpr_count:     23
    .sgpr_spill_count: 0
    .symbol:         _Z17sort_pairs_kernelI22helper_blocked_stripedxLj128ELj3ELj10EEvPKT0_PS1_.kd
    .uniform_work_group_size: 1
    .uses_dynamic_stack: false
    .vgpr_count:     46
    .vgpr_spill_count: 0
    .wavefront_size: 32
    .workgroup_processor_mode: 1
  - .args:
      - .address_space:  global
        .offset:         0
        .size:           8
        .value_kind:     global_buffer
      - .address_space:  global
        .offset:         8
        .size:           8
        .value_kind:     global_buffer
      - .offset:         16
        .size:           4
        .value_kind:     hidden_block_count_x
      - .offset:         20
        .size:           4
        .value_kind:     hidden_block_count_y
      - .offset:         24
        .size:           4
        .value_kind:     hidden_block_count_z
      - .offset:         28
        .size:           2
        .value_kind:     hidden_group_size_x
      - .offset:         30
        .size:           2
        .value_kind:     hidden_group_size_y
      - .offset:         32
        .size:           2
        .value_kind:     hidden_group_size_z
      - .offset:         34
        .size:           2
        .value_kind:     hidden_remainder_x
      - .offset:         36
        .size:           2
        .value_kind:     hidden_remainder_y
      - .offset:         38
        .size:           2
        .value_kind:     hidden_remainder_z
      - .offset:         56
        .size:           8
        .value_kind:     hidden_global_offset_x
      - .offset:         64
        .size:           8
        .value_kind:     hidden_global_offset_y
      - .offset:         72
        .size:           8
        .value_kind:     hidden_global_offset_z
      - .offset:         80
        .size:           2
        .value_kind:     hidden_grid_dims
    .group_segment_fixed_size: 4112
    .kernarg_segment_align: 8
    .kernarg_segment_size: 272
    .language:       OpenCL C
    .language_version:
      - 2
      - 0
    .max_flat_workgroup_size: 128
    .name:           _Z16sort_keys_kernelI22helper_blocked_stripedxLj128ELj4ELj10EEvPKT0_PS1_
    .private_segment_fixed_size: 0
    .sgpr_count:     26
    .sgpr_spill_count: 0
    .symbol:         _Z16sort_keys_kernelI22helper_blocked_stripedxLj128ELj4ELj10EEvPKT0_PS1_.kd
    .uniform_work_group_size: 1
    .uses_dynamic_stack: false
    .vgpr_count:     49
    .vgpr_spill_count: 0
    .wavefront_size: 32
    .workgroup_processor_mode: 1
  - .args:
      - .address_space:  global
        .offset:         0
        .size:           8
        .value_kind:     global_buffer
      - .address_space:  global
        .offset:         8
        .size:           8
        .value_kind:     global_buffer
      - .offset:         16
        .size:           4
        .value_kind:     hidden_block_count_x
      - .offset:         20
        .size:           4
        .value_kind:     hidden_block_count_y
      - .offset:         24
        .size:           4
        .value_kind:     hidden_block_count_z
      - .offset:         28
        .size:           2
        .value_kind:     hidden_group_size_x
      - .offset:         30
        .size:           2
        .value_kind:     hidden_group_size_y
      - .offset:         32
        .size:           2
        .value_kind:     hidden_group_size_z
      - .offset:         34
        .size:           2
        .value_kind:     hidden_remainder_x
      - .offset:         36
        .size:           2
        .value_kind:     hidden_remainder_y
      - .offset:         38
        .size:           2
        .value_kind:     hidden_remainder_z
      - .offset:         56
        .size:           8
        .value_kind:     hidden_global_offset_x
      - .offset:         64
        .size:           8
        .value_kind:     hidden_global_offset_y
      - .offset:         72
        .size:           8
        .value_kind:     hidden_global_offset_z
      - .offset:         80
        .size:           2
        .value_kind:     hidden_grid_dims
    .group_segment_fixed_size: 4112
    .kernarg_segment_align: 8
    .kernarg_segment_size: 272
    .language:       OpenCL C
    .language_version:
      - 2
      - 0
    .max_flat_workgroup_size: 128
    .name:           _Z17sort_pairs_kernelI22helper_blocked_stripedxLj128ELj4ELj10EEvPKT0_PS1_
    .private_segment_fixed_size: 0
    .sgpr_count:     30
    .sgpr_spill_count: 0
    .symbol:         _Z17sort_pairs_kernelI22helper_blocked_stripedxLj128ELj4ELj10EEvPKT0_PS1_.kd
    .uniform_work_group_size: 1
    .uses_dynamic_stack: false
    .vgpr_count:     53
    .vgpr_spill_count: 0
    .wavefront_size: 32
    .workgroup_processor_mode: 1
  - .args:
      - .address_space:  global
        .offset:         0
        .size:           8
        .value_kind:     global_buffer
      - .address_space:  global
        .offset:         8
        .size:           8
        .value_kind:     global_buffer
      - .offset:         16
        .size:           4
        .value_kind:     hidden_block_count_x
      - .offset:         20
        .size:           4
        .value_kind:     hidden_block_count_y
      - .offset:         24
        .size:           4
        .value_kind:     hidden_block_count_z
      - .offset:         28
        .size:           2
        .value_kind:     hidden_group_size_x
      - .offset:         30
        .size:           2
        .value_kind:     hidden_group_size_y
      - .offset:         32
        .size:           2
        .value_kind:     hidden_group_size_z
      - .offset:         34
        .size:           2
        .value_kind:     hidden_remainder_x
      - .offset:         36
        .size:           2
        .value_kind:     hidden_remainder_y
      - .offset:         38
        .size:           2
        .value_kind:     hidden_remainder_z
      - .offset:         56
        .size:           8
        .value_kind:     hidden_global_offset_x
      - .offset:         64
        .size:           8
        .value_kind:     hidden_global_offset_y
      - .offset:         72
        .size:           8
        .value_kind:     hidden_global_offset_z
      - .offset:         80
        .size:           2
        .value_kind:     hidden_grid_dims
    .group_segment_fixed_size: 8192
    .kernarg_segment_align: 8
    .kernarg_segment_size: 272
    .language:       OpenCL C
    .language_version:
      - 2
      - 0
    .max_flat_workgroup_size: 128
    .name:           _Z16sort_keys_kernelI22helper_blocked_stripedxLj128ELj8ELj10EEvPKT0_PS1_
    .private_segment_fixed_size: 0
    .sgpr_count:     27
    .sgpr_spill_count: 0
    .symbol:         _Z16sort_keys_kernelI22helper_blocked_stripedxLj128ELj8ELj10EEvPKT0_PS1_.kd
    .uniform_work_group_size: 1
    .uses_dynamic_stack: false
    .vgpr_count:     60
    .vgpr_spill_count: 0
    .wavefront_size: 32
    .workgroup_processor_mode: 1
  - .args:
      - .address_space:  global
        .offset:         0
        .size:           8
        .value_kind:     global_buffer
      - .address_space:  global
        .offset:         8
        .size:           8
        .value_kind:     global_buffer
      - .offset:         16
        .size:           4
        .value_kind:     hidden_block_count_x
      - .offset:         20
        .size:           4
        .value_kind:     hidden_block_count_y
      - .offset:         24
        .size:           4
        .value_kind:     hidden_block_count_z
      - .offset:         28
        .size:           2
        .value_kind:     hidden_group_size_x
      - .offset:         30
        .size:           2
        .value_kind:     hidden_group_size_y
      - .offset:         32
        .size:           2
        .value_kind:     hidden_group_size_z
      - .offset:         34
        .size:           2
        .value_kind:     hidden_remainder_x
      - .offset:         36
        .size:           2
        .value_kind:     hidden_remainder_y
      - .offset:         38
        .size:           2
        .value_kind:     hidden_remainder_z
      - .offset:         56
        .size:           8
        .value_kind:     hidden_global_offset_x
      - .offset:         64
        .size:           8
        .value_kind:     hidden_global_offset_y
      - .offset:         72
        .size:           8
        .value_kind:     hidden_global_offset_z
      - .offset:         80
        .size:           2
        .value_kind:     hidden_grid_dims
    .group_segment_fixed_size: 8192
    .kernarg_segment_align: 8
    .kernarg_segment_size: 272
    .language:       OpenCL C
    .language_version:
      - 2
      - 0
    .max_flat_workgroup_size: 128
    .name:           _Z17sort_pairs_kernelI22helper_blocked_stripedxLj128ELj8ELj10EEvPKT0_PS1_
    .private_segment_fixed_size: 0
    .sgpr_count:     27
    .sgpr_spill_count: 0
    .symbol:         _Z17sort_pairs_kernelI22helper_blocked_stripedxLj128ELj8ELj10EEvPKT0_PS1_.kd
    .uniform_work_group_size: 1
    .uses_dynamic_stack: false
    .vgpr_count:     83
    .vgpr_spill_count: 0
    .wavefront_size: 32
    .workgroup_processor_mode: 1
  - .args:
      - .address_space:  global
        .offset:         0
        .size:           8
        .value_kind:     global_buffer
      - .address_space:  global
        .offset:         8
        .size:           8
        .value_kind:     global_buffer
      - .offset:         16
        .size:           4
        .value_kind:     hidden_block_count_x
      - .offset:         20
        .size:           4
        .value_kind:     hidden_block_count_y
      - .offset:         24
        .size:           4
        .value_kind:     hidden_block_count_z
      - .offset:         28
        .size:           2
        .value_kind:     hidden_group_size_x
      - .offset:         30
        .size:           2
        .value_kind:     hidden_group_size_y
      - .offset:         32
        .size:           2
        .value_kind:     hidden_group_size_z
      - .offset:         34
        .size:           2
        .value_kind:     hidden_remainder_x
      - .offset:         36
        .size:           2
        .value_kind:     hidden_remainder_y
      - .offset:         38
        .size:           2
        .value_kind:     hidden_remainder_z
      - .offset:         56
        .size:           8
        .value_kind:     hidden_global_offset_x
      - .offset:         64
        .size:           8
        .value_kind:     hidden_global_offset_y
      - .offset:         72
        .size:           8
        .value_kind:     hidden_global_offset_z
      - .offset:         80
        .size:           2
        .value_kind:     hidden_grid_dims
    .group_segment_fixed_size: 6176
    .kernarg_segment_align: 8
    .kernarg_segment_size: 272
    .language:       OpenCL C
    .language_version:
      - 2
      - 0
    .max_flat_workgroup_size: 192
    .name:           _Z16sort_keys_kernelI22helper_blocked_stripedxLj192ELj1ELj10EEvPKT0_PS1_
    .private_segment_fixed_size: 0
    .sgpr_count:     24
    .sgpr_spill_count: 0
    .symbol:         _Z16sort_keys_kernelI22helper_blocked_stripedxLj192ELj1ELj10EEvPKT0_PS1_.kd
    .uniform_work_group_size: 1
    .uses_dynamic_stack: false
    .vgpr_count:     28
    .vgpr_spill_count: 0
    .wavefront_size: 32
    .workgroup_processor_mode: 1
  - .args:
      - .address_space:  global
        .offset:         0
        .size:           8
        .value_kind:     global_buffer
      - .address_space:  global
        .offset:         8
        .size:           8
        .value_kind:     global_buffer
      - .offset:         16
        .size:           4
        .value_kind:     hidden_block_count_x
      - .offset:         20
        .size:           4
        .value_kind:     hidden_block_count_y
      - .offset:         24
        .size:           4
        .value_kind:     hidden_block_count_z
      - .offset:         28
        .size:           2
        .value_kind:     hidden_group_size_x
      - .offset:         30
        .size:           2
        .value_kind:     hidden_group_size_y
      - .offset:         32
        .size:           2
        .value_kind:     hidden_group_size_z
      - .offset:         34
        .size:           2
        .value_kind:     hidden_remainder_x
      - .offset:         36
        .size:           2
        .value_kind:     hidden_remainder_y
      - .offset:         38
        .size:           2
        .value_kind:     hidden_remainder_z
      - .offset:         56
        .size:           8
        .value_kind:     hidden_global_offset_x
      - .offset:         64
        .size:           8
        .value_kind:     hidden_global_offset_y
      - .offset:         72
        .size:           8
        .value_kind:     hidden_global_offset_z
      - .offset:         80
        .size:           2
        .value_kind:     hidden_grid_dims
    .group_segment_fixed_size: 6176
    .kernarg_segment_align: 8
    .kernarg_segment_size: 272
    .language:       OpenCL C
    .language_version:
      - 2
      - 0
    .max_flat_workgroup_size: 192
    .name:           _Z17sort_pairs_kernelI22helper_blocked_stripedxLj192ELj1ELj10EEvPKT0_PS1_
    .private_segment_fixed_size: 0
    .sgpr_count:     24
    .sgpr_spill_count: 0
    .symbol:         _Z17sort_pairs_kernelI22helper_blocked_stripedxLj192ELj1ELj10EEvPKT0_PS1_.kd
    .uniform_work_group_size: 1
    .uses_dynamic_stack: false
    .vgpr_count:     30
    .vgpr_spill_count: 0
    .wavefront_size: 32
    .workgroup_processor_mode: 1
  - .args:
      - .address_space:  global
        .offset:         0
        .size:           8
        .value_kind:     global_buffer
      - .address_space:  global
        .offset:         8
        .size:           8
        .value_kind:     global_buffer
      - .offset:         16
        .size:           4
        .value_kind:     hidden_block_count_x
      - .offset:         20
        .size:           4
        .value_kind:     hidden_block_count_y
      - .offset:         24
        .size:           4
        .value_kind:     hidden_block_count_z
      - .offset:         28
        .size:           2
        .value_kind:     hidden_group_size_x
      - .offset:         30
        .size:           2
        .value_kind:     hidden_group_size_y
      - .offset:         32
        .size:           2
        .value_kind:     hidden_group_size_z
      - .offset:         34
        .size:           2
        .value_kind:     hidden_remainder_x
      - .offset:         36
        .size:           2
        .value_kind:     hidden_remainder_y
      - .offset:         38
        .size:           2
        .value_kind:     hidden_remainder_z
      - .offset:         56
        .size:           8
        .value_kind:     hidden_global_offset_x
      - .offset:         64
        .size:           8
        .value_kind:     hidden_global_offset_y
      - .offset:         72
        .size:           8
        .value_kind:     hidden_global_offset_z
      - .offset:         80
        .size:           2
        .value_kind:     hidden_grid_dims
    .group_segment_fixed_size: 6176
    .kernarg_segment_align: 8
    .kernarg_segment_size: 272
    .language:       OpenCL C
    .language_version:
      - 2
      - 0
    .max_flat_workgroup_size: 192
    .name:           _Z16sort_keys_kernelI22helper_blocked_stripedxLj192ELj3ELj10EEvPKT0_PS1_
    .private_segment_fixed_size: 0
    .sgpr_count:     24
    .sgpr_spill_count: 0
    .symbol:         _Z16sort_keys_kernelI22helper_blocked_stripedxLj192ELj3ELj10EEvPKT0_PS1_.kd
    .uniform_work_group_size: 1
    .uses_dynamic_stack: false
    .vgpr_count:     40
    .vgpr_spill_count: 0
    .wavefront_size: 32
    .workgroup_processor_mode: 1
  - .args:
      - .address_space:  global
        .offset:         0
        .size:           8
        .value_kind:     global_buffer
      - .address_space:  global
        .offset:         8
        .size:           8
        .value_kind:     global_buffer
      - .offset:         16
        .size:           4
        .value_kind:     hidden_block_count_x
      - .offset:         20
        .size:           4
        .value_kind:     hidden_block_count_y
      - .offset:         24
        .size:           4
        .value_kind:     hidden_block_count_z
      - .offset:         28
        .size:           2
        .value_kind:     hidden_group_size_x
      - .offset:         30
        .size:           2
        .value_kind:     hidden_group_size_y
      - .offset:         32
        .size:           2
        .value_kind:     hidden_group_size_z
      - .offset:         34
        .size:           2
        .value_kind:     hidden_remainder_x
      - .offset:         36
        .size:           2
        .value_kind:     hidden_remainder_y
      - .offset:         38
        .size:           2
        .value_kind:     hidden_remainder_z
      - .offset:         56
        .size:           8
        .value_kind:     hidden_global_offset_x
      - .offset:         64
        .size:           8
        .value_kind:     hidden_global_offset_y
      - .offset:         72
        .size:           8
        .value_kind:     hidden_global_offset_z
      - .offset:         80
        .size:           2
        .value_kind:     hidden_grid_dims
    .group_segment_fixed_size: 6176
    .kernarg_segment_align: 8
    .kernarg_segment_size: 272
    .language:       OpenCL C
    .language_version:
      - 2
      - 0
    .max_flat_workgroup_size: 192
    .name:           _Z17sort_pairs_kernelI22helper_blocked_stripedxLj192ELj3ELj10EEvPKT0_PS1_
    .private_segment_fixed_size: 0
    .sgpr_count:     24
    .sgpr_spill_count: 0
    .symbol:         _Z17sort_pairs_kernelI22helper_blocked_stripedxLj192ELj3ELj10EEvPKT0_PS1_.kd
    .uniform_work_group_size: 1
    .uses_dynamic_stack: false
    .vgpr_count:     46
    .vgpr_spill_count: 0
    .wavefront_size: 32
    .workgroup_processor_mode: 1
  - .args:
      - .address_space:  global
        .offset:         0
        .size:           8
        .value_kind:     global_buffer
      - .address_space:  global
        .offset:         8
        .size:           8
        .value_kind:     global_buffer
      - .offset:         16
        .size:           4
        .value_kind:     hidden_block_count_x
      - .offset:         20
        .size:           4
        .value_kind:     hidden_block_count_y
      - .offset:         24
        .size:           4
        .value_kind:     hidden_block_count_z
      - .offset:         28
        .size:           2
        .value_kind:     hidden_group_size_x
      - .offset:         30
        .size:           2
        .value_kind:     hidden_group_size_y
      - .offset:         32
        .size:           2
        .value_kind:     hidden_group_size_z
      - .offset:         34
        .size:           2
        .value_kind:     hidden_remainder_x
      - .offset:         36
        .size:           2
        .value_kind:     hidden_remainder_y
      - .offset:         38
        .size:           2
        .value_kind:     hidden_remainder_z
      - .offset:         56
        .size:           8
        .value_kind:     hidden_global_offset_x
      - .offset:         64
        .size:           8
        .value_kind:     hidden_global_offset_y
      - .offset:         72
        .size:           8
        .value_kind:     hidden_global_offset_z
      - .offset:         80
        .size:           2
        .value_kind:     hidden_grid_dims
    .group_segment_fixed_size: 6176
    .kernarg_segment_align: 8
    .kernarg_segment_size: 272
    .language:       OpenCL C
    .language_version:
      - 2
      - 0
    .max_flat_workgroup_size: 192
    .name:           _Z16sort_keys_kernelI22helper_blocked_stripedxLj192ELj4ELj10EEvPKT0_PS1_
    .private_segment_fixed_size: 0
    .sgpr_count:     28
    .sgpr_spill_count: 0
    .symbol:         _Z16sort_keys_kernelI22helper_blocked_stripedxLj192ELj4ELj10EEvPKT0_PS1_.kd
    .uniform_work_group_size: 1
    .uses_dynamic_stack: false
    .vgpr_count:     49
    .vgpr_spill_count: 0
    .wavefront_size: 32
    .workgroup_processor_mode: 1
  - .args:
      - .address_space:  global
        .offset:         0
        .size:           8
        .value_kind:     global_buffer
      - .address_space:  global
        .offset:         8
        .size:           8
        .value_kind:     global_buffer
      - .offset:         16
        .size:           4
        .value_kind:     hidden_block_count_x
      - .offset:         20
        .size:           4
        .value_kind:     hidden_block_count_y
      - .offset:         24
        .size:           4
        .value_kind:     hidden_block_count_z
      - .offset:         28
        .size:           2
        .value_kind:     hidden_group_size_x
      - .offset:         30
        .size:           2
        .value_kind:     hidden_group_size_y
      - .offset:         32
        .size:           2
        .value_kind:     hidden_group_size_z
      - .offset:         34
        .size:           2
        .value_kind:     hidden_remainder_x
      - .offset:         36
        .size:           2
        .value_kind:     hidden_remainder_y
      - .offset:         38
        .size:           2
        .value_kind:     hidden_remainder_z
      - .offset:         56
        .size:           8
        .value_kind:     hidden_global_offset_x
      - .offset:         64
        .size:           8
        .value_kind:     hidden_global_offset_y
      - .offset:         72
        .size:           8
        .value_kind:     hidden_global_offset_z
      - .offset:         80
        .size:           2
        .value_kind:     hidden_grid_dims
    .group_segment_fixed_size: 6176
    .kernarg_segment_align: 8
    .kernarg_segment_size: 272
    .language:       OpenCL C
    .language_version:
      - 2
      - 0
    .max_flat_workgroup_size: 192
    .name:           _Z17sort_pairs_kernelI22helper_blocked_stripedxLj192ELj4ELj10EEvPKT0_PS1_
    .private_segment_fixed_size: 0
    .sgpr_count:     31
    .sgpr_spill_count: 0
    .symbol:         _Z17sort_pairs_kernelI22helper_blocked_stripedxLj192ELj4ELj10EEvPKT0_PS1_.kd
    .uniform_work_group_size: 1
    .uses_dynamic_stack: false
    .vgpr_count:     53
    .vgpr_spill_count: 0
    .wavefront_size: 32
    .workgroup_processor_mode: 1
  - .args:
      - .address_space:  global
        .offset:         0
        .size:           8
        .value_kind:     global_buffer
      - .address_space:  global
        .offset:         8
        .size:           8
        .value_kind:     global_buffer
      - .offset:         16
        .size:           4
        .value_kind:     hidden_block_count_x
      - .offset:         20
        .size:           4
        .value_kind:     hidden_block_count_y
      - .offset:         24
        .size:           4
        .value_kind:     hidden_block_count_z
      - .offset:         28
        .size:           2
        .value_kind:     hidden_group_size_x
      - .offset:         30
        .size:           2
        .value_kind:     hidden_group_size_y
      - .offset:         32
        .size:           2
        .value_kind:     hidden_group_size_z
      - .offset:         34
        .size:           2
        .value_kind:     hidden_remainder_x
      - .offset:         36
        .size:           2
        .value_kind:     hidden_remainder_y
      - .offset:         38
        .size:           2
        .value_kind:     hidden_remainder_z
      - .offset:         56
        .size:           8
        .value_kind:     hidden_global_offset_x
      - .offset:         64
        .size:           8
        .value_kind:     hidden_global_offset_y
      - .offset:         72
        .size:           8
        .value_kind:     hidden_global_offset_z
      - .offset:         80
        .size:           2
        .value_kind:     hidden_grid_dims
    .group_segment_fixed_size: 12672
    .kernarg_segment_align: 8
    .kernarg_segment_size: 272
    .language:       OpenCL C
    .language_version:
      - 2
      - 0
    .max_flat_workgroup_size: 192
    .name:           _Z16sort_keys_kernelI22helper_blocked_stripedxLj192ELj8ELj10EEvPKT0_PS1_
    .private_segment_fixed_size: 0
    .sgpr_count:     28
    .sgpr_spill_count: 0
    .symbol:         _Z16sort_keys_kernelI22helper_blocked_stripedxLj192ELj8ELj10EEvPKT0_PS1_.kd
    .uniform_work_group_size: 1
    .uses_dynamic_stack: false
    .vgpr_count:     67
    .vgpr_spill_count: 0
    .wavefront_size: 32
    .workgroup_processor_mode: 1
  - .args:
      - .address_space:  global
        .offset:         0
        .size:           8
        .value_kind:     global_buffer
      - .address_space:  global
        .offset:         8
        .size:           8
        .value_kind:     global_buffer
      - .offset:         16
        .size:           4
        .value_kind:     hidden_block_count_x
      - .offset:         20
        .size:           4
        .value_kind:     hidden_block_count_y
      - .offset:         24
        .size:           4
        .value_kind:     hidden_block_count_z
      - .offset:         28
        .size:           2
        .value_kind:     hidden_group_size_x
      - .offset:         30
        .size:           2
        .value_kind:     hidden_group_size_y
      - .offset:         32
        .size:           2
        .value_kind:     hidden_group_size_z
      - .offset:         34
        .size:           2
        .value_kind:     hidden_remainder_x
      - .offset:         36
        .size:           2
        .value_kind:     hidden_remainder_y
      - .offset:         38
        .size:           2
        .value_kind:     hidden_remainder_z
      - .offset:         56
        .size:           8
        .value_kind:     hidden_global_offset_x
      - .offset:         64
        .size:           8
        .value_kind:     hidden_global_offset_y
      - .offset:         72
        .size:           8
        .value_kind:     hidden_global_offset_z
      - .offset:         80
        .size:           2
        .value_kind:     hidden_grid_dims
    .group_segment_fixed_size: 12672
    .kernarg_segment_align: 8
    .kernarg_segment_size: 272
    .language:       OpenCL C
    .language_version:
      - 2
      - 0
    .max_flat_workgroup_size: 192
    .name:           _Z17sort_pairs_kernelI22helper_blocked_stripedxLj192ELj8ELj10EEvPKT0_PS1_
    .private_segment_fixed_size: 0
    .sgpr_count:     28
    .sgpr_spill_count: 0
    .symbol:         _Z17sort_pairs_kernelI22helper_blocked_stripedxLj192ELj8ELj10EEvPKT0_PS1_.kd
    .uniform_work_group_size: 1
    .uses_dynamic_stack: false
    .vgpr_count:     90
    .vgpr_spill_count: 0
    .wavefront_size: 32
    .workgroup_processor_mode: 1
  - .args:
      - .address_space:  global
        .offset:         0
        .size:           8
        .value_kind:     global_buffer
      - .address_space:  global
        .offset:         8
        .size:           8
        .value_kind:     global_buffer
      - .offset:         16
        .size:           4
        .value_kind:     hidden_block_count_x
      - .offset:         20
        .size:           4
        .value_kind:     hidden_block_count_y
      - .offset:         24
        .size:           4
        .value_kind:     hidden_block_count_z
      - .offset:         28
        .size:           2
        .value_kind:     hidden_group_size_x
      - .offset:         30
        .size:           2
        .value_kind:     hidden_group_size_y
      - .offset:         32
        .size:           2
        .value_kind:     hidden_group_size_z
      - .offset:         34
        .size:           2
        .value_kind:     hidden_remainder_x
      - .offset:         36
        .size:           2
        .value_kind:     hidden_remainder_y
      - .offset:         38
        .size:           2
        .value_kind:     hidden_remainder_z
      - .offset:         56
        .size:           8
        .value_kind:     hidden_global_offset_x
      - .offset:         64
        .size:           8
        .value_kind:     hidden_global_offset_y
      - .offset:         72
        .size:           8
        .value_kind:     hidden_global_offset_z
      - .offset:         80
        .size:           2
        .value_kind:     hidden_grid_dims
    .group_segment_fixed_size: 8224
    .kernarg_segment_align: 8
    .kernarg_segment_size: 272
    .language:       OpenCL C
    .language_version:
      - 2
      - 0
    .max_flat_workgroup_size: 256
    .name:           _Z16sort_keys_kernelI22helper_blocked_stripedxLj256ELj1ELj10EEvPKT0_PS1_
    .private_segment_fixed_size: 0
    .sgpr_count:     24
    .sgpr_spill_count: 0
    .symbol:         _Z16sort_keys_kernelI22helper_blocked_stripedxLj256ELj1ELj10EEvPKT0_PS1_.kd
    .uniform_work_group_size: 1
    .uses_dynamic_stack: false
    .vgpr_count:     28
    .vgpr_spill_count: 0
    .wavefront_size: 32
    .workgroup_processor_mode: 1
  - .args:
      - .address_space:  global
        .offset:         0
        .size:           8
        .value_kind:     global_buffer
      - .address_space:  global
        .offset:         8
        .size:           8
        .value_kind:     global_buffer
      - .offset:         16
        .size:           4
        .value_kind:     hidden_block_count_x
      - .offset:         20
        .size:           4
        .value_kind:     hidden_block_count_y
      - .offset:         24
        .size:           4
        .value_kind:     hidden_block_count_z
      - .offset:         28
        .size:           2
        .value_kind:     hidden_group_size_x
      - .offset:         30
        .size:           2
        .value_kind:     hidden_group_size_y
      - .offset:         32
        .size:           2
        .value_kind:     hidden_group_size_z
      - .offset:         34
        .size:           2
        .value_kind:     hidden_remainder_x
      - .offset:         36
        .size:           2
        .value_kind:     hidden_remainder_y
      - .offset:         38
        .size:           2
        .value_kind:     hidden_remainder_z
      - .offset:         56
        .size:           8
        .value_kind:     hidden_global_offset_x
      - .offset:         64
        .size:           8
        .value_kind:     hidden_global_offset_y
      - .offset:         72
        .size:           8
        .value_kind:     hidden_global_offset_z
      - .offset:         80
        .size:           2
        .value_kind:     hidden_grid_dims
    .group_segment_fixed_size: 8224
    .kernarg_segment_align: 8
    .kernarg_segment_size: 272
    .language:       OpenCL C
    .language_version:
      - 2
      - 0
    .max_flat_workgroup_size: 256
    .name:           _Z17sort_pairs_kernelI22helper_blocked_stripedxLj256ELj1ELj10EEvPKT0_PS1_
    .private_segment_fixed_size: 0
    .sgpr_count:     24
    .sgpr_spill_count: 0
    .symbol:         _Z17sort_pairs_kernelI22helper_blocked_stripedxLj256ELj1ELj10EEvPKT0_PS1_.kd
    .uniform_work_group_size: 1
    .uses_dynamic_stack: false
    .vgpr_count:     30
    .vgpr_spill_count: 0
    .wavefront_size: 32
    .workgroup_processor_mode: 1
  - .args:
      - .address_space:  global
        .offset:         0
        .size:           8
        .value_kind:     global_buffer
      - .address_space:  global
        .offset:         8
        .size:           8
        .value_kind:     global_buffer
      - .offset:         16
        .size:           4
        .value_kind:     hidden_block_count_x
      - .offset:         20
        .size:           4
        .value_kind:     hidden_block_count_y
      - .offset:         24
        .size:           4
        .value_kind:     hidden_block_count_z
      - .offset:         28
        .size:           2
        .value_kind:     hidden_group_size_x
      - .offset:         30
        .size:           2
        .value_kind:     hidden_group_size_y
      - .offset:         32
        .size:           2
        .value_kind:     hidden_group_size_z
      - .offset:         34
        .size:           2
        .value_kind:     hidden_remainder_x
      - .offset:         36
        .size:           2
        .value_kind:     hidden_remainder_y
      - .offset:         38
        .size:           2
        .value_kind:     hidden_remainder_z
      - .offset:         56
        .size:           8
        .value_kind:     hidden_global_offset_x
      - .offset:         64
        .size:           8
        .value_kind:     hidden_global_offset_y
      - .offset:         72
        .size:           8
        .value_kind:     hidden_global_offset_z
      - .offset:         80
        .size:           2
        .value_kind:     hidden_grid_dims
    .group_segment_fixed_size: 8224
    .kernarg_segment_align: 8
    .kernarg_segment_size: 272
    .language:       OpenCL C
    .language_version:
      - 2
      - 0
    .max_flat_workgroup_size: 256
    .name:           _Z16sort_keys_kernelI22helper_blocked_stripedxLj256ELj3ELj10EEvPKT0_PS1_
    .private_segment_fixed_size: 0
    .sgpr_count:     24
    .sgpr_spill_count: 0
    .symbol:         _Z16sort_keys_kernelI22helper_blocked_stripedxLj256ELj3ELj10EEvPKT0_PS1_.kd
    .uniform_work_group_size: 1
    .uses_dynamic_stack: false
    .vgpr_count:     40
    .vgpr_spill_count: 0
    .wavefront_size: 32
    .workgroup_processor_mode: 1
  - .args:
      - .address_space:  global
        .offset:         0
        .size:           8
        .value_kind:     global_buffer
      - .address_space:  global
        .offset:         8
        .size:           8
        .value_kind:     global_buffer
      - .offset:         16
        .size:           4
        .value_kind:     hidden_block_count_x
      - .offset:         20
        .size:           4
        .value_kind:     hidden_block_count_y
      - .offset:         24
        .size:           4
        .value_kind:     hidden_block_count_z
      - .offset:         28
        .size:           2
        .value_kind:     hidden_group_size_x
      - .offset:         30
        .size:           2
        .value_kind:     hidden_group_size_y
      - .offset:         32
        .size:           2
        .value_kind:     hidden_group_size_z
      - .offset:         34
        .size:           2
        .value_kind:     hidden_remainder_x
      - .offset:         36
        .size:           2
        .value_kind:     hidden_remainder_y
      - .offset:         38
        .size:           2
        .value_kind:     hidden_remainder_z
      - .offset:         56
        .size:           8
        .value_kind:     hidden_global_offset_x
      - .offset:         64
        .size:           8
        .value_kind:     hidden_global_offset_y
      - .offset:         72
        .size:           8
        .value_kind:     hidden_global_offset_z
      - .offset:         80
        .size:           2
        .value_kind:     hidden_grid_dims
    .group_segment_fixed_size: 8224
    .kernarg_segment_align: 8
    .kernarg_segment_size: 272
    .language:       OpenCL C
    .language_version:
      - 2
      - 0
    .max_flat_workgroup_size: 256
    .name:           _Z17sort_pairs_kernelI22helper_blocked_stripedxLj256ELj3ELj10EEvPKT0_PS1_
    .private_segment_fixed_size: 0
    .sgpr_count:     24
    .sgpr_spill_count: 0
    .symbol:         _Z17sort_pairs_kernelI22helper_blocked_stripedxLj256ELj3ELj10EEvPKT0_PS1_.kd
    .uniform_work_group_size: 1
    .uses_dynamic_stack: false
    .vgpr_count:     46
    .vgpr_spill_count: 0
    .wavefront_size: 32
    .workgroup_processor_mode: 1
  - .args:
      - .address_space:  global
        .offset:         0
        .size:           8
        .value_kind:     global_buffer
      - .address_space:  global
        .offset:         8
        .size:           8
        .value_kind:     global_buffer
      - .offset:         16
        .size:           4
        .value_kind:     hidden_block_count_x
      - .offset:         20
        .size:           4
        .value_kind:     hidden_block_count_y
      - .offset:         24
        .size:           4
        .value_kind:     hidden_block_count_z
      - .offset:         28
        .size:           2
        .value_kind:     hidden_group_size_x
      - .offset:         30
        .size:           2
        .value_kind:     hidden_group_size_y
      - .offset:         32
        .size:           2
        .value_kind:     hidden_group_size_z
      - .offset:         34
        .size:           2
        .value_kind:     hidden_remainder_x
      - .offset:         36
        .size:           2
        .value_kind:     hidden_remainder_y
      - .offset:         38
        .size:           2
        .value_kind:     hidden_remainder_z
      - .offset:         56
        .size:           8
        .value_kind:     hidden_global_offset_x
      - .offset:         64
        .size:           8
        .value_kind:     hidden_global_offset_y
      - .offset:         72
        .size:           8
        .value_kind:     hidden_global_offset_z
      - .offset:         80
        .size:           2
        .value_kind:     hidden_grid_dims
    .group_segment_fixed_size: 8224
    .kernarg_segment_align: 8
    .kernarg_segment_size: 272
    .language:       OpenCL C
    .language_version:
      - 2
      - 0
    .max_flat_workgroup_size: 256
    .name:           _Z16sort_keys_kernelI22helper_blocked_stripedxLj256ELj4ELj10EEvPKT0_PS1_
    .private_segment_fixed_size: 0
    .sgpr_count:     28
    .sgpr_spill_count: 0
    .symbol:         _Z16sort_keys_kernelI22helper_blocked_stripedxLj256ELj4ELj10EEvPKT0_PS1_.kd
    .uniform_work_group_size: 1
    .uses_dynamic_stack: false
    .vgpr_count:     49
    .vgpr_spill_count: 0
    .wavefront_size: 32
    .workgroup_processor_mode: 1
  - .args:
      - .address_space:  global
        .offset:         0
        .size:           8
        .value_kind:     global_buffer
      - .address_space:  global
        .offset:         8
        .size:           8
        .value_kind:     global_buffer
      - .offset:         16
        .size:           4
        .value_kind:     hidden_block_count_x
      - .offset:         20
        .size:           4
        .value_kind:     hidden_block_count_y
      - .offset:         24
        .size:           4
        .value_kind:     hidden_block_count_z
      - .offset:         28
        .size:           2
        .value_kind:     hidden_group_size_x
      - .offset:         30
        .size:           2
        .value_kind:     hidden_group_size_y
      - .offset:         32
        .size:           2
        .value_kind:     hidden_group_size_z
      - .offset:         34
        .size:           2
        .value_kind:     hidden_remainder_x
      - .offset:         36
        .size:           2
        .value_kind:     hidden_remainder_y
      - .offset:         38
        .size:           2
        .value_kind:     hidden_remainder_z
      - .offset:         56
        .size:           8
        .value_kind:     hidden_global_offset_x
      - .offset:         64
        .size:           8
        .value_kind:     hidden_global_offset_y
      - .offset:         72
        .size:           8
        .value_kind:     hidden_global_offset_z
      - .offset:         80
        .size:           2
        .value_kind:     hidden_grid_dims
    .group_segment_fixed_size: 8224
    .kernarg_segment_align: 8
    .kernarg_segment_size: 272
    .language:       OpenCL C
    .language_version:
      - 2
      - 0
    .max_flat_workgroup_size: 256
    .name:           _Z17sort_pairs_kernelI22helper_blocked_stripedxLj256ELj4ELj10EEvPKT0_PS1_
    .private_segment_fixed_size: 0
    .sgpr_count:     31
    .sgpr_spill_count: 0
    .symbol:         _Z17sort_pairs_kernelI22helper_blocked_stripedxLj256ELj4ELj10EEvPKT0_PS1_.kd
    .uniform_work_group_size: 1
    .uses_dynamic_stack: false
    .vgpr_count:     53
    .vgpr_spill_count: 0
    .wavefront_size: 32
    .workgroup_processor_mode: 1
  - .args:
      - .address_space:  global
        .offset:         0
        .size:           8
        .value_kind:     global_buffer
      - .address_space:  global
        .offset:         8
        .size:           8
        .value_kind:     global_buffer
      - .offset:         16
        .size:           4
        .value_kind:     hidden_block_count_x
      - .offset:         20
        .size:           4
        .value_kind:     hidden_block_count_y
      - .offset:         24
        .size:           4
        .value_kind:     hidden_block_count_z
      - .offset:         28
        .size:           2
        .value_kind:     hidden_group_size_x
      - .offset:         30
        .size:           2
        .value_kind:     hidden_group_size_y
      - .offset:         32
        .size:           2
        .value_kind:     hidden_group_size_z
      - .offset:         34
        .size:           2
        .value_kind:     hidden_remainder_x
      - .offset:         36
        .size:           2
        .value_kind:     hidden_remainder_y
      - .offset:         38
        .size:           2
        .value_kind:     hidden_remainder_z
      - .offset:         56
        .size:           8
        .value_kind:     hidden_global_offset_x
      - .offset:         64
        .size:           8
        .value_kind:     hidden_global_offset_y
      - .offset:         72
        .size:           8
        .value_kind:     hidden_global_offset_z
      - .offset:         80
        .size:           2
        .value_kind:     hidden_grid_dims
    .group_segment_fixed_size: 16384
    .kernarg_segment_align: 8
    .kernarg_segment_size: 272
    .language:       OpenCL C
    .language_version:
      - 2
      - 0
    .max_flat_workgroup_size: 256
    .name:           _Z16sort_keys_kernelI22helper_blocked_stripedxLj256ELj8ELj10EEvPKT0_PS1_
    .private_segment_fixed_size: 0
    .sgpr_count:     28
    .sgpr_spill_count: 0
    .symbol:         _Z16sort_keys_kernelI22helper_blocked_stripedxLj256ELj8ELj10EEvPKT0_PS1_.kd
    .uniform_work_group_size: 1
    .uses_dynamic_stack: false
    .vgpr_count:     60
    .vgpr_spill_count: 0
    .wavefront_size: 32
    .workgroup_processor_mode: 1
  - .args:
      - .address_space:  global
        .offset:         0
        .size:           8
        .value_kind:     global_buffer
      - .address_space:  global
        .offset:         8
        .size:           8
        .value_kind:     global_buffer
      - .offset:         16
        .size:           4
        .value_kind:     hidden_block_count_x
      - .offset:         20
        .size:           4
        .value_kind:     hidden_block_count_y
      - .offset:         24
        .size:           4
        .value_kind:     hidden_block_count_z
      - .offset:         28
        .size:           2
        .value_kind:     hidden_group_size_x
      - .offset:         30
        .size:           2
        .value_kind:     hidden_group_size_y
      - .offset:         32
        .size:           2
        .value_kind:     hidden_group_size_z
      - .offset:         34
        .size:           2
        .value_kind:     hidden_remainder_x
      - .offset:         36
        .size:           2
        .value_kind:     hidden_remainder_y
      - .offset:         38
        .size:           2
        .value_kind:     hidden_remainder_z
      - .offset:         56
        .size:           8
        .value_kind:     hidden_global_offset_x
      - .offset:         64
        .size:           8
        .value_kind:     hidden_global_offset_y
      - .offset:         72
        .size:           8
        .value_kind:     hidden_global_offset_z
      - .offset:         80
        .size:           2
        .value_kind:     hidden_grid_dims
    .group_segment_fixed_size: 16384
    .kernarg_segment_align: 8
    .kernarg_segment_size: 272
    .language:       OpenCL C
    .language_version:
      - 2
      - 0
    .max_flat_workgroup_size: 256
    .name:           _Z17sort_pairs_kernelI22helper_blocked_stripedxLj256ELj8ELj10EEvPKT0_PS1_
    .private_segment_fixed_size: 0
    .sgpr_count:     28
    .sgpr_spill_count: 0
    .symbol:         _Z17sort_pairs_kernelI22helper_blocked_stripedxLj256ELj8ELj10EEvPKT0_PS1_.kd
    .uniform_work_group_size: 1
    .uses_dynamic_stack: false
    .vgpr_count:     83
    .vgpr_spill_count: 0
    .wavefront_size: 32
    .workgroup_processor_mode: 1
  - .args:
      - .address_space:  global
        .offset:         0
        .size:           8
        .value_kind:     global_buffer
      - .address_space:  global
        .offset:         8
        .size:           8
        .value_kind:     global_buffer
      - .offset:         16
        .size:           4
        .value_kind:     hidden_block_count_x
      - .offset:         20
        .size:           4
        .value_kind:     hidden_block_count_y
      - .offset:         24
        .size:           4
        .value_kind:     hidden_block_count_z
      - .offset:         28
        .size:           2
        .value_kind:     hidden_group_size_x
      - .offset:         30
        .size:           2
        .value_kind:     hidden_group_size_y
      - .offset:         32
        .size:           2
        .value_kind:     hidden_group_size_z
      - .offset:         34
        .size:           2
        .value_kind:     hidden_remainder_x
      - .offset:         36
        .size:           2
        .value_kind:     hidden_remainder_y
      - .offset:         38
        .size:           2
        .value_kind:     hidden_remainder_z
      - .offset:         56
        .size:           8
        .value_kind:     hidden_global_offset_x
      - .offset:         64
        .size:           8
        .value_kind:     hidden_global_offset_y
      - .offset:         72
        .size:           8
        .value_kind:     hidden_global_offset_z
      - .offset:         80
        .size:           2
        .value_kind:     hidden_grid_dims
    .group_segment_fixed_size: 10288
    .kernarg_segment_align: 8
    .kernarg_segment_size: 272
    .language:       OpenCL C
    .language_version:
      - 2
      - 0
    .max_flat_workgroup_size: 320
    .name:           _Z16sort_keys_kernelI22helper_blocked_stripedxLj320ELj1ELj10EEvPKT0_PS1_
    .private_segment_fixed_size: 0
    .sgpr_count:     22
    .sgpr_spill_count: 0
    .symbol:         _Z16sort_keys_kernelI22helper_blocked_stripedxLj320ELj1ELj10EEvPKT0_PS1_.kd
    .uniform_work_group_size: 1
    .uses_dynamic_stack: false
    .vgpr_count:     28
    .vgpr_spill_count: 0
    .wavefront_size: 32
    .workgroup_processor_mode: 1
  - .args:
      - .address_space:  global
        .offset:         0
        .size:           8
        .value_kind:     global_buffer
      - .address_space:  global
        .offset:         8
        .size:           8
        .value_kind:     global_buffer
      - .offset:         16
        .size:           4
        .value_kind:     hidden_block_count_x
      - .offset:         20
        .size:           4
        .value_kind:     hidden_block_count_y
      - .offset:         24
        .size:           4
        .value_kind:     hidden_block_count_z
      - .offset:         28
        .size:           2
        .value_kind:     hidden_group_size_x
      - .offset:         30
        .size:           2
        .value_kind:     hidden_group_size_y
      - .offset:         32
        .size:           2
        .value_kind:     hidden_group_size_z
      - .offset:         34
        .size:           2
        .value_kind:     hidden_remainder_x
      - .offset:         36
        .size:           2
        .value_kind:     hidden_remainder_y
      - .offset:         38
        .size:           2
        .value_kind:     hidden_remainder_z
      - .offset:         56
        .size:           8
        .value_kind:     hidden_global_offset_x
      - .offset:         64
        .size:           8
        .value_kind:     hidden_global_offset_y
      - .offset:         72
        .size:           8
        .value_kind:     hidden_global_offset_z
      - .offset:         80
        .size:           2
        .value_kind:     hidden_grid_dims
    .group_segment_fixed_size: 10288
    .kernarg_segment_align: 8
    .kernarg_segment_size: 272
    .language:       OpenCL C
    .language_version:
      - 2
      - 0
    .max_flat_workgroup_size: 320
    .name:           _Z17sort_pairs_kernelI22helper_blocked_stripedxLj320ELj1ELj10EEvPKT0_PS1_
    .private_segment_fixed_size: 0
    .sgpr_count:     22
    .sgpr_spill_count: 0
    .symbol:         _Z17sort_pairs_kernelI22helper_blocked_stripedxLj320ELj1ELj10EEvPKT0_PS1_.kd
    .uniform_work_group_size: 1
    .uses_dynamic_stack: false
    .vgpr_count:     30
    .vgpr_spill_count: 0
    .wavefront_size: 32
    .workgroup_processor_mode: 1
  - .args:
      - .address_space:  global
        .offset:         0
        .size:           8
        .value_kind:     global_buffer
      - .address_space:  global
        .offset:         8
        .size:           8
        .value_kind:     global_buffer
      - .offset:         16
        .size:           4
        .value_kind:     hidden_block_count_x
      - .offset:         20
        .size:           4
        .value_kind:     hidden_block_count_y
      - .offset:         24
        .size:           4
        .value_kind:     hidden_block_count_z
      - .offset:         28
        .size:           2
        .value_kind:     hidden_group_size_x
      - .offset:         30
        .size:           2
        .value_kind:     hidden_group_size_y
      - .offset:         32
        .size:           2
        .value_kind:     hidden_group_size_z
      - .offset:         34
        .size:           2
        .value_kind:     hidden_remainder_x
      - .offset:         36
        .size:           2
        .value_kind:     hidden_remainder_y
      - .offset:         38
        .size:           2
        .value_kind:     hidden_remainder_z
      - .offset:         56
        .size:           8
        .value_kind:     hidden_global_offset_x
      - .offset:         64
        .size:           8
        .value_kind:     hidden_global_offset_y
      - .offset:         72
        .size:           8
        .value_kind:     hidden_global_offset_z
      - .offset:         80
        .size:           2
        .value_kind:     hidden_grid_dims
    .group_segment_fixed_size: 10288
    .kernarg_segment_align: 8
    .kernarg_segment_size: 272
    .language:       OpenCL C
    .language_version:
      - 2
      - 0
    .max_flat_workgroup_size: 320
    .name:           _Z16sort_keys_kernelI22helper_blocked_stripedxLj320ELj3ELj10EEvPKT0_PS1_
    .private_segment_fixed_size: 0
    .sgpr_count:     22
    .sgpr_spill_count: 0
    .symbol:         _Z16sort_keys_kernelI22helper_blocked_stripedxLj320ELj3ELj10EEvPKT0_PS1_.kd
    .uniform_work_group_size: 1
    .uses_dynamic_stack: false
    .vgpr_count:     40
    .vgpr_spill_count: 0
    .wavefront_size: 32
    .workgroup_processor_mode: 1
  - .args:
      - .address_space:  global
        .offset:         0
        .size:           8
        .value_kind:     global_buffer
      - .address_space:  global
        .offset:         8
        .size:           8
        .value_kind:     global_buffer
      - .offset:         16
        .size:           4
        .value_kind:     hidden_block_count_x
      - .offset:         20
        .size:           4
        .value_kind:     hidden_block_count_y
      - .offset:         24
        .size:           4
        .value_kind:     hidden_block_count_z
      - .offset:         28
        .size:           2
        .value_kind:     hidden_group_size_x
      - .offset:         30
        .size:           2
        .value_kind:     hidden_group_size_y
      - .offset:         32
        .size:           2
        .value_kind:     hidden_group_size_z
      - .offset:         34
        .size:           2
        .value_kind:     hidden_remainder_x
      - .offset:         36
        .size:           2
        .value_kind:     hidden_remainder_y
      - .offset:         38
        .size:           2
        .value_kind:     hidden_remainder_z
      - .offset:         56
        .size:           8
        .value_kind:     hidden_global_offset_x
      - .offset:         64
        .size:           8
        .value_kind:     hidden_global_offset_y
      - .offset:         72
        .size:           8
        .value_kind:     hidden_global_offset_z
      - .offset:         80
        .size:           2
        .value_kind:     hidden_grid_dims
    .group_segment_fixed_size: 10288
    .kernarg_segment_align: 8
    .kernarg_segment_size: 272
    .language:       OpenCL C
    .language_version:
      - 2
      - 0
    .max_flat_workgroup_size: 320
    .name:           _Z17sort_pairs_kernelI22helper_blocked_stripedxLj320ELj3ELj10EEvPKT0_PS1_
    .private_segment_fixed_size: 0
    .sgpr_count:     22
    .sgpr_spill_count: 0
    .symbol:         _Z17sort_pairs_kernelI22helper_blocked_stripedxLj320ELj3ELj10EEvPKT0_PS1_.kd
    .uniform_work_group_size: 1
    .uses_dynamic_stack: false
    .vgpr_count:     46
    .vgpr_spill_count: 0
    .wavefront_size: 32
    .workgroup_processor_mode: 1
  - .args:
      - .address_space:  global
        .offset:         0
        .size:           8
        .value_kind:     global_buffer
      - .address_space:  global
        .offset:         8
        .size:           8
        .value_kind:     global_buffer
      - .offset:         16
        .size:           4
        .value_kind:     hidden_block_count_x
      - .offset:         20
        .size:           4
        .value_kind:     hidden_block_count_y
      - .offset:         24
        .size:           4
        .value_kind:     hidden_block_count_z
      - .offset:         28
        .size:           2
        .value_kind:     hidden_group_size_x
      - .offset:         30
        .size:           2
        .value_kind:     hidden_group_size_y
      - .offset:         32
        .size:           2
        .value_kind:     hidden_group_size_z
      - .offset:         34
        .size:           2
        .value_kind:     hidden_remainder_x
      - .offset:         36
        .size:           2
        .value_kind:     hidden_remainder_y
      - .offset:         38
        .size:           2
        .value_kind:     hidden_remainder_z
      - .offset:         56
        .size:           8
        .value_kind:     hidden_global_offset_x
      - .offset:         64
        .size:           8
        .value_kind:     hidden_global_offset_y
      - .offset:         72
        .size:           8
        .value_kind:     hidden_global_offset_z
      - .offset:         80
        .size:           2
        .value_kind:     hidden_grid_dims
    .group_segment_fixed_size: 10560
    .kernarg_segment_align: 8
    .kernarg_segment_size: 272
    .language:       OpenCL C
    .language_version:
      - 2
      - 0
    .max_flat_workgroup_size: 320
    .name:           _Z16sort_keys_kernelI22helper_blocked_stripedxLj320ELj4ELj10EEvPKT0_PS1_
    .private_segment_fixed_size: 0
    .sgpr_count:     24
    .sgpr_spill_count: 0
    .symbol:         _Z16sort_keys_kernelI22helper_blocked_stripedxLj320ELj4ELj10EEvPKT0_PS1_.kd
    .uniform_work_group_size: 1
    .uses_dynamic_stack: false
    .vgpr_count:     50
    .vgpr_spill_count: 0
    .wavefront_size: 32
    .workgroup_processor_mode: 1
  - .args:
      - .address_space:  global
        .offset:         0
        .size:           8
        .value_kind:     global_buffer
      - .address_space:  global
        .offset:         8
        .size:           8
        .value_kind:     global_buffer
      - .offset:         16
        .size:           4
        .value_kind:     hidden_block_count_x
      - .offset:         20
        .size:           4
        .value_kind:     hidden_block_count_y
      - .offset:         24
        .size:           4
        .value_kind:     hidden_block_count_z
      - .offset:         28
        .size:           2
        .value_kind:     hidden_group_size_x
      - .offset:         30
        .size:           2
        .value_kind:     hidden_group_size_y
      - .offset:         32
        .size:           2
        .value_kind:     hidden_group_size_z
      - .offset:         34
        .size:           2
        .value_kind:     hidden_remainder_x
      - .offset:         36
        .size:           2
        .value_kind:     hidden_remainder_y
      - .offset:         38
        .size:           2
        .value_kind:     hidden_remainder_z
      - .offset:         56
        .size:           8
        .value_kind:     hidden_global_offset_x
      - .offset:         64
        .size:           8
        .value_kind:     hidden_global_offset_y
      - .offset:         72
        .size:           8
        .value_kind:     hidden_global_offset_z
      - .offset:         80
        .size:           2
        .value_kind:     hidden_grid_dims
    .group_segment_fixed_size: 10560
    .kernarg_segment_align: 8
    .kernarg_segment_size: 272
    .language:       OpenCL C
    .language_version:
      - 2
      - 0
    .max_flat_workgroup_size: 320
    .name:           _Z17sort_pairs_kernelI22helper_blocked_stripedxLj320ELj4ELj10EEvPKT0_PS1_
    .private_segment_fixed_size: 0
    .sgpr_count:     28
    .sgpr_spill_count: 0
    .symbol:         _Z17sort_pairs_kernelI22helper_blocked_stripedxLj320ELj4ELj10EEvPKT0_PS1_.kd
    .uniform_work_group_size: 1
    .uses_dynamic_stack: false
    .vgpr_count:     56
    .vgpr_spill_count: 0
    .wavefront_size: 32
    .workgroup_processor_mode: 1
  - .args:
      - .address_space:  global
        .offset:         0
        .size:           8
        .value_kind:     global_buffer
      - .address_space:  global
        .offset:         8
        .size:           8
        .value_kind:     global_buffer
      - .offset:         16
        .size:           4
        .value_kind:     hidden_block_count_x
      - .offset:         20
        .size:           4
        .value_kind:     hidden_block_count_y
      - .offset:         24
        .size:           4
        .value_kind:     hidden_block_count_z
      - .offset:         28
        .size:           2
        .value_kind:     hidden_group_size_x
      - .offset:         30
        .size:           2
        .value_kind:     hidden_group_size_y
      - .offset:         32
        .size:           2
        .value_kind:     hidden_group_size_z
      - .offset:         34
        .size:           2
        .value_kind:     hidden_remainder_x
      - .offset:         36
        .size:           2
        .value_kind:     hidden_remainder_y
      - .offset:         38
        .size:           2
        .value_kind:     hidden_remainder_z
      - .offset:         56
        .size:           8
        .value_kind:     hidden_global_offset_x
      - .offset:         64
        .size:           8
        .value_kind:     hidden_global_offset_y
      - .offset:         72
        .size:           8
        .value_kind:     hidden_global_offset_z
      - .offset:         80
        .size:           2
        .value_kind:     hidden_grid_dims
    .group_segment_fixed_size: 21120
    .kernarg_segment_align: 8
    .kernarg_segment_size: 272
    .language:       OpenCL C
    .language_version:
      - 2
      - 0
    .max_flat_workgroup_size: 320
    .name:           _Z16sort_keys_kernelI22helper_blocked_stripedxLj320ELj8ELj10EEvPKT0_PS1_
    .private_segment_fixed_size: 0
    .sgpr_count:     25
    .sgpr_spill_count: 0
    .symbol:         _Z16sort_keys_kernelI22helper_blocked_stripedxLj320ELj8ELj10EEvPKT0_PS1_.kd
    .uniform_work_group_size: 1
    .uses_dynamic_stack: false
    .vgpr_count:     67
    .vgpr_spill_count: 0
    .wavefront_size: 32
    .workgroup_processor_mode: 1
  - .args:
      - .address_space:  global
        .offset:         0
        .size:           8
        .value_kind:     global_buffer
      - .address_space:  global
        .offset:         8
        .size:           8
        .value_kind:     global_buffer
      - .offset:         16
        .size:           4
        .value_kind:     hidden_block_count_x
      - .offset:         20
        .size:           4
        .value_kind:     hidden_block_count_y
      - .offset:         24
        .size:           4
        .value_kind:     hidden_block_count_z
      - .offset:         28
        .size:           2
        .value_kind:     hidden_group_size_x
      - .offset:         30
        .size:           2
        .value_kind:     hidden_group_size_y
      - .offset:         32
        .size:           2
        .value_kind:     hidden_group_size_z
      - .offset:         34
        .size:           2
        .value_kind:     hidden_remainder_x
      - .offset:         36
        .size:           2
        .value_kind:     hidden_remainder_y
      - .offset:         38
        .size:           2
        .value_kind:     hidden_remainder_z
      - .offset:         56
        .size:           8
        .value_kind:     hidden_global_offset_x
      - .offset:         64
        .size:           8
        .value_kind:     hidden_global_offset_y
      - .offset:         72
        .size:           8
        .value_kind:     hidden_global_offset_z
      - .offset:         80
        .size:           2
        .value_kind:     hidden_grid_dims
    .group_segment_fixed_size: 21120
    .kernarg_segment_align: 8
    .kernarg_segment_size: 272
    .language:       OpenCL C
    .language_version:
      - 2
      - 0
    .max_flat_workgroup_size: 320
    .name:           _Z17sort_pairs_kernelI22helper_blocked_stripedxLj320ELj8ELj10EEvPKT0_PS1_
    .private_segment_fixed_size: 0
    .sgpr_count:     25
    .sgpr_spill_count: 0
    .symbol:         _Z17sort_pairs_kernelI22helper_blocked_stripedxLj320ELj8ELj10EEvPKT0_PS1_.kd
    .uniform_work_group_size: 1
    .uses_dynamic_stack: false
    .vgpr_count:     90
    .vgpr_spill_count: 0
    .wavefront_size: 32
    .workgroup_processor_mode: 1
  - .args:
      - .address_space:  global
        .offset:         0
        .size:           8
        .value_kind:     global_buffer
      - .address_space:  global
        .offset:         8
        .size:           8
        .value_kind:     global_buffer
      - .offset:         16
        .size:           4
        .value_kind:     hidden_block_count_x
      - .offset:         20
        .size:           4
        .value_kind:     hidden_block_count_y
      - .offset:         24
        .size:           4
        .value_kind:     hidden_block_count_z
      - .offset:         28
        .size:           2
        .value_kind:     hidden_group_size_x
      - .offset:         30
        .size:           2
        .value_kind:     hidden_group_size_y
      - .offset:         32
        .size:           2
        .value_kind:     hidden_group_size_z
      - .offset:         34
        .size:           2
        .value_kind:     hidden_remainder_x
      - .offset:         36
        .size:           2
        .value_kind:     hidden_remainder_y
      - .offset:         38
        .size:           2
        .value_kind:     hidden_remainder_z
      - .offset:         56
        .size:           8
        .value_kind:     hidden_global_offset_x
      - .offset:         64
        .size:           8
        .value_kind:     hidden_global_offset_y
      - .offset:         72
        .size:           8
        .value_kind:     hidden_global_offset_z
      - .offset:         80
        .size:           2
        .value_kind:     hidden_grid_dims
    .group_segment_fixed_size: 16448
    .kernarg_segment_align: 8
    .kernarg_segment_size: 272
    .language:       OpenCL C
    .language_version:
      - 2
      - 0
    .max_flat_workgroup_size: 512
    .name:           _Z16sort_keys_kernelI22helper_blocked_stripedxLj512ELj1ELj10EEvPKT0_PS1_
    .private_segment_fixed_size: 0
    .sgpr_count:     22
    .sgpr_spill_count: 0
    .symbol:         _Z16sort_keys_kernelI22helper_blocked_stripedxLj512ELj1ELj10EEvPKT0_PS1_.kd
    .uniform_work_group_size: 1
    .uses_dynamic_stack: false
    .vgpr_count:     28
    .vgpr_spill_count: 0
    .wavefront_size: 32
    .workgroup_processor_mode: 1
  - .args:
      - .address_space:  global
        .offset:         0
        .size:           8
        .value_kind:     global_buffer
      - .address_space:  global
        .offset:         8
        .size:           8
        .value_kind:     global_buffer
      - .offset:         16
        .size:           4
        .value_kind:     hidden_block_count_x
      - .offset:         20
        .size:           4
        .value_kind:     hidden_block_count_y
      - .offset:         24
        .size:           4
        .value_kind:     hidden_block_count_z
      - .offset:         28
        .size:           2
        .value_kind:     hidden_group_size_x
      - .offset:         30
        .size:           2
        .value_kind:     hidden_group_size_y
      - .offset:         32
        .size:           2
        .value_kind:     hidden_group_size_z
      - .offset:         34
        .size:           2
        .value_kind:     hidden_remainder_x
      - .offset:         36
        .size:           2
        .value_kind:     hidden_remainder_y
      - .offset:         38
        .size:           2
        .value_kind:     hidden_remainder_z
      - .offset:         56
        .size:           8
        .value_kind:     hidden_global_offset_x
      - .offset:         64
        .size:           8
        .value_kind:     hidden_global_offset_y
      - .offset:         72
        .size:           8
        .value_kind:     hidden_global_offset_z
      - .offset:         80
        .size:           2
        .value_kind:     hidden_grid_dims
    .group_segment_fixed_size: 16448
    .kernarg_segment_align: 8
    .kernarg_segment_size: 272
    .language:       OpenCL C
    .language_version:
      - 2
      - 0
    .max_flat_workgroup_size: 512
    .name:           _Z17sort_pairs_kernelI22helper_blocked_stripedxLj512ELj1ELj10EEvPKT0_PS1_
    .private_segment_fixed_size: 0
    .sgpr_count:     22
    .sgpr_spill_count: 0
    .symbol:         _Z17sort_pairs_kernelI22helper_blocked_stripedxLj512ELj1ELj10EEvPKT0_PS1_.kd
    .uniform_work_group_size: 1
    .uses_dynamic_stack: false
    .vgpr_count:     30
    .vgpr_spill_count: 0
    .wavefront_size: 32
    .workgroup_processor_mode: 1
  - .args:
      - .address_space:  global
        .offset:         0
        .size:           8
        .value_kind:     global_buffer
      - .address_space:  global
        .offset:         8
        .size:           8
        .value_kind:     global_buffer
      - .offset:         16
        .size:           4
        .value_kind:     hidden_block_count_x
      - .offset:         20
        .size:           4
        .value_kind:     hidden_block_count_y
      - .offset:         24
        .size:           4
        .value_kind:     hidden_block_count_z
      - .offset:         28
        .size:           2
        .value_kind:     hidden_group_size_x
      - .offset:         30
        .size:           2
        .value_kind:     hidden_group_size_y
      - .offset:         32
        .size:           2
        .value_kind:     hidden_group_size_z
      - .offset:         34
        .size:           2
        .value_kind:     hidden_remainder_x
      - .offset:         36
        .size:           2
        .value_kind:     hidden_remainder_y
      - .offset:         38
        .size:           2
        .value_kind:     hidden_remainder_z
      - .offset:         56
        .size:           8
        .value_kind:     hidden_global_offset_x
      - .offset:         64
        .size:           8
        .value_kind:     hidden_global_offset_y
      - .offset:         72
        .size:           8
        .value_kind:     hidden_global_offset_z
      - .offset:         80
        .size:           2
        .value_kind:     hidden_grid_dims
    .group_segment_fixed_size: 16448
    .kernarg_segment_align: 8
    .kernarg_segment_size: 272
    .language:       OpenCL C
    .language_version:
      - 2
      - 0
    .max_flat_workgroup_size: 512
    .name:           _Z16sort_keys_kernelI22helper_blocked_stripedxLj512ELj3ELj10EEvPKT0_PS1_
    .private_segment_fixed_size: 0
    .sgpr_count:     22
    .sgpr_spill_count: 0
    .symbol:         _Z16sort_keys_kernelI22helper_blocked_stripedxLj512ELj3ELj10EEvPKT0_PS1_.kd
    .uniform_work_group_size: 1
    .uses_dynamic_stack: false
    .vgpr_count:     40
    .vgpr_spill_count: 0
    .wavefront_size: 32
    .workgroup_processor_mode: 1
  - .args:
      - .address_space:  global
        .offset:         0
        .size:           8
        .value_kind:     global_buffer
      - .address_space:  global
        .offset:         8
        .size:           8
        .value_kind:     global_buffer
      - .offset:         16
        .size:           4
        .value_kind:     hidden_block_count_x
      - .offset:         20
        .size:           4
        .value_kind:     hidden_block_count_y
      - .offset:         24
        .size:           4
        .value_kind:     hidden_block_count_z
      - .offset:         28
        .size:           2
        .value_kind:     hidden_group_size_x
      - .offset:         30
        .size:           2
        .value_kind:     hidden_group_size_y
      - .offset:         32
        .size:           2
        .value_kind:     hidden_group_size_z
      - .offset:         34
        .size:           2
        .value_kind:     hidden_remainder_x
      - .offset:         36
        .size:           2
        .value_kind:     hidden_remainder_y
      - .offset:         38
        .size:           2
        .value_kind:     hidden_remainder_z
      - .offset:         56
        .size:           8
        .value_kind:     hidden_global_offset_x
      - .offset:         64
        .size:           8
        .value_kind:     hidden_global_offset_y
      - .offset:         72
        .size:           8
        .value_kind:     hidden_global_offset_z
      - .offset:         80
        .size:           2
        .value_kind:     hidden_grid_dims
    .group_segment_fixed_size: 16448
    .kernarg_segment_align: 8
    .kernarg_segment_size: 272
    .language:       OpenCL C
    .language_version:
      - 2
      - 0
    .max_flat_workgroup_size: 512
    .name:           _Z17sort_pairs_kernelI22helper_blocked_stripedxLj512ELj3ELj10EEvPKT0_PS1_
    .private_segment_fixed_size: 0
    .sgpr_count:     22
    .sgpr_spill_count: 0
    .symbol:         _Z17sort_pairs_kernelI22helper_blocked_stripedxLj512ELj3ELj10EEvPKT0_PS1_.kd
    .uniform_work_group_size: 1
    .uses_dynamic_stack: false
    .vgpr_count:     46
    .vgpr_spill_count: 0
    .wavefront_size: 32
    .workgroup_processor_mode: 1
  - .args:
      - .address_space:  global
        .offset:         0
        .size:           8
        .value_kind:     global_buffer
      - .address_space:  global
        .offset:         8
        .size:           8
        .value_kind:     global_buffer
      - .offset:         16
        .size:           4
        .value_kind:     hidden_block_count_x
      - .offset:         20
        .size:           4
        .value_kind:     hidden_block_count_y
      - .offset:         24
        .size:           4
        .value_kind:     hidden_block_count_z
      - .offset:         28
        .size:           2
        .value_kind:     hidden_group_size_x
      - .offset:         30
        .size:           2
        .value_kind:     hidden_group_size_y
      - .offset:         32
        .size:           2
        .value_kind:     hidden_group_size_z
      - .offset:         34
        .size:           2
        .value_kind:     hidden_remainder_x
      - .offset:         36
        .size:           2
        .value_kind:     hidden_remainder_y
      - .offset:         38
        .size:           2
        .value_kind:     hidden_remainder_z
      - .offset:         56
        .size:           8
        .value_kind:     hidden_global_offset_x
      - .offset:         64
        .size:           8
        .value_kind:     hidden_global_offset_y
      - .offset:         72
        .size:           8
        .value_kind:     hidden_global_offset_z
      - .offset:         80
        .size:           2
        .value_kind:     hidden_grid_dims
    .group_segment_fixed_size: 16448
    .kernarg_segment_align: 8
    .kernarg_segment_size: 272
    .language:       OpenCL C
    .language_version:
      - 2
      - 0
    .max_flat_workgroup_size: 512
    .name:           _Z16sort_keys_kernelI22helper_blocked_stripedxLj512ELj4ELj10EEvPKT0_PS1_
    .private_segment_fixed_size: 0
    .sgpr_count:     24
    .sgpr_spill_count: 0
    .symbol:         _Z16sort_keys_kernelI22helper_blocked_stripedxLj512ELj4ELj10EEvPKT0_PS1_.kd
    .uniform_work_group_size: 1
    .uses_dynamic_stack: false
    .vgpr_count:     49
    .vgpr_spill_count: 0
    .wavefront_size: 32
    .workgroup_processor_mode: 1
  - .args:
      - .address_space:  global
        .offset:         0
        .size:           8
        .value_kind:     global_buffer
      - .address_space:  global
        .offset:         8
        .size:           8
        .value_kind:     global_buffer
      - .offset:         16
        .size:           4
        .value_kind:     hidden_block_count_x
      - .offset:         20
        .size:           4
        .value_kind:     hidden_block_count_y
      - .offset:         24
        .size:           4
        .value_kind:     hidden_block_count_z
      - .offset:         28
        .size:           2
        .value_kind:     hidden_group_size_x
      - .offset:         30
        .size:           2
        .value_kind:     hidden_group_size_y
      - .offset:         32
        .size:           2
        .value_kind:     hidden_group_size_z
      - .offset:         34
        .size:           2
        .value_kind:     hidden_remainder_x
      - .offset:         36
        .size:           2
        .value_kind:     hidden_remainder_y
      - .offset:         38
        .size:           2
        .value_kind:     hidden_remainder_z
      - .offset:         56
        .size:           8
        .value_kind:     hidden_global_offset_x
      - .offset:         64
        .size:           8
        .value_kind:     hidden_global_offset_y
      - .offset:         72
        .size:           8
        .value_kind:     hidden_global_offset_z
      - .offset:         80
        .size:           2
        .value_kind:     hidden_grid_dims
    .group_segment_fixed_size: 16448
    .kernarg_segment_align: 8
    .kernarg_segment_size: 272
    .language:       OpenCL C
    .language_version:
      - 2
      - 0
    .max_flat_workgroup_size: 512
    .name:           _Z17sort_pairs_kernelI22helper_blocked_stripedxLj512ELj4ELj10EEvPKT0_PS1_
    .private_segment_fixed_size: 0
    .sgpr_count:     28
    .sgpr_spill_count: 0
    .symbol:         _Z17sort_pairs_kernelI22helper_blocked_stripedxLj512ELj4ELj10EEvPKT0_PS1_.kd
    .uniform_work_group_size: 1
    .uses_dynamic_stack: false
    .vgpr_count:     54
    .vgpr_spill_count: 0
    .wavefront_size: 32
    .workgroup_processor_mode: 1
  - .args:
      - .address_space:  global
        .offset:         0
        .size:           8
        .value_kind:     global_buffer
      - .address_space:  global
        .offset:         8
        .size:           8
        .value_kind:     global_buffer
      - .offset:         16
        .size:           4
        .value_kind:     hidden_block_count_x
      - .offset:         20
        .size:           4
        .value_kind:     hidden_block_count_y
      - .offset:         24
        .size:           4
        .value_kind:     hidden_block_count_z
      - .offset:         28
        .size:           2
        .value_kind:     hidden_group_size_x
      - .offset:         30
        .size:           2
        .value_kind:     hidden_group_size_y
      - .offset:         32
        .size:           2
        .value_kind:     hidden_group_size_z
      - .offset:         34
        .size:           2
        .value_kind:     hidden_remainder_x
      - .offset:         36
        .size:           2
        .value_kind:     hidden_remainder_y
      - .offset:         38
        .size:           2
        .value_kind:     hidden_remainder_z
      - .offset:         56
        .size:           8
        .value_kind:     hidden_global_offset_x
      - .offset:         64
        .size:           8
        .value_kind:     hidden_global_offset_y
      - .offset:         72
        .size:           8
        .value_kind:     hidden_global_offset_z
      - .offset:         80
        .size:           2
        .value_kind:     hidden_grid_dims
    .group_segment_fixed_size: 32768
    .kernarg_segment_align: 8
    .kernarg_segment_size: 272
    .language:       OpenCL C
    .language_version:
      - 2
      - 0
    .max_flat_workgroup_size: 512
    .name:           _Z16sort_keys_kernelI22helper_blocked_stripedxLj512ELj8ELj10EEvPKT0_PS1_
    .private_segment_fixed_size: 0
    .sgpr_count:     25
    .sgpr_spill_count: 0
    .symbol:         _Z16sort_keys_kernelI22helper_blocked_stripedxLj512ELj8ELj10EEvPKT0_PS1_.kd
    .uniform_work_group_size: 1
    .uses_dynamic_stack: false
    .vgpr_count:     60
    .vgpr_spill_count: 0
    .wavefront_size: 32
    .workgroup_processor_mode: 1
  - .args:
      - .address_space:  global
        .offset:         0
        .size:           8
        .value_kind:     global_buffer
      - .address_space:  global
        .offset:         8
        .size:           8
        .value_kind:     global_buffer
      - .offset:         16
        .size:           4
        .value_kind:     hidden_block_count_x
      - .offset:         20
        .size:           4
        .value_kind:     hidden_block_count_y
      - .offset:         24
        .size:           4
        .value_kind:     hidden_block_count_z
      - .offset:         28
        .size:           2
        .value_kind:     hidden_group_size_x
      - .offset:         30
        .size:           2
        .value_kind:     hidden_group_size_y
      - .offset:         32
        .size:           2
        .value_kind:     hidden_group_size_z
      - .offset:         34
        .size:           2
        .value_kind:     hidden_remainder_x
      - .offset:         36
        .size:           2
        .value_kind:     hidden_remainder_y
      - .offset:         38
        .size:           2
        .value_kind:     hidden_remainder_z
      - .offset:         56
        .size:           8
        .value_kind:     hidden_global_offset_x
      - .offset:         64
        .size:           8
        .value_kind:     hidden_global_offset_y
      - .offset:         72
        .size:           8
        .value_kind:     hidden_global_offset_z
      - .offset:         80
        .size:           2
        .value_kind:     hidden_grid_dims
    .group_segment_fixed_size: 32768
    .kernarg_segment_align: 8
    .kernarg_segment_size: 272
    .language:       OpenCL C
    .language_version:
      - 2
      - 0
    .max_flat_workgroup_size: 512
    .name:           _Z17sort_pairs_kernelI22helper_blocked_stripedxLj512ELj8ELj10EEvPKT0_PS1_
    .private_segment_fixed_size: 0
    .sgpr_count:     25
    .sgpr_spill_count: 0
    .symbol:         _Z17sort_pairs_kernelI22helper_blocked_stripedxLj512ELj8ELj10EEvPKT0_PS1_.kd
    .uniform_work_group_size: 1
    .uses_dynamic_stack: false
    .vgpr_count:     83
    .vgpr_spill_count: 0
    .wavefront_size: 32
    .workgroup_processor_mode: 1
  - .args:
      - .address_space:  global
        .offset:         0
        .size:           8
        .value_kind:     global_buffer
      - .address_space:  global
        .offset:         8
        .size:           8
        .value_kind:     global_buffer
      - .offset:         16
        .size:           4
        .value_kind:     hidden_block_count_x
      - .offset:         20
        .size:           4
        .value_kind:     hidden_block_count_y
      - .offset:         24
        .size:           4
        .value_kind:     hidden_block_count_z
      - .offset:         28
        .size:           2
        .value_kind:     hidden_group_size_x
      - .offset:         30
        .size:           2
        .value_kind:     hidden_group_size_y
      - .offset:         32
        .size:           2
        .value_kind:     hidden_group_size_z
      - .offset:         34
        .size:           2
        .value_kind:     hidden_remainder_x
      - .offset:         36
        .size:           2
        .value_kind:     hidden_remainder_y
      - .offset:         38
        .size:           2
        .value_kind:     hidden_remainder_z
      - .offset:         56
        .size:           8
        .value_kind:     hidden_global_offset_x
      - .offset:         64
        .size:           8
        .value_kind:     hidden_global_offset_y
      - .offset:         72
        .size:           8
        .value_kind:     hidden_global_offset_z
      - .offset:         80
        .size:           2
        .value_kind:     hidden_grid_dims
    .group_segment_fixed_size: 2064
    .kernarg_segment_align: 8
    .kernarg_segment_size: 272
    .language:       OpenCL C
    .language_version:
      - 2
      - 0
    .max_flat_workgroup_size: 64
    .name:           _Z16sort_keys_kernelI22helper_blocked_stripedN15benchmark_utils11custom_typeIiiEELj64ELj1ELj10EEvPKT0_PS4_
    .private_segment_fixed_size: 0
    .sgpr_count:     24
    .sgpr_spill_count: 0
    .symbol:         _Z16sort_keys_kernelI22helper_blocked_stripedN15benchmark_utils11custom_typeIiiEELj64ELj1ELj10EEvPKT0_PS4_.kd
    .uniform_work_group_size: 1
    .uses_dynamic_stack: false
    .vgpr_count:     28
    .vgpr_spill_count: 0
    .wavefront_size: 32
    .workgroup_processor_mode: 1
  - .args:
      - .address_space:  global
        .offset:         0
        .size:           8
        .value_kind:     global_buffer
      - .address_space:  global
        .offset:         8
        .size:           8
        .value_kind:     global_buffer
      - .offset:         16
        .size:           4
        .value_kind:     hidden_block_count_x
      - .offset:         20
        .size:           4
        .value_kind:     hidden_block_count_y
      - .offset:         24
        .size:           4
        .value_kind:     hidden_block_count_z
      - .offset:         28
        .size:           2
        .value_kind:     hidden_group_size_x
      - .offset:         30
        .size:           2
        .value_kind:     hidden_group_size_y
      - .offset:         32
        .size:           2
        .value_kind:     hidden_group_size_z
      - .offset:         34
        .size:           2
        .value_kind:     hidden_remainder_x
      - .offset:         36
        .size:           2
        .value_kind:     hidden_remainder_y
      - .offset:         38
        .size:           2
        .value_kind:     hidden_remainder_z
      - .offset:         56
        .size:           8
        .value_kind:     hidden_global_offset_x
      - .offset:         64
        .size:           8
        .value_kind:     hidden_global_offset_y
      - .offset:         72
        .size:           8
        .value_kind:     hidden_global_offset_z
      - .offset:         80
        .size:           2
        .value_kind:     hidden_grid_dims
    .group_segment_fixed_size: 2064
    .kernarg_segment_align: 8
    .kernarg_segment_size: 272
    .language:       OpenCL C
    .language_version:
      - 2
      - 0
    .max_flat_workgroup_size: 64
    .name:           _Z17sort_pairs_kernelI22helper_blocked_stripedN15benchmark_utils11custom_typeIiiEELj64ELj1ELj10EEvPKT0_PS4_
    .private_segment_fixed_size: 0
    .sgpr_count:     24
    .sgpr_spill_count: 0
    .symbol:         _Z17sort_pairs_kernelI22helper_blocked_stripedN15benchmark_utils11custom_typeIiiEELj64ELj1ELj10EEvPKT0_PS4_.kd
    .uniform_work_group_size: 1
    .uses_dynamic_stack: false
    .vgpr_count:     30
    .vgpr_spill_count: 0
    .wavefront_size: 32
    .workgroup_processor_mode: 1
  - .args:
      - .address_space:  global
        .offset:         0
        .size:           8
        .value_kind:     global_buffer
      - .address_space:  global
        .offset:         8
        .size:           8
        .value_kind:     global_buffer
      - .offset:         16
        .size:           4
        .value_kind:     hidden_block_count_x
      - .offset:         20
        .size:           4
        .value_kind:     hidden_block_count_y
      - .offset:         24
        .size:           4
        .value_kind:     hidden_block_count_z
      - .offset:         28
        .size:           2
        .value_kind:     hidden_group_size_x
      - .offset:         30
        .size:           2
        .value_kind:     hidden_group_size_y
      - .offset:         32
        .size:           2
        .value_kind:     hidden_group_size_z
      - .offset:         34
        .size:           2
        .value_kind:     hidden_remainder_x
      - .offset:         36
        .size:           2
        .value_kind:     hidden_remainder_y
      - .offset:         38
        .size:           2
        .value_kind:     hidden_remainder_z
      - .offset:         56
        .size:           8
        .value_kind:     hidden_global_offset_x
      - .offset:         64
        .size:           8
        .value_kind:     hidden_global_offset_y
      - .offset:         72
        .size:           8
        .value_kind:     hidden_global_offset_z
      - .offset:         80
        .size:           2
        .value_kind:     hidden_grid_dims
    .group_segment_fixed_size: 2064
    .kernarg_segment_align: 8
    .kernarg_segment_size: 272
    .language:       OpenCL C
    .language_version:
      - 2
      - 0
    .max_flat_workgroup_size: 64
    .name:           _Z16sort_keys_kernelI22helper_blocked_stripedN15benchmark_utils11custom_typeIiiEELj64ELj3ELj10EEvPKT0_PS4_
    .private_segment_fixed_size: 0
    .sgpr_count:     28
    .sgpr_spill_count: 0
    .symbol:         _Z16sort_keys_kernelI22helper_blocked_stripedN15benchmark_utils11custom_typeIiiEELj64ELj3ELj10EEvPKT0_PS4_.kd
    .uniform_work_group_size: 1
    .uses_dynamic_stack: false
    .vgpr_count:     40
    .vgpr_spill_count: 0
    .wavefront_size: 32
    .workgroup_processor_mode: 1
  - .args:
      - .address_space:  global
        .offset:         0
        .size:           8
        .value_kind:     global_buffer
      - .address_space:  global
        .offset:         8
        .size:           8
        .value_kind:     global_buffer
      - .offset:         16
        .size:           4
        .value_kind:     hidden_block_count_x
      - .offset:         20
        .size:           4
        .value_kind:     hidden_block_count_y
      - .offset:         24
        .size:           4
        .value_kind:     hidden_block_count_z
      - .offset:         28
        .size:           2
        .value_kind:     hidden_group_size_x
      - .offset:         30
        .size:           2
        .value_kind:     hidden_group_size_y
      - .offset:         32
        .size:           2
        .value_kind:     hidden_group_size_z
      - .offset:         34
        .size:           2
        .value_kind:     hidden_remainder_x
      - .offset:         36
        .size:           2
        .value_kind:     hidden_remainder_y
      - .offset:         38
        .size:           2
        .value_kind:     hidden_remainder_z
      - .offset:         56
        .size:           8
        .value_kind:     hidden_global_offset_x
      - .offset:         64
        .size:           8
        .value_kind:     hidden_global_offset_y
      - .offset:         72
        .size:           8
        .value_kind:     hidden_global_offset_z
      - .offset:         80
        .size:           2
        .value_kind:     hidden_grid_dims
    .group_segment_fixed_size: 2064
    .kernarg_segment_align: 8
    .kernarg_segment_size: 272
    .language:       OpenCL C
    .language_version:
      - 2
      - 0
    .max_flat_workgroup_size: 64
    .name:           _Z17sort_pairs_kernelI22helper_blocked_stripedN15benchmark_utils11custom_typeIiiEELj64ELj3ELj10EEvPKT0_PS4_
    .private_segment_fixed_size: 0
    .sgpr_count:     28
    .sgpr_spill_count: 0
    .symbol:         _Z17sort_pairs_kernelI22helper_blocked_stripedN15benchmark_utils11custom_typeIiiEELj64ELj3ELj10EEvPKT0_PS4_.kd
    .uniform_work_group_size: 1
    .uses_dynamic_stack: false
    .vgpr_count:     46
    .vgpr_spill_count: 0
    .wavefront_size: 32
    .workgroup_processor_mode: 1
  - .args:
      - .address_space:  global
        .offset:         0
        .size:           8
        .value_kind:     global_buffer
      - .address_space:  global
        .offset:         8
        .size:           8
        .value_kind:     global_buffer
      - .offset:         16
        .size:           4
        .value_kind:     hidden_block_count_x
      - .offset:         20
        .size:           4
        .value_kind:     hidden_block_count_y
      - .offset:         24
        .size:           4
        .value_kind:     hidden_block_count_z
      - .offset:         28
        .size:           2
        .value_kind:     hidden_group_size_x
      - .offset:         30
        .size:           2
        .value_kind:     hidden_group_size_y
      - .offset:         32
        .size:           2
        .value_kind:     hidden_group_size_z
      - .offset:         34
        .size:           2
        .value_kind:     hidden_remainder_x
      - .offset:         36
        .size:           2
        .value_kind:     hidden_remainder_y
      - .offset:         38
        .size:           2
        .value_kind:     hidden_remainder_z
      - .offset:         56
        .size:           8
        .value_kind:     hidden_global_offset_x
      - .offset:         64
        .size:           8
        .value_kind:     hidden_global_offset_y
      - .offset:         72
        .size:           8
        .value_kind:     hidden_global_offset_z
      - .offset:         80
        .size:           2
        .value_kind:     hidden_grid_dims
    .group_segment_fixed_size: 2064
    .kernarg_segment_align: 8
    .kernarg_segment_size: 272
    .language:       OpenCL C
    .language_version:
      - 2
      - 0
    .max_flat_workgroup_size: 64
    .name:           _Z16sort_keys_kernelI22helper_blocked_stripedN15benchmark_utils11custom_typeIiiEELj64ELj4ELj10EEvPKT0_PS4_
    .private_segment_fixed_size: 0
    .sgpr_count:     32
    .sgpr_spill_count: 0
    .symbol:         _Z16sort_keys_kernelI22helper_blocked_stripedN15benchmark_utils11custom_typeIiiEELj64ELj4ELj10EEvPKT0_PS4_.kd
    .uniform_work_group_size: 1
    .uses_dynamic_stack: false
    .vgpr_count:     47
    .vgpr_spill_count: 0
    .wavefront_size: 32
    .workgroup_processor_mode: 1
  - .args:
      - .address_space:  global
        .offset:         0
        .size:           8
        .value_kind:     global_buffer
      - .address_space:  global
        .offset:         8
        .size:           8
        .value_kind:     global_buffer
      - .offset:         16
        .size:           4
        .value_kind:     hidden_block_count_x
      - .offset:         20
        .size:           4
        .value_kind:     hidden_block_count_y
      - .offset:         24
        .size:           4
        .value_kind:     hidden_block_count_z
      - .offset:         28
        .size:           2
        .value_kind:     hidden_group_size_x
      - .offset:         30
        .size:           2
        .value_kind:     hidden_group_size_y
      - .offset:         32
        .size:           2
        .value_kind:     hidden_group_size_z
      - .offset:         34
        .size:           2
        .value_kind:     hidden_remainder_x
      - .offset:         36
        .size:           2
        .value_kind:     hidden_remainder_y
      - .offset:         38
        .size:           2
        .value_kind:     hidden_remainder_z
      - .offset:         56
        .size:           8
        .value_kind:     hidden_global_offset_x
      - .offset:         64
        .size:           8
        .value_kind:     hidden_global_offset_y
      - .offset:         72
        .size:           8
        .value_kind:     hidden_global_offset_z
      - .offset:         80
        .size:           2
        .value_kind:     hidden_grid_dims
    .group_segment_fixed_size: 2064
    .kernarg_segment_align: 8
    .kernarg_segment_size: 272
    .language:       OpenCL C
    .language_version:
      - 2
      - 0
    .max_flat_workgroup_size: 64
    .name:           _Z17sort_pairs_kernelI22helper_blocked_stripedN15benchmark_utils11custom_typeIiiEELj64ELj4ELj10EEvPKT0_PS4_
    .private_segment_fixed_size: 0
    .sgpr_count:     37
    .sgpr_spill_count: 0
    .symbol:         _Z17sort_pairs_kernelI22helper_blocked_stripedN15benchmark_utils11custom_typeIiiEELj64ELj4ELj10EEvPKT0_PS4_.kd
    .uniform_work_group_size: 1
    .uses_dynamic_stack: false
    .vgpr_count:     52
    .vgpr_spill_count: 0
    .wavefront_size: 32
    .workgroup_processor_mode: 1
  - .args:
      - .address_space:  global
        .offset:         0
        .size:           8
        .value_kind:     global_buffer
      - .address_space:  global
        .offset:         8
        .size:           8
        .value_kind:     global_buffer
      - .offset:         16
        .size:           4
        .value_kind:     hidden_block_count_x
      - .offset:         20
        .size:           4
        .value_kind:     hidden_block_count_y
      - .offset:         24
        .size:           4
        .value_kind:     hidden_block_count_z
      - .offset:         28
        .size:           2
        .value_kind:     hidden_group_size_x
      - .offset:         30
        .size:           2
        .value_kind:     hidden_group_size_y
      - .offset:         32
        .size:           2
        .value_kind:     hidden_group_size_z
      - .offset:         34
        .size:           2
        .value_kind:     hidden_remainder_x
      - .offset:         36
        .size:           2
        .value_kind:     hidden_remainder_y
      - .offset:         38
        .size:           2
        .value_kind:     hidden_remainder_z
      - .offset:         56
        .size:           8
        .value_kind:     hidden_global_offset_x
      - .offset:         64
        .size:           8
        .value_kind:     hidden_global_offset_y
      - .offset:         72
        .size:           8
        .value_kind:     hidden_global_offset_z
      - .offset:         80
        .size:           2
        .value_kind:     hidden_grid_dims
    .group_segment_fixed_size: 4096
    .kernarg_segment_align: 8
    .kernarg_segment_size: 272
    .language:       OpenCL C
    .language_version:
      - 2
      - 0
    .max_flat_workgroup_size: 64
    .name:           _Z16sort_keys_kernelI22helper_blocked_stripedN15benchmark_utils11custom_typeIiiEELj64ELj8ELj10EEvPKT0_PS4_
    .private_segment_fixed_size: 0
    .sgpr_count:     32
    .sgpr_spill_count: 0
    .symbol:         _Z16sort_keys_kernelI22helper_blocked_stripedN15benchmark_utils11custom_typeIiiEELj64ELj8ELj10EEvPKT0_PS4_.kd
    .uniform_work_group_size: 1
    .uses_dynamic_stack: false
    .vgpr_count:     60
    .vgpr_spill_count: 0
    .wavefront_size: 32
    .workgroup_processor_mode: 1
  - .args:
      - .address_space:  global
        .offset:         0
        .size:           8
        .value_kind:     global_buffer
      - .address_space:  global
        .offset:         8
        .size:           8
        .value_kind:     global_buffer
      - .offset:         16
        .size:           4
        .value_kind:     hidden_block_count_x
      - .offset:         20
        .size:           4
        .value_kind:     hidden_block_count_y
      - .offset:         24
        .size:           4
        .value_kind:     hidden_block_count_z
      - .offset:         28
        .size:           2
        .value_kind:     hidden_group_size_x
      - .offset:         30
        .size:           2
        .value_kind:     hidden_group_size_y
      - .offset:         32
        .size:           2
        .value_kind:     hidden_group_size_z
      - .offset:         34
        .size:           2
        .value_kind:     hidden_remainder_x
      - .offset:         36
        .size:           2
        .value_kind:     hidden_remainder_y
      - .offset:         38
        .size:           2
        .value_kind:     hidden_remainder_z
      - .offset:         56
        .size:           8
        .value_kind:     hidden_global_offset_x
      - .offset:         64
        .size:           8
        .value_kind:     hidden_global_offset_y
      - .offset:         72
        .size:           8
        .value_kind:     hidden_global_offset_z
      - .offset:         80
        .size:           2
        .value_kind:     hidden_grid_dims
    .group_segment_fixed_size: 4096
    .kernarg_segment_align: 8
    .kernarg_segment_size: 272
    .language:       OpenCL C
    .language_version:
      - 2
      - 0
    .max_flat_workgroup_size: 64
    .name:           _Z17sort_pairs_kernelI22helper_blocked_stripedN15benchmark_utils11custom_typeIiiEELj64ELj8ELj10EEvPKT0_PS4_
    .private_segment_fixed_size: 0
    .sgpr_count:     32
    .sgpr_spill_count: 0
    .symbol:         _Z17sort_pairs_kernelI22helper_blocked_stripedN15benchmark_utils11custom_typeIiiEELj64ELj8ELj10EEvPKT0_PS4_.kd
    .uniform_work_group_size: 1
    .uses_dynamic_stack: false
    .vgpr_count:     83
    .vgpr_spill_count: 0
    .wavefront_size: 32
    .workgroup_processor_mode: 1
  - .args:
      - .address_space:  global
        .offset:         0
        .size:           8
        .value_kind:     global_buffer
      - .address_space:  global
        .offset:         8
        .size:           8
        .value_kind:     global_buffer
      - .offset:         16
        .size:           4
        .value_kind:     hidden_block_count_x
      - .offset:         20
        .size:           4
        .value_kind:     hidden_block_count_y
      - .offset:         24
        .size:           4
        .value_kind:     hidden_block_count_z
      - .offset:         28
        .size:           2
        .value_kind:     hidden_group_size_x
      - .offset:         30
        .size:           2
        .value_kind:     hidden_group_size_y
      - .offset:         32
        .size:           2
        .value_kind:     hidden_group_size_z
      - .offset:         34
        .size:           2
        .value_kind:     hidden_remainder_x
      - .offset:         36
        .size:           2
        .value_kind:     hidden_remainder_y
      - .offset:         38
        .size:           2
        .value_kind:     hidden_remainder_z
      - .offset:         56
        .size:           8
        .value_kind:     hidden_global_offset_x
      - .offset:         64
        .size:           8
        .value_kind:     hidden_global_offset_y
      - .offset:         72
        .size:           8
        .value_kind:     hidden_global_offset_z
      - .offset:         80
        .size:           2
        .value_kind:     hidden_grid_dims
    .group_segment_fixed_size: 4112
    .kernarg_segment_align: 8
    .kernarg_segment_size: 272
    .language:       OpenCL C
    .language_version:
      - 2
      - 0
    .max_flat_workgroup_size: 128
    .name:           _Z16sort_keys_kernelI22helper_blocked_stripedN15benchmark_utils11custom_typeIiiEELj128ELj1ELj10EEvPKT0_PS4_
    .private_segment_fixed_size: 0
    .sgpr_count:     25
    .sgpr_spill_count: 0
    .symbol:         _Z16sort_keys_kernelI22helper_blocked_stripedN15benchmark_utils11custom_typeIiiEELj128ELj1ELj10EEvPKT0_PS4_.kd
    .uniform_work_group_size: 1
    .uses_dynamic_stack: false
    .vgpr_count:     28
    .vgpr_spill_count: 0
    .wavefront_size: 32
    .workgroup_processor_mode: 1
  - .args:
      - .address_space:  global
        .offset:         0
        .size:           8
        .value_kind:     global_buffer
      - .address_space:  global
        .offset:         8
        .size:           8
        .value_kind:     global_buffer
      - .offset:         16
        .size:           4
        .value_kind:     hidden_block_count_x
      - .offset:         20
        .size:           4
        .value_kind:     hidden_block_count_y
      - .offset:         24
        .size:           4
        .value_kind:     hidden_block_count_z
      - .offset:         28
        .size:           2
        .value_kind:     hidden_group_size_x
      - .offset:         30
        .size:           2
        .value_kind:     hidden_group_size_y
      - .offset:         32
        .size:           2
        .value_kind:     hidden_group_size_z
      - .offset:         34
        .size:           2
        .value_kind:     hidden_remainder_x
      - .offset:         36
        .size:           2
        .value_kind:     hidden_remainder_y
      - .offset:         38
        .size:           2
        .value_kind:     hidden_remainder_z
      - .offset:         56
        .size:           8
        .value_kind:     hidden_global_offset_x
      - .offset:         64
        .size:           8
        .value_kind:     hidden_global_offset_y
      - .offset:         72
        .size:           8
        .value_kind:     hidden_global_offset_z
      - .offset:         80
        .size:           2
        .value_kind:     hidden_grid_dims
    .group_segment_fixed_size: 4112
    .kernarg_segment_align: 8
    .kernarg_segment_size: 272
    .language:       OpenCL C
    .language_version:
      - 2
      - 0
    .max_flat_workgroup_size: 128
    .name:           _Z17sort_pairs_kernelI22helper_blocked_stripedN15benchmark_utils11custom_typeIiiEELj128ELj1ELj10EEvPKT0_PS4_
    .private_segment_fixed_size: 0
    .sgpr_count:     25
    .sgpr_spill_count: 0
    .symbol:         _Z17sort_pairs_kernelI22helper_blocked_stripedN15benchmark_utils11custom_typeIiiEELj128ELj1ELj10EEvPKT0_PS4_.kd
    .uniform_work_group_size: 1
    .uses_dynamic_stack: false
    .vgpr_count:     30
    .vgpr_spill_count: 0
    .wavefront_size: 32
    .workgroup_processor_mode: 1
  - .args:
      - .address_space:  global
        .offset:         0
        .size:           8
        .value_kind:     global_buffer
      - .address_space:  global
        .offset:         8
        .size:           8
        .value_kind:     global_buffer
      - .offset:         16
        .size:           4
        .value_kind:     hidden_block_count_x
      - .offset:         20
        .size:           4
        .value_kind:     hidden_block_count_y
      - .offset:         24
        .size:           4
        .value_kind:     hidden_block_count_z
      - .offset:         28
        .size:           2
        .value_kind:     hidden_group_size_x
      - .offset:         30
        .size:           2
        .value_kind:     hidden_group_size_y
      - .offset:         32
        .size:           2
        .value_kind:     hidden_group_size_z
      - .offset:         34
        .size:           2
        .value_kind:     hidden_remainder_x
      - .offset:         36
        .size:           2
        .value_kind:     hidden_remainder_y
      - .offset:         38
        .size:           2
        .value_kind:     hidden_remainder_z
      - .offset:         56
        .size:           8
        .value_kind:     hidden_global_offset_x
      - .offset:         64
        .size:           8
        .value_kind:     hidden_global_offset_y
      - .offset:         72
        .size:           8
        .value_kind:     hidden_global_offset_z
      - .offset:         80
        .size:           2
        .value_kind:     hidden_grid_dims
    .group_segment_fixed_size: 4112
    .kernarg_segment_align: 8
    .kernarg_segment_size: 272
    .language:       OpenCL C
    .language_version:
      - 2
      - 0
    .max_flat_workgroup_size: 128
    .name:           _Z16sort_keys_kernelI22helper_blocked_stripedN15benchmark_utils11custom_typeIiiEELj128ELj3ELj10EEvPKT0_PS4_
    .private_segment_fixed_size: 0
    .sgpr_count:     29
    .sgpr_spill_count: 0
    .symbol:         _Z16sort_keys_kernelI22helper_blocked_stripedN15benchmark_utils11custom_typeIiiEELj128ELj3ELj10EEvPKT0_PS4_.kd
    .uniform_work_group_size: 1
    .uses_dynamic_stack: false
    .vgpr_count:     40
    .vgpr_spill_count: 0
    .wavefront_size: 32
    .workgroup_processor_mode: 1
  - .args:
      - .address_space:  global
        .offset:         0
        .size:           8
        .value_kind:     global_buffer
      - .address_space:  global
        .offset:         8
        .size:           8
        .value_kind:     global_buffer
      - .offset:         16
        .size:           4
        .value_kind:     hidden_block_count_x
      - .offset:         20
        .size:           4
        .value_kind:     hidden_block_count_y
      - .offset:         24
        .size:           4
        .value_kind:     hidden_block_count_z
      - .offset:         28
        .size:           2
        .value_kind:     hidden_group_size_x
      - .offset:         30
        .size:           2
        .value_kind:     hidden_group_size_y
      - .offset:         32
        .size:           2
        .value_kind:     hidden_group_size_z
      - .offset:         34
        .size:           2
        .value_kind:     hidden_remainder_x
      - .offset:         36
        .size:           2
        .value_kind:     hidden_remainder_y
      - .offset:         38
        .size:           2
        .value_kind:     hidden_remainder_z
      - .offset:         56
        .size:           8
        .value_kind:     hidden_global_offset_x
      - .offset:         64
        .size:           8
        .value_kind:     hidden_global_offset_y
      - .offset:         72
        .size:           8
        .value_kind:     hidden_global_offset_z
      - .offset:         80
        .size:           2
        .value_kind:     hidden_grid_dims
    .group_segment_fixed_size: 4112
    .kernarg_segment_align: 8
    .kernarg_segment_size: 272
    .language:       OpenCL C
    .language_version:
      - 2
      - 0
    .max_flat_workgroup_size: 128
    .name:           _Z17sort_pairs_kernelI22helper_blocked_stripedN15benchmark_utils11custom_typeIiiEELj128ELj3ELj10EEvPKT0_PS4_
    .private_segment_fixed_size: 0
    .sgpr_count:     29
    .sgpr_spill_count: 0
    .symbol:         _Z17sort_pairs_kernelI22helper_blocked_stripedN15benchmark_utils11custom_typeIiiEELj128ELj3ELj10EEvPKT0_PS4_.kd
    .uniform_work_group_size: 1
    .uses_dynamic_stack: false
    .vgpr_count:     46
    .vgpr_spill_count: 0
    .wavefront_size: 32
    .workgroup_processor_mode: 1
  - .args:
      - .address_space:  global
        .offset:         0
        .size:           8
        .value_kind:     global_buffer
      - .address_space:  global
        .offset:         8
        .size:           8
        .value_kind:     global_buffer
      - .offset:         16
        .size:           4
        .value_kind:     hidden_block_count_x
      - .offset:         20
        .size:           4
        .value_kind:     hidden_block_count_y
      - .offset:         24
        .size:           4
        .value_kind:     hidden_block_count_z
      - .offset:         28
        .size:           2
        .value_kind:     hidden_group_size_x
      - .offset:         30
        .size:           2
        .value_kind:     hidden_group_size_y
      - .offset:         32
        .size:           2
        .value_kind:     hidden_group_size_z
      - .offset:         34
        .size:           2
        .value_kind:     hidden_remainder_x
      - .offset:         36
        .size:           2
        .value_kind:     hidden_remainder_y
      - .offset:         38
        .size:           2
        .value_kind:     hidden_remainder_z
      - .offset:         56
        .size:           8
        .value_kind:     hidden_global_offset_x
      - .offset:         64
        .size:           8
        .value_kind:     hidden_global_offset_y
      - .offset:         72
        .size:           8
        .value_kind:     hidden_global_offset_z
      - .offset:         80
        .size:           2
        .value_kind:     hidden_grid_dims
    .group_segment_fixed_size: 4112
    .kernarg_segment_align: 8
    .kernarg_segment_size: 272
    .language:       OpenCL C
    .language_version:
      - 2
      - 0
    .max_flat_workgroup_size: 128
    .name:           _Z16sort_keys_kernelI22helper_blocked_stripedN15benchmark_utils11custom_typeIiiEELj128ELj4ELj10EEvPKT0_PS4_
    .private_segment_fixed_size: 0
    .sgpr_count:     32
    .sgpr_spill_count: 0
    .symbol:         _Z16sort_keys_kernelI22helper_blocked_stripedN15benchmark_utils11custom_typeIiiEELj128ELj4ELj10EEvPKT0_PS4_.kd
    .uniform_work_group_size: 1
    .uses_dynamic_stack: false
    .vgpr_count:     47
    .vgpr_spill_count: 0
    .wavefront_size: 32
    .workgroup_processor_mode: 1
  - .args:
      - .address_space:  global
        .offset:         0
        .size:           8
        .value_kind:     global_buffer
      - .address_space:  global
        .offset:         8
        .size:           8
        .value_kind:     global_buffer
      - .offset:         16
        .size:           4
        .value_kind:     hidden_block_count_x
      - .offset:         20
        .size:           4
        .value_kind:     hidden_block_count_y
      - .offset:         24
        .size:           4
        .value_kind:     hidden_block_count_z
      - .offset:         28
        .size:           2
        .value_kind:     hidden_group_size_x
      - .offset:         30
        .size:           2
        .value_kind:     hidden_group_size_y
      - .offset:         32
        .size:           2
        .value_kind:     hidden_group_size_z
      - .offset:         34
        .size:           2
        .value_kind:     hidden_remainder_x
      - .offset:         36
        .size:           2
        .value_kind:     hidden_remainder_y
      - .offset:         38
        .size:           2
        .value_kind:     hidden_remainder_z
      - .offset:         56
        .size:           8
        .value_kind:     hidden_global_offset_x
      - .offset:         64
        .size:           8
        .value_kind:     hidden_global_offset_y
      - .offset:         72
        .size:           8
        .value_kind:     hidden_global_offset_z
      - .offset:         80
        .size:           2
        .value_kind:     hidden_grid_dims
    .group_segment_fixed_size: 4112
    .kernarg_segment_align: 8
    .kernarg_segment_size: 272
    .language:       OpenCL C
    .language_version:
      - 2
      - 0
    .max_flat_workgroup_size: 128
    .name:           _Z17sort_pairs_kernelI22helper_blocked_stripedN15benchmark_utils11custom_typeIiiEELj128ELj4ELj10EEvPKT0_PS4_
    .private_segment_fixed_size: 0
    .sgpr_count:     37
    .sgpr_spill_count: 0
    .symbol:         _Z17sort_pairs_kernelI22helper_blocked_stripedN15benchmark_utils11custom_typeIiiEELj128ELj4ELj10EEvPKT0_PS4_.kd
    .uniform_work_group_size: 1
    .uses_dynamic_stack: false
    .vgpr_count:     52
    .vgpr_spill_count: 0
    .wavefront_size: 32
    .workgroup_processor_mode: 1
  - .args:
      - .address_space:  global
        .offset:         0
        .size:           8
        .value_kind:     global_buffer
      - .address_space:  global
        .offset:         8
        .size:           8
        .value_kind:     global_buffer
      - .offset:         16
        .size:           4
        .value_kind:     hidden_block_count_x
      - .offset:         20
        .size:           4
        .value_kind:     hidden_block_count_y
      - .offset:         24
        .size:           4
        .value_kind:     hidden_block_count_z
      - .offset:         28
        .size:           2
        .value_kind:     hidden_group_size_x
      - .offset:         30
        .size:           2
        .value_kind:     hidden_group_size_y
      - .offset:         32
        .size:           2
        .value_kind:     hidden_group_size_z
      - .offset:         34
        .size:           2
        .value_kind:     hidden_remainder_x
      - .offset:         36
        .size:           2
        .value_kind:     hidden_remainder_y
      - .offset:         38
        .size:           2
        .value_kind:     hidden_remainder_z
      - .offset:         56
        .size:           8
        .value_kind:     hidden_global_offset_x
      - .offset:         64
        .size:           8
        .value_kind:     hidden_global_offset_y
      - .offset:         72
        .size:           8
        .value_kind:     hidden_global_offset_z
      - .offset:         80
        .size:           2
        .value_kind:     hidden_grid_dims
    .group_segment_fixed_size: 8192
    .kernarg_segment_align: 8
    .kernarg_segment_size: 272
    .language:       OpenCL C
    .language_version:
      - 2
      - 0
    .max_flat_workgroup_size: 128
    .name:           _Z16sort_keys_kernelI22helper_blocked_stripedN15benchmark_utils11custom_typeIiiEELj128ELj8ELj10EEvPKT0_PS4_
    .private_segment_fixed_size: 0
    .sgpr_count:     33
    .sgpr_spill_count: 0
    .symbol:         _Z16sort_keys_kernelI22helper_blocked_stripedN15benchmark_utils11custom_typeIiiEELj128ELj8ELj10EEvPKT0_PS4_.kd
    .uniform_work_group_size: 1
    .uses_dynamic_stack: false
    .vgpr_count:     60
    .vgpr_spill_count: 0
    .wavefront_size: 32
    .workgroup_processor_mode: 1
  - .args:
      - .address_space:  global
        .offset:         0
        .size:           8
        .value_kind:     global_buffer
      - .address_space:  global
        .offset:         8
        .size:           8
        .value_kind:     global_buffer
      - .offset:         16
        .size:           4
        .value_kind:     hidden_block_count_x
      - .offset:         20
        .size:           4
        .value_kind:     hidden_block_count_y
      - .offset:         24
        .size:           4
        .value_kind:     hidden_block_count_z
      - .offset:         28
        .size:           2
        .value_kind:     hidden_group_size_x
      - .offset:         30
        .size:           2
        .value_kind:     hidden_group_size_y
      - .offset:         32
        .size:           2
        .value_kind:     hidden_group_size_z
      - .offset:         34
        .size:           2
        .value_kind:     hidden_remainder_x
      - .offset:         36
        .size:           2
        .value_kind:     hidden_remainder_y
      - .offset:         38
        .size:           2
        .value_kind:     hidden_remainder_z
      - .offset:         56
        .size:           8
        .value_kind:     hidden_global_offset_x
      - .offset:         64
        .size:           8
        .value_kind:     hidden_global_offset_y
      - .offset:         72
        .size:           8
        .value_kind:     hidden_global_offset_z
      - .offset:         80
        .size:           2
        .value_kind:     hidden_grid_dims
    .group_segment_fixed_size: 8192
    .kernarg_segment_align: 8
    .kernarg_segment_size: 272
    .language:       OpenCL C
    .language_version:
      - 2
      - 0
    .max_flat_workgroup_size: 128
    .name:           _Z17sort_pairs_kernelI22helper_blocked_stripedN15benchmark_utils11custom_typeIiiEELj128ELj8ELj10EEvPKT0_PS4_
    .private_segment_fixed_size: 0
    .sgpr_count:     33
    .sgpr_spill_count: 0
    .symbol:         _Z17sort_pairs_kernelI22helper_blocked_stripedN15benchmark_utils11custom_typeIiiEELj128ELj8ELj10EEvPKT0_PS4_.kd
    .uniform_work_group_size: 1
    .uses_dynamic_stack: false
    .vgpr_count:     83
    .vgpr_spill_count: 0
    .wavefront_size: 32
    .workgroup_processor_mode: 1
  - .args:
      - .address_space:  global
        .offset:         0
        .size:           8
        .value_kind:     global_buffer
      - .address_space:  global
        .offset:         8
        .size:           8
        .value_kind:     global_buffer
      - .offset:         16
        .size:           4
        .value_kind:     hidden_block_count_x
      - .offset:         20
        .size:           4
        .value_kind:     hidden_block_count_y
      - .offset:         24
        .size:           4
        .value_kind:     hidden_block_count_z
      - .offset:         28
        .size:           2
        .value_kind:     hidden_group_size_x
      - .offset:         30
        .size:           2
        .value_kind:     hidden_group_size_y
      - .offset:         32
        .size:           2
        .value_kind:     hidden_group_size_z
      - .offset:         34
        .size:           2
        .value_kind:     hidden_remainder_x
      - .offset:         36
        .size:           2
        .value_kind:     hidden_remainder_y
      - .offset:         38
        .size:           2
        .value_kind:     hidden_remainder_z
      - .offset:         56
        .size:           8
        .value_kind:     hidden_global_offset_x
      - .offset:         64
        .size:           8
        .value_kind:     hidden_global_offset_y
      - .offset:         72
        .size:           8
        .value_kind:     hidden_global_offset_z
      - .offset:         80
        .size:           2
        .value_kind:     hidden_grid_dims
    .group_segment_fixed_size: 6176
    .kernarg_segment_align: 8
    .kernarg_segment_size: 272
    .language:       OpenCL C
    .language_version:
      - 2
      - 0
    .max_flat_workgroup_size: 192
    .name:           _Z16sort_keys_kernelI22helper_blocked_stripedN15benchmark_utils11custom_typeIiiEELj192ELj1ELj10EEvPKT0_PS4_
    .private_segment_fixed_size: 0
    .sgpr_count:     26
    .sgpr_spill_count: 0
    .symbol:         _Z16sort_keys_kernelI22helper_blocked_stripedN15benchmark_utils11custom_typeIiiEELj192ELj1ELj10EEvPKT0_PS4_.kd
    .uniform_work_group_size: 1
    .uses_dynamic_stack: false
    .vgpr_count:     28
    .vgpr_spill_count: 0
    .wavefront_size: 32
    .workgroup_processor_mode: 1
  - .args:
      - .address_space:  global
        .offset:         0
        .size:           8
        .value_kind:     global_buffer
      - .address_space:  global
        .offset:         8
        .size:           8
        .value_kind:     global_buffer
      - .offset:         16
        .size:           4
        .value_kind:     hidden_block_count_x
      - .offset:         20
        .size:           4
        .value_kind:     hidden_block_count_y
      - .offset:         24
        .size:           4
        .value_kind:     hidden_block_count_z
      - .offset:         28
        .size:           2
        .value_kind:     hidden_group_size_x
      - .offset:         30
        .size:           2
        .value_kind:     hidden_group_size_y
      - .offset:         32
        .size:           2
        .value_kind:     hidden_group_size_z
      - .offset:         34
        .size:           2
        .value_kind:     hidden_remainder_x
      - .offset:         36
        .size:           2
        .value_kind:     hidden_remainder_y
      - .offset:         38
        .size:           2
        .value_kind:     hidden_remainder_z
      - .offset:         56
        .size:           8
        .value_kind:     hidden_global_offset_x
      - .offset:         64
        .size:           8
        .value_kind:     hidden_global_offset_y
      - .offset:         72
        .size:           8
        .value_kind:     hidden_global_offset_z
      - .offset:         80
        .size:           2
        .value_kind:     hidden_grid_dims
    .group_segment_fixed_size: 6176
    .kernarg_segment_align: 8
    .kernarg_segment_size: 272
    .language:       OpenCL C
    .language_version:
      - 2
      - 0
    .max_flat_workgroup_size: 192
    .name:           _Z17sort_pairs_kernelI22helper_blocked_stripedN15benchmark_utils11custom_typeIiiEELj192ELj1ELj10EEvPKT0_PS4_
    .private_segment_fixed_size: 0
    .sgpr_count:     26
    .sgpr_spill_count: 0
    .symbol:         _Z17sort_pairs_kernelI22helper_blocked_stripedN15benchmark_utils11custom_typeIiiEELj192ELj1ELj10EEvPKT0_PS4_.kd
    .uniform_work_group_size: 1
    .uses_dynamic_stack: false
    .vgpr_count:     30
    .vgpr_spill_count: 0
    .wavefront_size: 32
    .workgroup_processor_mode: 1
  - .args:
      - .address_space:  global
        .offset:         0
        .size:           8
        .value_kind:     global_buffer
      - .address_space:  global
        .offset:         8
        .size:           8
        .value_kind:     global_buffer
      - .offset:         16
        .size:           4
        .value_kind:     hidden_block_count_x
      - .offset:         20
        .size:           4
        .value_kind:     hidden_block_count_y
      - .offset:         24
        .size:           4
        .value_kind:     hidden_block_count_z
      - .offset:         28
        .size:           2
        .value_kind:     hidden_group_size_x
      - .offset:         30
        .size:           2
        .value_kind:     hidden_group_size_y
      - .offset:         32
        .size:           2
        .value_kind:     hidden_group_size_z
      - .offset:         34
        .size:           2
        .value_kind:     hidden_remainder_x
      - .offset:         36
        .size:           2
        .value_kind:     hidden_remainder_y
      - .offset:         38
        .size:           2
        .value_kind:     hidden_remainder_z
      - .offset:         56
        .size:           8
        .value_kind:     hidden_global_offset_x
      - .offset:         64
        .size:           8
        .value_kind:     hidden_global_offset_y
      - .offset:         72
        .size:           8
        .value_kind:     hidden_global_offset_z
      - .offset:         80
        .size:           2
        .value_kind:     hidden_grid_dims
    .group_segment_fixed_size: 6176
    .kernarg_segment_align: 8
    .kernarg_segment_size: 272
    .language:       OpenCL C
    .language_version:
      - 2
      - 0
    .max_flat_workgroup_size: 192
    .name:           _Z16sort_keys_kernelI22helper_blocked_stripedN15benchmark_utils11custom_typeIiiEELj192ELj3ELj10EEvPKT0_PS4_
    .private_segment_fixed_size: 0
    .sgpr_count:     30
    .sgpr_spill_count: 0
    .symbol:         _Z16sort_keys_kernelI22helper_blocked_stripedN15benchmark_utils11custom_typeIiiEELj192ELj3ELj10EEvPKT0_PS4_.kd
    .uniform_work_group_size: 1
    .uses_dynamic_stack: false
    .vgpr_count:     40
    .vgpr_spill_count: 0
    .wavefront_size: 32
    .workgroup_processor_mode: 1
  - .args:
      - .address_space:  global
        .offset:         0
        .size:           8
        .value_kind:     global_buffer
      - .address_space:  global
        .offset:         8
        .size:           8
        .value_kind:     global_buffer
      - .offset:         16
        .size:           4
        .value_kind:     hidden_block_count_x
      - .offset:         20
        .size:           4
        .value_kind:     hidden_block_count_y
      - .offset:         24
        .size:           4
        .value_kind:     hidden_block_count_z
      - .offset:         28
        .size:           2
        .value_kind:     hidden_group_size_x
      - .offset:         30
        .size:           2
        .value_kind:     hidden_group_size_y
      - .offset:         32
        .size:           2
        .value_kind:     hidden_group_size_z
      - .offset:         34
        .size:           2
        .value_kind:     hidden_remainder_x
      - .offset:         36
        .size:           2
        .value_kind:     hidden_remainder_y
      - .offset:         38
        .size:           2
        .value_kind:     hidden_remainder_z
      - .offset:         56
        .size:           8
        .value_kind:     hidden_global_offset_x
      - .offset:         64
        .size:           8
        .value_kind:     hidden_global_offset_y
      - .offset:         72
        .size:           8
        .value_kind:     hidden_global_offset_z
      - .offset:         80
        .size:           2
        .value_kind:     hidden_grid_dims
    .group_segment_fixed_size: 6176
    .kernarg_segment_align: 8
    .kernarg_segment_size: 272
    .language:       OpenCL C
    .language_version:
      - 2
      - 0
    .max_flat_workgroup_size: 192
    .name:           _Z17sort_pairs_kernelI22helper_blocked_stripedN15benchmark_utils11custom_typeIiiEELj192ELj3ELj10EEvPKT0_PS4_
    .private_segment_fixed_size: 0
    .sgpr_count:     30
    .sgpr_spill_count: 0
    .symbol:         _Z17sort_pairs_kernelI22helper_blocked_stripedN15benchmark_utils11custom_typeIiiEELj192ELj3ELj10EEvPKT0_PS4_.kd
    .uniform_work_group_size: 1
    .uses_dynamic_stack: false
    .vgpr_count:     46
    .vgpr_spill_count: 0
    .wavefront_size: 32
    .workgroup_processor_mode: 1
  - .args:
      - .address_space:  global
        .offset:         0
        .size:           8
        .value_kind:     global_buffer
      - .address_space:  global
        .offset:         8
        .size:           8
        .value_kind:     global_buffer
      - .offset:         16
        .size:           4
        .value_kind:     hidden_block_count_x
      - .offset:         20
        .size:           4
        .value_kind:     hidden_block_count_y
      - .offset:         24
        .size:           4
        .value_kind:     hidden_block_count_z
      - .offset:         28
        .size:           2
        .value_kind:     hidden_group_size_x
      - .offset:         30
        .size:           2
        .value_kind:     hidden_group_size_y
      - .offset:         32
        .size:           2
        .value_kind:     hidden_group_size_z
      - .offset:         34
        .size:           2
        .value_kind:     hidden_remainder_x
      - .offset:         36
        .size:           2
        .value_kind:     hidden_remainder_y
      - .offset:         38
        .size:           2
        .value_kind:     hidden_remainder_z
      - .offset:         56
        .size:           8
        .value_kind:     hidden_global_offset_x
      - .offset:         64
        .size:           8
        .value_kind:     hidden_global_offset_y
      - .offset:         72
        .size:           8
        .value_kind:     hidden_global_offset_z
      - .offset:         80
        .size:           2
        .value_kind:     hidden_grid_dims
    .group_segment_fixed_size: 6176
    .kernarg_segment_align: 8
    .kernarg_segment_size: 272
    .language:       OpenCL C
    .language_version:
      - 2
      - 0
    .max_flat_workgroup_size: 192
    .name:           _Z16sort_keys_kernelI22helper_blocked_stripedN15benchmark_utils11custom_typeIiiEELj192ELj4ELj10EEvPKT0_PS4_
    .private_segment_fixed_size: 0
    .sgpr_count:     34
    .sgpr_spill_count: 0
    .symbol:         _Z16sort_keys_kernelI22helper_blocked_stripedN15benchmark_utils11custom_typeIiiEELj192ELj4ELj10EEvPKT0_PS4_.kd
    .uniform_work_group_size: 1
    .uses_dynamic_stack: false
    .vgpr_count:     47
    .vgpr_spill_count: 0
    .wavefront_size: 32
    .workgroup_processor_mode: 1
  - .args:
      - .address_space:  global
        .offset:         0
        .size:           8
        .value_kind:     global_buffer
      - .address_space:  global
        .offset:         8
        .size:           8
        .value_kind:     global_buffer
      - .offset:         16
        .size:           4
        .value_kind:     hidden_block_count_x
      - .offset:         20
        .size:           4
        .value_kind:     hidden_block_count_y
      - .offset:         24
        .size:           4
        .value_kind:     hidden_block_count_z
      - .offset:         28
        .size:           2
        .value_kind:     hidden_group_size_x
      - .offset:         30
        .size:           2
        .value_kind:     hidden_group_size_y
      - .offset:         32
        .size:           2
        .value_kind:     hidden_group_size_z
      - .offset:         34
        .size:           2
        .value_kind:     hidden_remainder_x
      - .offset:         36
        .size:           2
        .value_kind:     hidden_remainder_y
      - .offset:         38
        .size:           2
        .value_kind:     hidden_remainder_z
      - .offset:         56
        .size:           8
        .value_kind:     hidden_global_offset_x
      - .offset:         64
        .size:           8
        .value_kind:     hidden_global_offset_y
      - .offset:         72
        .size:           8
        .value_kind:     hidden_global_offset_z
      - .offset:         80
        .size:           2
        .value_kind:     hidden_grid_dims
    .group_segment_fixed_size: 6176
    .kernarg_segment_align: 8
    .kernarg_segment_size: 272
    .language:       OpenCL C
    .language_version:
      - 2
      - 0
    .max_flat_workgroup_size: 192
    .name:           _Z17sort_pairs_kernelI22helper_blocked_stripedN15benchmark_utils11custom_typeIiiEELj192ELj4ELj10EEvPKT0_PS4_
    .private_segment_fixed_size: 0
    .sgpr_count:     39
    .sgpr_spill_count: 0
    .symbol:         _Z17sort_pairs_kernelI22helper_blocked_stripedN15benchmark_utils11custom_typeIiiEELj192ELj4ELj10EEvPKT0_PS4_.kd
    .uniform_work_group_size: 1
    .uses_dynamic_stack: false
    .vgpr_count:     52
    .vgpr_spill_count: 0
    .wavefront_size: 32
    .workgroup_processor_mode: 1
  - .args:
      - .address_space:  global
        .offset:         0
        .size:           8
        .value_kind:     global_buffer
      - .address_space:  global
        .offset:         8
        .size:           8
        .value_kind:     global_buffer
      - .offset:         16
        .size:           4
        .value_kind:     hidden_block_count_x
      - .offset:         20
        .size:           4
        .value_kind:     hidden_block_count_y
      - .offset:         24
        .size:           4
        .value_kind:     hidden_block_count_z
      - .offset:         28
        .size:           2
        .value_kind:     hidden_group_size_x
      - .offset:         30
        .size:           2
        .value_kind:     hidden_group_size_y
      - .offset:         32
        .size:           2
        .value_kind:     hidden_group_size_z
      - .offset:         34
        .size:           2
        .value_kind:     hidden_remainder_x
      - .offset:         36
        .size:           2
        .value_kind:     hidden_remainder_y
      - .offset:         38
        .size:           2
        .value_kind:     hidden_remainder_z
      - .offset:         56
        .size:           8
        .value_kind:     hidden_global_offset_x
      - .offset:         64
        .size:           8
        .value_kind:     hidden_global_offset_y
      - .offset:         72
        .size:           8
        .value_kind:     hidden_global_offset_z
      - .offset:         80
        .size:           2
        .value_kind:     hidden_grid_dims
    .group_segment_fixed_size: 12672
    .kernarg_segment_align: 8
    .kernarg_segment_size: 272
    .language:       OpenCL C
    .language_version:
      - 2
      - 0
    .max_flat_workgroup_size: 192
    .name:           _Z16sort_keys_kernelI22helper_blocked_stripedN15benchmark_utils11custom_typeIiiEELj192ELj8ELj10EEvPKT0_PS4_
    .private_segment_fixed_size: 0
    .sgpr_count:     34
    .sgpr_spill_count: 0
    .symbol:         _Z16sort_keys_kernelI22helper_blocked_stripedN15benchmark_utils11custom_typeIiiEELj192ELj8ELj10EEvPKT0_PS4_.kd
    .uniform_work_group_size: 1
    .uses_dynamic_stack: false
    .vgpr_count:     67
    .vgpr_spill_count: 0
    .wavefront_size: 32
    .workgroup_processor_mode: 1
  - .args:
      - .address_space:  global
        .offset:         0
        .size:           8
        .value_kind:     global_buffer
      - .address_space:  global
        .offset:         8
        .size:           8
        .value_kind:     global_buffer
      - .offset:         16
        .size:           4
        .value_kind:     hidden_block_count_x
      - .offset:         20
        .size:           4
        .value_kind:     hidden_block_count_y
      - .offset:         24
        .size:           4
        .value_kind:     hidden_block_count_z
      - .offset:         28
        .size:           2
        .value_kind:     hidden_group_size_x
      - .offset:         30
        .size:           2
        .value_kind:     hidden_group_size_y
      - .offset:         32
        .size:           2
        .value_kind:     hidden_group_size_z
      - .offset:         34
        .size:           2
        .value_kind:     hidden_remainder_x
      - .offset:         36
        .size:           2
        .value_kind:     hidden_remainder_y
      - .offset:         38
        .size:           2
        .value_kind:     hidden_remainder_z
      - .offset:         56
        .size:           8
        .value_kind:     hidden_global_offset_x
      - .offset:         64
        .size:           8
        .value_kind:     hidden_global_offset_y
      - .offset:         72
        .size:           8
        .value_kind:     hidden_global_offset_z
      - .offset:         80
        .size:           2
        .value_kind:     hidden_grid_dims
    .group_segment_fixed_size: 12672
    .kernarg_segment_align: 8
    .kernarg_segment_size: 272
    .language:       OpenCL C
    .language_version:
      - 2
      - 0
    .max_flat_workgroup_size: 192
    .name:           _Z17sort_pairs_kernelI22helper_blocked_stripedN15benchmark_utils11custom_typeIiiEELj192ELj8ELj10EEvPKT0_PS4_
    .private_segment_fixed_size: 0
    .sgpr_count:     34
    .sgpr_spill_count: 0
    .symbol:         _Z17sort_pairs_kernelI22helper_blocked_stripedN15benchmark_utils11custom_typeIiiEELj192ELj8ELj10EEvPKT0_PS4_.kd
    .uniform_work_group_size: 1
    .uses_dynamic_stack: false
    .vgpr_count:     90
    .vgpr_spill_count: 0
    .wavefront_size: 32
    .workgroup_processor_mode: 1
  - .args:
      - .address_space:  global
        .offset:         0
        .size:           8
        .value_kind:     global_buffer
      - .address_space:  global
        .offset:         8
        .size:           8
        .value_kind:     global_buffer
      - .offset:         16
        .size:           4
        .value_kind:     hidden_block_count_x
      - .offset:         20
        .size:           4
        .value_kind:     hidden_block_count_y
      - .offset:         24
        .size:           4
        .value_kind:     hidden_block_count_z
      - .offset:         28
        .size:           2
        .value_kind:     hidden_group_size_x
      - .offset:         30
        .size:           2
        .value_kind:     hidden_group_size_y
      - .offset:         32
        .size:           2
        .value_kind:     hidden_group_size_z
      - .offset:         34
        .size:           2
        .value_kind:     hidden_remainder_x
      - .offset:         36
        .size:           2
        .value_kind:     hidden_remainder_y
      - .offset:         38
        .size:           2
        .value_kind:     hidden_remainder_z
      - .offset:         56
        .size:           8
        .value_kind:     hidden_global_offset_x
      - .offset:         64
        .size:           8
        .value_kind:     hidden_global_offset_y
      - .offset:         72
        .size:           8
        .value_kind:     hidden_global_offset_z
      - .offset:         80
        .size:           2
        .value_kind:     hidden_grid_dims
    .group_segment_fixed_size: 8224
    .kernarg_segment_align: 8
    .kernarg_segment_size: 272
    .language:       OpenCL C
    .language_version:
      - 2
      - 0
    .max_flat_workgroup_size: 256
    .name:           _Z16sort_keys_kernelI22helper_blocked_stripedN15benchmark_utils11custom_typeIiiEELj256ELj1ELj10EEvPKT0_PS4_
    .private_segment_fixed_size: 0
    .sgpr_count:     26
    .sgpr_spill_count: 0
    .symbol:         _Z16sort_keys_kernelI22helper_blocked_stripedN15benchmark_utils11custom_typeIiiEELj256ELj1ELj10EEvPKT0_PS4_.kd
    .uniform_work_group_size: 1
    .uses_dynamic_stack: false
    .vgpr_count:     28
    .vgpr_spill_count: 0
    .wavefront_size: 32
    .workgroup_processor_mode: 1
  - .args:
      - .address_space:  global
        .offset:         0
        .size:           8
        .value_kind:     global_buffer
      - .address_space:  global
        .offset:         8
        .size:           8
        .value_kind:     global_buffer
      - .offset:         16
        .size:           4
        .value_kind:     hidden_block_count_x
      - .offset:         20
        .size:           4
        .value_kind:     hidden_block_count_y
      - .offset:         24
        .size:           4
        .value_kind:     hidden_block_count_z
      - .offset:         28
        .size:           2
        .value_kind:     hidden_group_size_x
      - .offset:         30
        .size:           2
        .value_kind:     hidden_group_size_y
      - .offset:         32
        .size:           2
        .value_kind:     hidden_group_size_z
      - .offset:         34
        .size:           2
        .value_kind:     hidden_remainder_x
      - .offset:         36
        .size:           2
        .value_kind:     hidden_remainder_y
      - .offset:         38
        .size:           2
        .value_kind:     hidden_remainder_z
      - .offset:         56
        .size:           8
        .value_kind:     hidden_global_offset_x
      - .offset:         64
        .size:           8
        .value_kind:     hidden_global_offset_y
      - .offset:         72
        .size:           8
        .value_kind:     hidden_global_offset_z
      - .offset:         80
        .size:           2
        .value_kind:     hidden_grid_dims
    .group_segment_fixed_size: 8224
    .kernarg_segment_align: 8
    .kernarg_segment_size: 272
    .language:       OpenCL C
    .language_version:
      - 2
      - 0
    .max_flat_workgroup_size: 256
    .name:           _Z17sort_pairs_kernelI22helper_blocked_stripedN15benchmark_utils11custom_typeIiiEELj256ELj1ELj10EEvPKT0_PS4_
    .private_segment_fixed_size: 0
    .sgpr_count:     26
    .sgpr_spill_count: 0
    .symbol:         _Z17sort_pairs_kernelI22helper_blocked_stripedN15benchmark_utils11custom_typeIiiEELj256ELj1ELj10EEvPKT0_PS4_.kd
    .uniform_work_group_size: 1
    .uses_dynamic_stack: false
    .vgpr_count:     30
    .vgpr_spill_count: 0
    .wavefront_size: 32
    .workgroup_processor_mode: 1
  - .args:
      - .address_space:  global
        .offset:         0
        .size:           8
        .value_kind:     global_buffer
      - .address_space:  global
        .offset:         8
        .size:           8
        .value_kind:     global_buffer
      - .offset:         16
        .size:           4
        .value_kind:     hidden_block_count_x
      - .offset:         20
        .size:           4
        .value_kind:     hidden_block_count_y
      - .offset:         24
        .size:           4
        .value_kind:     hidden_block_count_z
      - .offset:         28
        .size:           2
        .value_kind:     hidden_group_size_x
      - .offset:         30
        .size:           2
        .value_kind:     hidden_group_size_y
      - .offset:         32
        .size:           2
        .value_kind:     hidden_group_size_z
      - .offset:         34
        .size:           2
        .value_kind:     hidden_remainder_x
      - .offset:         36
        .size:           2
        .value_kind:     hidden_remainder_y
      - .offset:         38
        .size:           2
        .value_kind:     hidden_remainder_z
      - .offset:         56
        .size:           8
        .value_kind:     hidden_global_offset_x
      - .offset:         64
        .size:           8
        .value_kind:     hidden_global_offset_y
      - .offset:         72
        .size:           8
        .value_kind:     hidden_global_offset_z
      - .offset:         80
        .size:           2
        .value_kind:     hidden_grid_dims
    .group_segment_fixed_size: 8224
    .kernarg_segment_align: 8
    .kernarg_segment_size: 272
    .language:       OpenCL C
    .language_version:
      - 2
      - 0
    .max_flat_workgroup_size: 256
    .name:           _Z16sort_keys_kernelI22helper_blocked_stripedN15benchmark_utils11custom_typeIiiEELj256ELj3ELj10EEvPKT0_PS4_
    .private_segment_fixed_size: 0
    .sgpr_count:     30
    .sgpr_spill_count: 0
    .symbol:         _Z16sort_keys_kernelI22helper_blocked_stripedN15benchmark_utils11custom_typeIiiEELj256ELj3ELj10EEvPKT0_PS4_.kd
    .uniform_work_group_size: 1
    .uses_dynamic_stack: false
    .vgpr_count:     40
    .vgpr_spill_count: 0
    .wavefront_size: 32
    .workgroup_processor_mode: 1
  - .args:
      - .address_space:  global
        .offset:         0
        .size:           8
        .value_kind:     global_buffer
      - .address_space:  global
        .offset:         8
        .size:           8
        .value_kind:     global_buffer
      - .offset:         16
        .size:           4
        .value_kind:     hidden_block_count_x
      - .offset:         20
        .size:           4
        .value_kind:     hidden_block_count_y
      - .offset:         24
        .size:           4
        .value_kind:     hidden_block_count_z
      - .offset:         28
        .size:           2
        .value_kind:     hidden_group_size_x
      - .offset:         30
        .size:           2
        .value_kind:     hidden_group_size_y
      - .offset:         32
        .size:           2
        .value_kind:     hidden_group_size_z
      - .offset:         34
        .size:           2
        .value_kind:     hidden_remainder_x
      - .offset:         36
        .size:           2
        .value_kind:     hidden_remainder_y
      - .offset:         38
        .size:           2
        .value_kind:     hidden_remainder_z
      - .offset:         56
        .size:           8
        .value_kind:     hidden_global_offset_x
      - .offset:         64
        .size:           8
        .value_kind:     hidden_global_offset_y
      - .offset:         72
        .size:           8
        .value_kind:     hidden_global_offset_z
      - .offset:         80
        .size:           2
        .value_kind:     hidden_grid_dims
    .group_segment_fixed_size: 8224
    .kernarg_segment_align: 8
    .kernarg_segment_size: 272
    .language:       OpenCL C
    .language_version:
      - 2
      - 0
    .max_flat_workgroup_size: 256
    .name:           _Z17sort_pairs_kernelI22helper_blocked_stripedN15benchmark_utils11custom_typeIiiEELj256ELj3ELj10EEvPKT0_PS4_
    .private_segment_fixed_size: 0
    .sgpr_count:     30
    .sgpr_spill_count: 0
    .symbol:         _Z17sort_pairs_kernelI22helper_blocked_stripedN15benchmark_utils11custom_typeIiiEELj256ELj3ELj10EEvPKT0_PS4_.kd
    .uniform_work_group_size: 1
    .uses_dynamic_stack: false
    .vgpr_count:     46
    .vgpr_spill_count: 0
    .wavefront_size: 32
    .workgroup_processor_mode: 1
  - .args:
      - .address_space:  global
        .offset:         0
        .size:           8
        .value_kind:     global_buffer
      - .address_space:  global
        .offset:         8
        .size:           8
        .value_kind:     global_buffer
      - .offset:         16
        .size:           4
        .value_kind:     hidden_block_count_x
      - .offset:         20
        .size:           4
        .value_kind:     hidden_block_count_y
      - .offset:         24
        .size:           4
        .value_kind:     hidden_block_count_z
      - .offset:         28
        .size:           2
        .value_kind:     hidden_group_size_x
      - .offset:         30
        .size:           2
        .value_kind:     hidden_group_size_y
      - .offset:         32
        .size:           2
        .value_kind:     hidden_group_size_z
      - .offset:         34
        .size:           2
        .value_kind:     hidden_remainder_x
      - .offset:         36
        .size:           2
        .value_kind:     hidden_remainder_y
      - .offset:         38
        .size:           2
        .value_kind:     hidden_remainder_z
      - .offset:         56
        .size:           8
        .value_kind:     hidden_global_offset_x
      - .offset:         64
        .size:           8
        .value_kind:     hidden_global_offset_y
      - .offset:         72
        .size:           8
        .value_kind:     hidden_global_offset_z
      - .offset:         80
        .size:           2
        .value_kind:     hidden_grid_dims
    .group_segment_fixed_size: 8224
    .kernarg_segment_align: 8
    .kernarg_segment_size: 272
    .language:       OpenCL C
    .language_version:
      - 2
      - 0
    .max_flat_workgroup_size: 256
    .name:           _Z16sort_keys_kernelI22helper_blocked_stripedN15benchmark_utils11custom_typeIiiEELj256ELj4ELj10EEvPKT0_PS4_
    .private_segment_fixed_size: 0
    .sgpr_count:     34
    .sgpr_spill_count: 0
    .symbol:         _Z16sort_keys_kernelI22helper_blocked_stripedN15benchmark_utils11custom_typeIiiEELj256ELj4ELj10EEvPKT0_PS4_.kd
    .uniform_work_group_size: 1
    .uses_dynamic_stack: false
    .vgpr_count:     47
    .vgpr_spill_count: 0
    .wavefront_size: 32
    .workgroup_processor_mode: 1
  - .args:
      - .address_space:  global
        .offset:         0
        .size:           8
        .value_kind:     global_buffer
      - .address_space:  global
        .offset:         8
        .size:           8
        .value_kind:     global_buffer
      - .offset:         16
        .size:           4
        .value_kind:     hidden_block_count_x
      - .offset:         20
        .size:           4
        .value_kind:     hidden_block_count_y
      - .offset:         24
        .size:           4
        .value_kind:     hidden_block_count_z
      - .offset:         28
        .size:           2
        .value_kind:     hidden_group_size_x
      - .offset:         30
        .size:           2
        .value_kind:     hidden_group_size_y
      - .offset:         32
        .size:           2
        .value_kind:     hidden_group_size_z
      - .offset:         34
        .size:           2
        .value_kind:     hidden_remainder_x
      - .offset:         36
        .size:           2
        .value_kind:     hidden_remainder_y
      - .offset:         38
        .size:           2
        .value_kind:     hidden_remainder_z
      - .offset:         56
        .size:           8
        .value_kind:     hidden_global_offset_x
      - .offset:         64
        .size:           8
        .value_kind:     hidden_global_offset_y
      - .offset:         72
        .size:           8
        .value_kind:     hidden_global_offset_z
      - .offset:         80
        .size:           2
        .value_kind:     hidden_grid_dims
    .group_segment_fixed_size: 8224
    .kernarg_segment_align: 8
    .kernarg_segment_size: 272
    .language:       OpenCL C
    .language_version:
      - 2
      - 0
    .max_flat_workgroup_size: 256
    .name:           _Z17sort_pairs_kernelI22helper_blocked_stripedN15benchmark_utils11custom_typeIiiEELj256ELj4ELj10EEvPKT0_PS4_
    .private_segment_fixed_size: 0
    .sgpr_count:     39
    .sgpr_spill_count: 0
    .symbol:         _Z17sort_pairs_kernelI22helper_blocked_stripedN15benchmark_utils11custom_typeIiiEELj256ELj4ELj10EEvPKT0_PS4_.kd
    .uniform_work_group_size: 1
    .uses_dynamic_stack: false
    .vgpr_count:     52
    .vgpr_spill_count: 0
    .wavefront_size: 32
    .workgroup_processor_mode: 1
  - .args:
      - .address_space:  global
        .offset:         0
        .size:           8
        .value_kind:     global_buffer
      - .address_space:  global
        .offset:         8
        .size:           8
        .value_kind:     global_buffer
      - .offset:         16
        .size:           4
        .value_kind:     hidden_block_count_x
      - .offset:         20
        .size:           4
        .value_kind:     hidden_block_count_y
      - .offset:         24
        .size:           4
        .value_kind:     hidden_block_count_z
      - .offset:         28
        .size:           2
        .value_kind:     hidden_group_size_x
      - .offset:         30
        .size:           2
        .value_kind:     hidden_group_size_y
      - .offset:         32
        .size:           2
        .value_kind:     hidden_group_size_z
      - .offset:         34
        .size:           2
        .value_kind:     hidden_remainder_x
      - .offset:         36
        .size:           2
        .value_kind:     hidden_remainder_y
      - .offset:         38
        .size:           2
        .value_kind:     hidden_remainder_z
      - .offset:         56
        .size:           8
        .value_kind:     hidden_global_offset_x
      - .offset:         64
        .size:           8
        .value_kind:     hidden_global_offset_y
      - .offset:         72
        .size:           8
        .value_kind:     hidden_global_offset_z
      - .offset:         80
        .size:           2
        .value_kind:     hidden_grid_dims
    .group_segment_fixed_size: 16384
    .kernarg_segment_align: 8
    .kernarg_segment_size: 272
    .language:       OpenCL C
    .language_version:
      - 2
      - 0
    .max_flat_workgroup_size: 256
    .name:           _Z16sort_keys_kernelI22helper_blocked_stripedN15benchmark_utils11custom_typeIiiEELj256ELj8ELj10EEvPKT0_PS4_
    .private_segment_fixed_size: 0
    .sgpr_count:     34
    .sgpr_spill_count: 0
    .symbol:         _Z16sort_keys_kernelI22helper_blocked_stripedN15benchmark_utils11custom_typeIiiEELj256ELj8ELj10EEvPKT0_PS4_.kd
    .uniform_work_group_size: 1
    .uses_dynamic_stack: false
    .vgpr_count:     60
    .vgpr_spill_count: 0
    .wavefront_size: 32
    .workgroup_processor_mode: 1
  - .args:
      - .address_space:  global
        .offset:         0
        .size:           8
        .value_kind:     global_buffer
      - .address_space:  global
        .offset:         8
        .size:           8
        .value_kind:     global_buffer
      - .offset:         16
        .size:           4
        .value_kind:     hidden_block_count_x
      - .offset:         20
        .size:           4
        .value_kind:     hidden_block_count_y
      - .offset:         24
        .size:           4
        .value_kind:     hidden_block_count_z
      - .offset:         28
        .size:           2
        .value_kind:     hidden_group_size_x
      - .offset:         30
        .size:           2
        .value_kind:     hidden_group_size_y
      - .offset:         32
        .size:           2
        .value_kind:     hidden_group_size_z
      - .offset:         34
        .size:           2
        .value_kind:     hidden_remainder_x
      - .offset:         36
        .size:           2
        .value_kind:     hidden_remainder_y
      - .offset:         38
        .size:           2
        .value_kind:     hidden_remainder_z
      - .offset:         56
        .size:           8
        .value_kind:     hidden_global_offset_x
      - .offset:         64
        .size:           8
        .value_kind:     hidden_global_offset_y
      - .offset:         72
        .size:           8
        .value_kind:     hidden_global_offset_z
      - .offset:         80
        .size:           2
        .value_kind:     hidden_grid_dims
    .group_segment_fixed_size: 16384
    .kernarg_segment_align: 8
    .kernarg_segment_size: 272
    .language:       OpenCL C
    .language_version:
      - 2
      - 0
    .max_flat_workgroup_size: 256
    .name:           _Z17sort_pairs_kernelI22helper_blocked_stripedN15benchmark_utils11custom_typeIiiEELj256ELj8ELj10EEvPKT0_PS4_
    .private_segment_fixed_size: 0
    .sgpr_count:     34
    .sgpr_spill_count: 0
    .symbol:         _Z17sort_pairs_kernelI22helper_blocked_stripedN15benchmark_utils11custom_typeIiiEELj256ELj8ELj10EEvPKT0_PS4_.kd
    .uniform_work_group_size: 1
    .uses_dynamic_stack: false
    .vgpr_count:     83
    .vgpr_spill_count: 0
    .wavefront_size: 32
    .workgroup_processor_mode: 1
  - .args:
      - .address_space:  global
        .offset:         0
        .size:           8
        .value_kind:     global_buffer
      - .address_space:  global
        .offset:         8
        .size:           8
        .value_kind:     global_buffer
      - .offset:         16
        .size:           4
        .value_kind:     hidden_block_count_x
      - .offset:         20
        .size:           4
        .value_kind:     hidden_block_count_y
      - .offset:         24
        .size:           4
        .value_kind:     hidden_block_count_z
      - .offset:         28
        .size:           2
        .value_kind:     hidden_group_size_x
      - .offset:         30
        .size:           2
        .value_kind:     hidden_group_size_y
      - .offset:         32
        .size:           2
        .value_kind:     hidden_group_size_z
      - .offset:         34
        .size:           2
        .value_kind:     hidden_remainder_x
      - .offset:         36
        .size:           2
        .value_kind:     hidden_remainder_y
      - .offset:         38
        .size:           2
        .value_kind:     hidden_remainder_z
      - .offset:         56
        .size:           8
        .value_kind:     hidden_global_offset_x
      - .offset:         64
        .size:           8
        .value_kind:     hidden_global_offset_y
      - .offset:         72
        .size:           8
        .value_kind:     hidden_global_offset_z
      - .offset:         80
        .size:           2
        .value_kind:     hidden_grid_dims
    .group_segment_fixed_size: 10288
    .kernarg_segment_align: 8
    .kernarg_segment_size: 272
    .language:       OpenCL C
    .language_version:
      - 2
      - 0
    .max_flat_workgroup_size: 320
    .name:           _Z16sort_keys_kernelI22helper_blocked_stripedN15benchmark_utils11custom_typeIiiEELj320ELj1ELj10EEvPKT0_PS4_
    .private_segment_fixed_size: 0
    .sgpr_count:     24
    .sgpr_spill_count: 0
    .symbol:         _Z16sort_keys_kernelI22helper_blocked_stripedN15benchmark_utils11custom_typeIiiEELj320ELj1ELj10EEvPKT0_PS4_.kd
    .uniform_work_group_size: 1
    .uses_dynamic_stack: false
    .vgpr_count:     28
    .vgpr_spill_count: 0
    .wavefront_size: 32
    .workgroup_processor_mode: 1
  - .args:
      - .address_space:  global
        .offset:         0
        .size:           8
        .value_kind:     global_buffer
      - .address_space:  global
        .offset:         8
        .size:           8
        .value_kind:     global_buffer
      - .offset:         16
        .size:           4
        .value_kind:     hidden_block_count_x
      - .offset:         20
        .size:           4
        .value_kind:     hidden_block_count_y
      - .offset:         24
        .size:           4
        .value_kind:     hidden_block_count_z
      - .offset:         28
        .size:           2
        .value_kind:     hidden_group_size_x
      - .offset:         30
        .size:           2
        .value_kind:     hidden_group_size_y
      - .offset:         32
        .size:           2
        .value_kind:     hidden_group_size_z
      - .offset:         34
        .size:           2
        .value_kind:     hidden_remainder_x
      - .offset:         36
        .size:           2
        .value_kind:     hidden_remainder_y
      - .offset:         38
        .size:           2
        .value_kind:     hidden_remainder_z
      - .offset:         56
        .size:           8
        .value_kind:     hidden_global_offset_x
      - .offset:         64
        .size:           8
        .value_kind:     hidden_global_offset_y
      - .offset:         72
        .size:           8
        .value_kind:     hidden_global_offset_z
      - .offset:         80
        .size:           2
        .value_kind:     hidden_grid_dims
    .group_segment_fixed_size: 10288
    .kernarg_segment_align: 8
    .kernarg_segment_size: 272
    .language:       OpenCL C
    .language_version:
      - 2
      - 0
    .max_flat_workgroup_size: 320
    .name:           _Z17sort_pairs_kernelI22helper_blocked_stripedN15benchmark_utils11custom_typeIiiEELj320ELj1ELj10EEvPKT0_PS4_
    .private_segment_fixed_size: 0
    .sgpr_count:     24
    .sgpr_spill_count: 0
    .symbol:         _Z17sort_pairs_kernelI22helper_blocked_stripedN15benchmark_utils11custom_typeIiiEELj320ELj1ELj10EEvPKT0_PS4_.kd
    .uniform_work_group_size: 1
    .uses_dynamic_stack: false
    .vgpr_count:     30
    .vgpr_spill_count: 0
    .wavefront_size: 32
    .workgroup_processor_mode: 1
  - .args:
      - .address_space:  global
        .offset:         0
        .size:           8
        .value_kind:     global_buffer
      - .address_space:  global
        .offset:         8
        .size:           8
        .value_kind:     global_buffer
      - .offset:         16
        .size:           4
        .value_kind:     hidden_block_count_x
      - .offset:         20
        .size:           4
        .value_kind:     hidden_block_count_y
      - .offset:         24
        .size:           4
        .value_kind:     hidden_block_count_z
      - .offset:         28
        .size:           2
        .value_kind:     hidden_group_size_x
      - .offset:         30
        .size:           2
        .value_kind:     hidden_group_size_y
      - .offset:         32
        .size:           2
        .value_kind:     hidden_group_size_z
      - .offset:         34
        .size:           2
        .value_kind:     hidden_remainder_x
      - .offset:         36
        .size:           2
        .value_kind:     hidden_remainder_y
      - .offset:         38
        .size:           2
        .value_kind:     hidden_remainder_z
      - .offset:         56
        .size:           8
        .value_kind:     hidden_global_offset_x
      - .offset:         64
        .size:           8
        .value_kind:     hidden_global_offset_y
      - .offset:         72
        .size:           8
        .value_kind:     hidden_global_offset_z
      - .offset:         80
        .size:           2
        .value_kind:     hidden_grid_dims
    .group_segment_fixed_size: 10288
    .kernarg_segment_align: 8
    .kernarg_segment_size: 272
    .language:       OpenCL C
    .language_version:
      - 2
      - 0
    .max_flat_workgroup_size: 320
    .name:           _Z16sort_keys_kernelI22helper_blocked_stripedN15benchmark_utils11custom_typeIiiEELj320ELj3ELj10EEvPKT0_PS4_
    .private_segment_fixed_size: 0
    .sgpr_count:     27
    .sgpr_spill_count: 0
    .symbol:         _Z16sort_keys_kernelI22helper_blocked_stripedN15benchmark_utils11custom_typeIiiEELj320ELj3ELj10EEvPKT0_PS4_.kd
    .uniform_work_group_size: 1
    .uses_dynamic_stack: false
    .vgpr_count:     40
    .vgpr_spill_count: 0
    .wavefront_size: 32
    .workgroup_processor_mode: 1
  - .args:
      - .address_space:  global
        .offset:         0
        .size:           8
        .value_kind:     global_buffer
      - .address_space:  global
        .offset:         8
        .size:           8
        .value_kind:     global_buffer
      - .offset:         16
        .size:           4
        .value_kind:     hidden_block_count_x
      - .offset:         20
        .size:           4
        .value_kind:     hidden_block_count_y
      - .offset:         24
        .size:           4
        .value_kind:     hidden_block_count_z
      - .offset:         28
        .size:           2
        .value_kind:     hidden_group_size_x
      - .offset:         30
        .size:           2
        .value_kind:     hidden_group_size_y
      - .offset:         32
        .size:           2
        .value_kind:     hidden_group_size_z
      - .offset:         34
        .size:           2
        .value_kind:     hidden_remainder_x
      - .offset:         36
        .size:           2
        .value_kind:     hidden_remainder_y
      - .offset:         38
        .size:           2
        .value_kind:     hidden_remainder_z
      - .offset:         56
        .size:           8
        .value_kind:     hidden_global_offset_x
      - .offset:         64
        .size:           8
        .value_kind:     hidden_global_offset_y
      - .offset:         72
        .size:           8
        .value_kind:     hidden_global_offset_z
      - .offset:         80
        .size:           2
        .value_kind:     hidden_grid_dims
    .group_segment_fixed_size: 10288
    .kernarg_segment_align: 8
    .kernarg_segment_size: 272
    .language:       OpenCL C
    .language_version:
      - 2
      - 0
    .max_flat_workgroup_size: 320
    .name:           _Z17sort_pairs_kernelI22helper_blocked_stripedN15benchmark_utils11custom_typeIiiEELj320ELj3ELj10EEvPKT0_PS4_
    .private_segment_fixed_size: 0
    .sgpr_count:     27
    .sgpr_spill_count: 0
    .symbol:         _Z17sort_pairs_kernelI22helper_blocked_stripedN15benchmark_utils11custom_typeIiiEELj320ELj3ELj10EEvPKT0_PS4_.kd
    .uniform_work_group_size: 1
    .uses_dynamic_stack: false
    .vgpr_count:     46
    .vgpr_spill_count: 0
    .wavefront_size: 32
    .workgroup_processor_mode: 1
  - .args:
      - .address_space:  global
        .offset:         0
        .size:           8
        .value_kind:     global_buffer
      - .address_space:  global
        .offset:         8
        .size:           8
        .value_kind:     global_buffer
      - .offset:         16
        .size:           4
        .value_kind:     hidden_block_count_x
      - .offset:         20
        .size:           4
        .value_kind:     hidden_block_count_y
      - .offset:         24
        .size:           4
        .value_kind:     hidden_block_count_z
      - .offset:         28
        .size:           2
        .value_kind:     hidden_group_size_x
      - .offset:         30
        .size:           2
        .value_kind:     hidden_group_size_y
      - .offset:         32
        .size:           2
        .value_kind:     hidden_group_size_z
      - .offset:         34
        .size:           2
        .value_kind:     hidden_remainder_x
      - .offset:         36
        .size:           2
        .value_kind:     hidden_remainder_y
      - .offset:         38
        .size:           2
        .value_kind:     hidden_remainder_z
      - .offset:         56
        .size:           8
        .value_kind:     hidden_global_offset_x
      - .offset:         64
        .size:           8
        .value_kind:     hidden_global_offset_y
      - .offset:         72
        .size:           8
        .value_kind:     hidden_global_offset_z
      - .offset:         80
        .size:           2
        .value_kind:     hidden_grid_dims
    .group_segment_fixed_size: 10560
    .kernarg_segment_align: 8
    .kernarg_segment_size: 272
    .language:       OpenCL C
    .language_version:
      - 2
      - 0
    .max_flat_workgroup_size: 320
    .name:           _Z16sort_keys_kernelI22helper_blocked_stripedN15benchmark_utils11custom_typeIiiEELj320ELj4ELj10EEvPKT0_PS4_
    .private_segment_fixed_size: 0
    .sgpr_count:     31
    .sgpr_spill_count: 0
    .symbol:         _Z16sort_keys_kernelI22helper_blocked_stripedN15benchmark_utils11custom_typeIiiEELj320ELj4ELj10EEvPKT0_PS4_.kd
    .uniform_work_group_size: 1
    .uses_dynamic_stack: false
    .vgpr_count:     50
    .vgpr_spill_count: 0
    .wavefront_size: 32
    .workgroup_processor_mode: 1
  - .args:
      - .address_space:  global
        .offset:         0
        .size:           8
        .value_kind:     global_buffer
      - .address_space:  global
        .offset:         8
        .size:           8
        .value_kind:     global_buffer
      - .offset:         16
        .size:           4
        .value_kind:     hidden_block_count_x
      - .offset:         20
        .size:           4
        .value_kind:     hidden_block_count_y
      - .offset:         24
        .size:           4
        .value_kind:     hidden_block_count_z
      - .offset:         28
        .size:           2
        .value_kind:     hidden_group_size_x
      - .offset:         30
        .size:           2
        .value_kind:     hidden_group_size_y
      - .offset:         32
        .size:           2
        .value_kind:     hidden_group_size_z
      - .offset:         34
        .size:           2
        .value_kind:     hidden_remainder_x
      - .offset:         36
        .size:           2
        .value_kind:     hidden_remainder_y
      - .offset:         38
        .size:           2
        .value_kind:     hidden_remainder_z
      - .offset:         56
        .size:           8
        .value_kind:     hidden_global_offset_x
      - .offset:         64
        .size:           8
        .value_kind:     hidden_global_offset_y
      - .offset:         72
        .size:           8
        .value_kind:     hidden_global_offset_z
      - .offset:         80
        .size:           2
        .value_kind:     hidden_grid_dims
    .group_segment_fixed_size: 10560
    .kernarg_segment_align: 8
    .kernarg_segment_size: 272
    .language:       OpenCL C
    .language_version:
      - 2
      - 0
    .max_flat_workgroup_size: 320
    .name:           _Z17sort_pairs_kernelI22helper_blocked_stripedN15benchmark_utils11custom_typeIiiEELj320ELj4ELj10EEvPKT0_PS4_
    .private_segment_fixed_size: 0
    .sgpr_count:     36
    .sgpr_spill_count: 0
    .symbol:         _Z17sort_pairs_kernelI22helper_blocked_stripedN15benchmark_utils11custom_typeIiiEELj320ELj4ELj10EEvPKT0_PS4_.kd
    .uniform_work_group_size: 1
    .uses_dynamic_stack: false
    .vgpr_count:     56
    .vgpr_spill_count: 0
    .wavefront_size: 32
    .workgroup_processor_mode: 1
  - .args:
      - .address_space:  global
        .offset:         0
        .size:           8
        .value_kind:     global_buffer
      - .address_space:  global
        .offset:         8
        .size:           8
        .value_kind:     global_buffer
      - .offset:         16
        .size:           4
        .value_kind:     hidden_block_count_x
      - .offset:         20
        .size:           4
        .value_kind:     hidden_block_count_y
      - .offset:         24
        .size:           4
        .value_kind:     hidden_block_count_z
      - .offset:         28
        .size:           2
        .value_kind:     hidden_group_size_x
      - .offset:         30
        .size:           2
        .value_kind:     hidden_group_size_y
      - .offset:         32
        .size:           2
        .value_kind:     hidden_group_size_z
      - .offset:         34
        .size:           2
        .value_kind:     hidden_remainder_x
      - .offset:         36
        .size:           2
        .value_kind:     hidden_remainder_y
      - .offset:         38
        .size:           2
        .value_kind:     hidden_remainder_z
      - .offset:         56
        .size:           8
        .value_kind:     hidden_global_offset_x
      - .offset:         64
        .size:           8
        .value_kind:     hidden_global_offset_y
      - .offset:         72
        .size:           8
        .value_kind:     hidden_global_offset_z
      - .offset:         80
        .size:           2
        .value_kind:     hidden_grid_dims
    .group_segment_fixed_size: 21120
    .kernarg_segment_align: 8
    .kernarg_segment_size: 272
    .language:       OpenCL C
    .language_version:
      - 2
      - 0
    .max_flat_workgroup_size: 320
    .name:           _Z16sort_keys_kernelI22helper_blocked_stripedN15benchmark_utils11custom_typeIiiEELj320ELj8ELj10EEvPKT0_PS4_
    .private_segment_fixed_size: 0
    .sgpr_count:     31
    .sgpr_spill_count: 0
    .symbol:         _Z16sort_keys_kernelI22helper_blocked_stripedN15benchmark_utils11custom_typeIiiEELj320ELj8ELj10EEvPKT0_PS4_.kd
    .uniform_work_group_size: 1
    .uses_dynamic_stack: false
    .vgpr_count:     67
    .vgpr_spill_count: 0
    .wavefront_size: 32
    .workgroup_processor_mode: 1
  - .args:
      - .address_space:  global
        .offset:         0
        .size:           8
        .value_kind:     global_buffer
      - .address_space:  global
        .offset:         8
        .size:           8
        .value_kind:     global_buffer
      - .offset:         16
        .size:           4
        .value_kind:     hidden_block_count_x
      - .offset:         20
        .size:           4
        .value_kind:     hidden_block_count_y
      - .offset:         24
        .size:           4
        .value_kind:     hidden_block_count_z
      - .offset:         28
        .size:           2
        .value_kind:     hidden_group_size_x
      - .offset:         30
        .size:           2
        .value_kind:     hidden_group_size_y
      - .offset:         32
        .size:           2
        .value_kind:     hidden_group_size_z
      - .offset:         34
        .size:           2
        .value_kind:     hidden_remainder_x
      - .offset:         36
        .size:           2
        .value_kind:     hidden_remainder_y
      - .offset:         38
        .size:           2
        .value_kind:     hidden_remainder_z
      - .offset:         56
        .size:           8
        .value_kind:     hidden_global_offset_x
      - .offset:         64
        .size:           8
        .value_kind:     hidden_global_offset_y
      - .offset:         72
        .size:           8
        .value_kind:     hidden_global_offset_z
      - .offset:         80
        .size:           2
        .value_kind:     hidden_grid_dims
    .group_segment_fixed_size: 21120
    .kernarg_segment_align: 8
    .kernarg_segment_size: 272
    .language:       OpenCL C
    .language_version:
      - 2
      - 0
    .max_flat_workgroup_size: 320
    .name:           _Z17sort_pairs_kernelI22helper_blocked_stripedN15benchmark_utils11custom_typeIiiEELj320ELj8ELj10EEvPKT0_PS4_
    .private_segment_fixed_size: 0
    .sgpr_count:     31
    .sgpr_spill_count: 0
    .symbol:         _Z17sort_pairs_kernelI22helper_blocked_stripedN15benchmark_utils11custom_typeIiiEELj320ELj8ELj10EEvPKT0_PS4_.kd
    .uniform_work_group_size: 1
    .uses_dynamic_stack: false
    .vgpr_count:     90
    .vgpr_spill_count: 0
    .wavefront_size: 32
    .workgroup_processor_mode: 1
  - .args:
      - .address_space:  global
        .offset:         0
        .size:           8
        .value_kind:     global_buffer
      - .address_space:  global
        .offset:         8
        .size:           8
        .value_kind:     global_buffer
      - .offset:         16
        .size:           4
        .value_kind:     hidden_block_count_x
      - .offset:         20
        .size:           4
        .value_kind:     hidden_block_count_y
      - .offset:         24
        .size:           4
        .value_kind:     hidden_block_count_z
      - .offset:         28
        .size:           2
        .value_kind:     hidden_group_size_x
      - .offset:         30
        .size:           2
        .value_kind:     hidden_group_size_y
      - .offset:         32
        .size:           2
        .value_kind:     hidden_group_size_z
      - .offset:         34
        .size:           2
        .value_kind:     hidden_remainder_x
      - .offset:         36
        .size:           2
        .value_kind:     hidden_remainder_y
      - .offset:         38
        .size:           2
        .value_kind:     hidden_remainder_z
      - .offset:         56
        .size:           8
        .value_kind:     hidden_global_offset_x
      - .offset:         64
        .size:           8
        .value_kind:     hidden_global_offset_y
      - .offset:         72
        .size:           8
        .value_kind:     hidden_global_offset_z
      - .offset:         80
        .size:           2
        .value_kind:     hidden_grid_dims
    .group_segment_fixed_size: 16448
    .kernarg_segment_align: 8
    .kernarg_segment_size: 272
    .language:       OpenCL C
    .language_version:
      - 2
      - 0
    .max_flat_workgroup_size: 512
    .name:           _Z16sort_keys_kernelI22helper_blocked_stripedN15benchmark_utils11custom_typeIiiEELj512ELj1ELj10EEvPKT0_PS4_
    .private_segment_fixed_size: 0
    .sgpr_count:     24
    .sgpr_spill_count: 0
    .symbol:         _Z16sort_keys_kernelI22helper_blocked_stripedN15benchmark_utils11custom_typeIiiEELj512ELj1ELj10EEvPKT0_PS4_.kd
    .uniform_work_group_size: 1
    .uses_dynamic_stack: false
    .vgpr_count:     28
    .vgpr_spill_count: 0
    .wavefront_size: 32
    .workgroup_processor_mode: 1
  - .args:
      - .address_space:  global
        .offset:         0
        .size:           8
        .value_kind:     global_buffer
      - .address_space:  global
        .offset:         8
        .size:           8
        .value_kind:     global_buffer
      - .offset:         16
        .size:           4
        .value_kind:     hidden_block_count_x
      - .offset:         20
        .size:           4
        .value_kind:     hidden_block_count_y
      - .offset:         24
        .size:           4
        .value_kind:     hidden_block_count_z
      - .offset:         28
        .size:           2
        .value_kind:     hidden_group_size_x
      - .offset:         30
        .size:           2
        .value_kind:     hidden_group_size_y
      - .offset:         32
        .size:           2
        .value_kind:     hidden_group_size_z
      - .offset:         34
        .size:           2
        .value_kind:     hidden_remainder_x
      - .offset:         36
        .size:           2
        .value_kind:     hidden_remainder_y
      - .offset:         38
        .size:           2
        .value_kind:     hidden_remainder_z
      - .offset:         56
        .size:           8
        .value_kind:     hidden_global_offset_x
      - .offset:         64
        .size:           8
        .value_kind:     hidden_global_offset_y
      - .offset:         72
        .size:           8
        .value_kind:     hidden_global_offset_z
      - .offset:         80
        .size:           2
        .value_kind:     hidden_grid_dims
    .group_segment_fixed_size: 16448
    .kernarg_segment_align: 8
    .kernarg_segment_size: 272
    .language:       OpenCL C
    .language_version:
      - 2
      - 0
    .max_flat_workgroup_size: 512
    .name:           _Z17sort_pairs_kernelI22helper_blocked_stripedN15benchmark_utils11custom_typeIiiEELj512ELj1ELj10EEvPKT0_PS4_
    .private_segment_fixed_size: 0
    .sgpr_count:     24
    .sgpr_spill_count: 0
    .symbol:         _Z17sort_pairs_kernelI22helper_blocked_stripedN15benchmark_utils11custom_typeIiiEELj512ELj1ELj10EEvPKT0_PS4_.kd
    .uniform_work_group_size: 1
    .uses_dynamic_stack: false
    .vgpr_count:     30
    .vgpr_spill_count: 0
    .wavefront_size: 32
    .workgroup_processor_mode: 1
  - .args:
      - .address_space:  global
        .offset:         0
        .size:           8
        .value_kind:     global_buffer
      - .address_space:  global
        .offset:         8
        .size:           8
        .value_kind:     global_buffer
      - .offset:         16
        .size:           4
        .value_kind:     hidden_block_count_x
      - .offset:         20
        .size:           4
        .value_kind:     hidden_block_count_y
      - .offset:         24
        .size:           4
        .value_kind:     hidden_block_count_z
      - .offset:         28
        .size:           2
        .value_kind:     hidden_group_size_x
      - .offset:         30
        .size:           2
        .value_kind:     hidden_group_size_y
      - .offset:         32
        .size:           2
        .value_kind:     hidden_group_size_z
      - .offset:         34
        .size:           2
        .value_kind:     hidden_remainder_x
      - .offset:         36
        .size:           2
        .value_kind:     hidden_remainder_y
      - .offset:         38
        .size:           2
        .value_kind:     hidden_remainder_z
      - .offset:         56
        .size:           8
        .value_kind:     hidden_global_offset_x
      - .offset:         64
        .size:           8
        .value_kind:     hidden_global_offset_y
      - .offset:         72
        .size:           8
        .value_kind:     hidden_global_offset_z
      - .offset:         80
        .size:           2
        .value_kind:     hidden_grid_dims
    .group_segment_fixed_size: 16448
    .kernarg_segment_align: 8
    .kernarg_segment_size: 272
    .language:       OpenCL C
    .language_version:
      - 2
      - 0
    .max_flat_workgroup_size: 512
    .name:           _Z16sort_keys_kernelI22helper_blocked_stripedN15benchmark_utils11custom_typeIiiEELj512ELj3ELj10EEvPKT0_PS4_
    .private_segment_fixed_size: 0
    .sgpr_count:     27
    .sgpr_spill_count: 0
    .symbol:         _Z16sort_keys_kernelI22helper_blocked_stripedN15benchmark_utils11custom_typeIiiEELj512ELj3ELj10EEvPKT0_PS4_.kd
    .uniform_work_group_size: 1
    .uses_dynamic_stack: false
    .vgpr_count:     40
    .vgpr_spill_count: 0
    .wavefront_size: 32
    .workgroup_processor_mode: 1
  - .args:
      - .address_space:  global
        .offset:         0
        .size:           8
        .value_kind:     global_buffer
      - .address_space:  global
        .offset:         8
        .size:           8
        .value_kind:     global_buffer
      - .offset:         16
        .size:           4
        .value_kind:     hidden_block_count_x
      - .offset:         20
        .size:           4
        .value_kind:     hidden_block_count_y
      - .offset:         24
        .size:           4
        .value_kind:     hidden_block_count_z
      - .offset:         28
        .size:           2
        .value_kind:     hidden_group_size_x
      - .offset:         30
        .size:           2
        .value_kind:     hidden_group_size_y
      - .offset:         32
        .size:           2
        .value_kind:     hidden_group_size_z
      - .offset:         34
        .size:           2
        .value_kind:     hidden_remainder_x
      - .offset:         36
        .size:           2
        .value_kind:     hidden_remainder_y
      - .offset:         38
        .size:           2
        .value_kind:     hidden_remainder_z
      - .offset:         56
        .size:           8
        .value_kind:     hidden_global_offset_x
      - .offset:         64
        .size:           8
        .value_kind:     hidden_global_offset_y
      - .offset:         72
        .size:           8
        .value_kind:     hidden_global_offset_z
      - .offset:         80
        .size:           2
        .value_kind:     hidden_grid_dims
    .group_segment_fixed_size: 16448
    .kernarg_segment_align: 8
    .kernarg_segment_size: 272
    .language:       OpenCL C
    .language_version:
      - 2
      - 0
    .max_flat_workgroup_size: 512
    .name:           _Z17sort_pairs_kernelI22helper_blocked_stripedN15benchmark_utils11custom_typeIiiEELj512ELj3ELj10EEvPKT0_PS4_
    .private_segment_fixed_size: 0
    .sgpr_count:     27
    .sgpr_spill_count: 0
    .symbol:         _Z17sort_pairs_kernelI22helper_blocked_stripedN15benchmark_utils11custom_typeIiiEELj512ELj3ELj10EEvPKT0_PS4_.kd
    .uniform_work_group_size: 1
    .uses_dynamic_stack: false
    .vgpr_count:     46
    .vgpr_spill_count: 0
    .wavefront_size: 32
    .workgroup_processor_mode: 1
  - .args:
      - .address_space:  global
        .offset:         0
        .size:           8
        .value_kind:     global_buffer
      - .address_space:  global
        .offset:         8
        .size:           8
        .value_kind:     global_buffer
      - .offset:         16
        .size:           4
        .value_kind:     hidden_block_count_x
      - .offset:         20
        .size:           4
        .value_kind:     hidden_block_count_y
      - .offset:         24
        .size:           4
        .value_kind:     hidden_block_count_z
      - .offset:         28
        .size:           2
        .value_kind:     hidden_group_size_x
      - .offset:         30
        .size:           2
        .value_kind:     hidden_group_size_y
      - .offset:         32
        .size:           2
        .value_kind:     hidden_group_size_z
      - .offset:         34
        .size:           2
        .value_kind:     hidden_remainder_x
      - .offset:         36
        .size:           2
        .value_kind:     hidden_remainder_y
      - .offset:         38
        .size:           2
        .value_kind:     hidden_remainder_z
      - .offset:         56
        .size:           8
        .value_kind:     hidden_global_offset_x
      - .offset:         64
        .size:           8
        .value_kind:     hidden_global_offset_y
      - .offset:         72
        .size:           8
        .value_kind:     hidden_global_offset_z
      - .offset:         80
        .size:           2
        .value_kind:     hidden_grid_dims
    .group_segment_fixed_size: 16448
    .kernarg_segment_align: 8
    .kernarg_segment_size: 272
    .language:       OpenCL C
    .language_version:
      - 2
      - 0
    .max_flat_workgroup_size: 512
    .name:           _Z16sort_keys_kernelI22helper_blocked_stripedN15benchmark_utils11custom_typeIiiEELj512ELj4ELj10EEvPKT0_PS4_
    .private_segment_fixed_size: 0
    .sgpr_count:     31
    .sgpr_spill_count: 0
    .symbol:         _Z16sort_keys_kernelI22helper_blocked_stripedN15benchmark_utils11custom_typeIiiEELj512ELj4ELj10EEvPKT0_PS4_.kd
    .uniform_work_group_size: 1
    .uses_dynamic_stack: false
    .vgpr_count:     47
    .vgpr_spill_count: 0
    .wavefront_size: 32
    .workgroup_processor_mode: 1
  - .args:
      - .address_space:  global
        .offset:         0
        .size:           8
        .value_kind:     global_buffer
      - .address_space:  global
        .offset:         8
        .size:           8
        .value_kind:     global_buffer
      - .offset:         16
        .size:           4
        .value_kind:     hidden_block_count_x
      - .offset:         20
        .size:           4
        .value_kind:     hidden_block_count_y
      - .offset:         24
        .size:           4
        .value_kind:     hidden_block_count_z
      - .offset:         28
        .size:           2
        .value_kind:     hidden_group_size_x
      - .offset:         30
        .size:           2
        .value_kind:     hidden_group_size_y
      - .offset:         32
        .size:           2
        .value_kind:     hidden_group_size_z
      - .offset:         34
        .size:           2
        .value_kind:     hidden_remainder_x
      - .offset:         36
        .size:           2
        .value_kind:     hidden_remainder_y
      - .offset:         38
        .size:           2
        .value_kind:     hidden_remainder_z
      - .offset:         56
        .size:           8
        .value_kind:     hidden_global_offset_x
      - .offset:         64
        .size:           8
        .value_kind:     hidden_global_offset_y
      - .offset:         72
        .size:           8
        .value_kind:     hidden_global_offset_z
      - .offset:         80
        .size:           2
        .value_kind:     hidden_grid_dims
    .group_segment_fixed_size: 16448
    .kernarg_segment_align: 8
    .kernarg_segment_size: 272
    .language:       OpenCL C
    .language_version:
      - 2
      - 0
    .max_flat_workgroup_size: 512
    .name:           _Z17sort_pairs_kernelI22helper_blocked_stripedN15benchmark_utils11custom_typeIiiEELj512ELj4ELj10EEvPKT0_PS4_
    .private_segment_fixed_size: 0
    .sgpr_count:     36
    .sgpr_spill_count: 0
    .symbol:         _Z17sort_pairs_kernelI22helper_blocked_stripedN15benchmark_utils11custom_typeIiiEELj512ELj4ELj10EEvPKT0_PS4_.kd
    .uniform_work_group_size: 1
    .uses_dynamic_stack: false
    .vgpr_count:     52
    .vgpr_spill_count: 0
    .wavefront_size: 32
    .workgroup_processor_mode: 1
  - .args:
      - .address_space:  global
        .offset:         0
        .size:           8
        .value_kind:     global_buffer
      - .address_space:  global
        .offset:         8
        .size:           8
        .value_kind:     global_buffer
      - .offset:         16
        .size:           4
        .value_kind:     hidden_block_count_x
      - .offset:         20
        .size:           4
        .value_kind:     hidden_block_count_y
      - .offset:         24
        .size:           4
        .value_kind:     hidden_block_count_z
      - .offset:         28
        .size:           2
        .value_kind:     hidden_group_size_x
      - .offset:         30
        .size:           2
        .value_kind:     hidden_group_size_y
      - .offset:         32
        .size:           2
        .value_kind:     hidden_group_size_z
      - .offset:         34
        .size:           2
        .value_kind:     hidden_remainder_x
      - .offset:         36
        .size:           2
        .value_kind:     hidden_remainder_y
      - .offset:         38
        .size:           2
        .value_kind:     hidden_remainder_z
      - .offset:         56
        .size:           8
        .value_kind:     hidden_global_offset_x
      - .offset:         64
        .size:           8
        .value_kind:     hidden_global_offset_y
      - .offset:         72
        .size:           8
        .value_kind:     hidden_global_offset_z
      - .offset:         80
        .size:           2
        .value_kind:     hidden_grid_dims
    .group_segment_fixed_size: 32768
    .kernarg_segment_align: 8
    .kernarg_segment_size: 272
    .language:       OpenCL C
    .language_version:
      - 2
      - 0
    .max_flat_workgroup_size: 512
    .name:           _Z16sort_keys_kernelI22helper_blocked_stripedN15benchmark_utils11custom_typeIiiEELj512ELj8ELj10EEvPKT0_PS4_
    .private_segment_fixed_size: 0
    .sgpr_count:     31
    .sgpr_spill_count: 0
    .symbol:         _Z16sort_keys_kernelI22helper_blocked_stripedN15benchmark_utils11custom_typeIiiEELj512ELj8ELj10EEvPKT0_PS4_.kd
    .uniform_work_group_size: 1
    .uses_dynamic_stack: false
    .vgpr_count:     60
    .vgpr_spill_count: 0
    .wavefront_size: 32
    .workgroup_processor_mode: 1
  - .args:
      - .address_space:  global
        .offset:         0
        .size:           8
        .value_kind:     global_buffer
      - .address_space:  global
        .offset:         8
        .size:           8
        .value_kind:     global_buffer
      - .offset:         16
        .size:           4
        .value_kind:     hidden_block_count_x
      - .offset:         20
        .size:           4
        .value_kind:     hidden_block_count_y
      - .offset:         24
        .size:           4
        .value_kind:     hidden_block_count_z
      - .offset:         28
        .size:           2
        .value_kind:     hidden_group_size_x
      - .offset:         30
        .size:           2
        .value_kind:     hidden_group_size_y
      - .offset:         32
        .size:           2
        .value_kind:     hidden_group_size_z
      - .offset:         34
        .size:           2
        .value_kind:     hidden_remainder_x
      - .offset:         36
        .size:           2
        .value_kind:     hidden_remainder_y
      - .offset:         38
        .size:           2
        .value_kind:     hidden_remainder_z
      - .offset:         56
        .size:           8
        .value_kind:     hidden_global_offset_x
      - .offset:         64
        .size:           8
        .value_kind:     hidden_global_offset_y
      - .offset:         72
        .size:           8
        .value_kind:     hidden_global_offset_z
      - .offset:         80
        .size:           2
        .value_kind:     hidden_grid_dims
    .group_segment_fixed_size: 32768
    .kernarg_segment_align: 8
    .kernarg_segment_size: 272
    .language:       OpenCL C
    .language_version:
      - 2
      - 0
    .max_flat_workgroup_size: 512
    .name:           _Z17sort_pairs_kernelI22helper_blocked_stripedN15benchmark_utils11custom_typeIiiEELj512ELj8ELj10EEvPKT0_PS4_
    .private_segment_fixed_size: 0
    .sgpr_count:     31
    .sgpr_spill_count: 0
    .symbol:         _Z17sort_pairs_kernelI22helper_blocked_stripedN15benchmark_utils11custom_typeIiiEELj512ELj8ELj10EEvPKT0_PS4_.kd
    .uniform_work_group_size: 1
    .uses_dynamic_stack: false
    .vgpr_count:     83
    .vgpr_spill_count: 0
    .wavefront_size: 32
    .workgroup_processor_mode: 1
amdhsa.target:   amdgcn-amd-amdhsa--gfx1100
amdhsa.version:
  - 1
  - 2
...

	.end_amdgpu_metadata
